;; amdgpu-corpus repo=ggml-org/llama.cpp kind=compiled arch=gfx906 opt=O3
	.amdgcn_target "amdgcn-amd-amdhsa--gfx906"
	.amdhsa_code_object_version 6
	.section	.text._ZL17mul_mat_vec_q_moeIL9ggml_type41ELi2EEvPKvS2_PKiPfj15HIP_vector_typeIjLj3EEjjjjjjjjj,"axG",@progbits,_ZL17mul_mat_vec_q_moeIL9ggml_type41ELi2EEvPKvS2_PKiPfj15HIP_vector_typeIjLj3EEjjjjjjjjj,comdat
	.globl	_ZL17mul_mat_vec_q_moeIL9ggml_type41ELi2EEvPKvS2_PKiPfj15HIP_vector_typeIjLj3EEjjjjjjjjj ; -- Begin function _ZL17mul_mat_vec_q_moeIL9ggml_type41ELi2EEvPKvS2_PKiPfj15HIP_vector_typeIjLj3EEjjjjjjjjj
	.p2align	8
	.type	_ZL17mul_mat_vec_q_moeIL9ggml_type41ELi2EEvPKvS2_PKiPfj15HIP_vector_typeIjLj3EEjjjjjjjjj,@function
_ZL17mul_mat_vec_q_moeIL9ggml_type41ELi2EEvPKvS2_PKiPfj15HIP_vector_typeIjLj3EEjjjjjjjjj: ; @_ZL17mul_mat_vec_q_moeIL9ggml_type41ELi2EEvPKvS2_PKiPfj15HIP_vector_typeIjLj3EEjjjjjjjjj
; %bb.0:
	s_load_dwordx8 s[8:15], s[4:5], 0x30
	s_waitcnt lgkmcnt(0)
	v_cmp_gt_u32_e32 vcc, s15, v1
	s_and_saveexec_b64 s[0:1], vcc
	s_cbranch_execz .LBB0_7
; %bb.1:
	s_load_dword s1, s[4:5], 0x20
	s_load_dword s0, s[4:5], 0x50
	s_load_dwordx8 s[16:23], s[4:5], 0x0
	v_lshrrev_b32_e32 v9, 2, v0
	s_lshl_b32 s6, s6, 1
	s_waitcnt lgkmcnt(0)
	s_lshr_b32 s15, s1, 7
	v_cmp_gt_u32_e32 vcc, s15, v9
	v_mov_b32_e32 v10, 0
	v_mov_b32_e32 v6, 0
	s_and_saveexec_b64 s[2:3], vcc
	s_cbranch_execz .LBB0_5
; %bb.2:
	v_mul_lo_u32 v2, s0, v1
	v_mov_b32_e32 v6, 0
	v_mov_b32_e32 v4, s21
	s_load_dwordx4 s[24:27], s[4:5], 0x24
	v_add_u32_e32 v5, s7, v2
	v_lshlrev_b64 v[2:3], 2, v[5:6]
	v_lshrrev_b32_e32 v7, 2, v0
	v_add_co_u32_e32 v2, vcc, s20, v2
	v_addc_co_u32_e32 v3, vcc, v4, v3, vcc
	global_load_dword v4, v[2:3], off
	v_mul_lo_u32 v2, s10, v1
	s_waitcnt lgkmcnt(0)
	s_movk_i32 s27, 0x90
	v_mov_b32_e32 v8, s19
	v_and_b32_e32 v5, 3, v0
	v_mad_u64_u32 v[2:3], s[0:1], v2, 36, 0
	s_mul_hi_u32 s0, s24, s7
	s_add_i32 s0, s7, s0
	s_lshr_b32 s0, s0, s25
	s_mul_i32 s19, s0, s26
	v_mad_u64_u32 v[2:3], s[0:1], v7, s27, v[2:3]
	s_sub_i32 s0, s7, s19
	s_mul_i32 s0, s0, s13
	v_mad_u64_u32 v[2:3], s[0:1], s0, 36, v[2:3]
	s_add_i32 s21, s6, 1
	s_mul_i32 s20, s6, s9
	v_mad_u64_u32 v[2:3], s[0:1], v5, 36, v[2:3]
	s_mul_i32 s0, s9, s21
	s_mov_b64 s[4:5], 0
	v_add_co_u32_e32 v2, vcc, s18, v2
	v_addc_co_u32_e32 v3, vcc, v8, v3, vcc
	v_add_co_u32_e32 v7, vcc, 32, v2
	s_movk_i32 s10, 0x200
	v_mov_b32_e32 v11, 0xff
	v_mov_b32_e32 v12, 0x10000
	;; [unrolled: 1-line block ×5, first 2 shown]
	v_lshlrev_b32_e32 v16, 2, v5
	v_addc_co_u32_e32 v8, vcc, 0, v3, vcc
	v_mov_b32_e32 v10, v6
	s_waitcnt vmcnt(0)
	v_mul_lo_u32 v4, v4, s12
	v_add_u32_e32 v17, s20, v4
	v_add_u32_e32 v18, s0, v4
.LBB0_3:                                ; =>This Inner Loop Header: Depth=1
	v_add_u32_e32 v19, v17, v9
	v_mad_i64_i32 v[25:26], s[0:1], v19, 18, s[16:17]
	v_add_u32_e32 v27, v18, v9
	global_load_dwordx4 v[21:24], v[7:8], off offset:-32
	global_load_dwordx4 v[2:5], v[7:8], off offset:-16
	global_load_dword v20, v[7:8], off
	v_add_co_u32_e32 v7, vcc, 0x900, v7
	v_mad_i64_i32 v[27:28], s[0:1], v27, 18, s[16:17]
	v_addc_co_u32_e32 v8, vcc, 0, v8, vcc
	v_add_co_u32_e32 v29, vcc, v25, v16
	v_addc_co_u32_e32 v30, vcc, 0, v26, vcc
	v_add_co_u32_e32 v31, vcc, v27, v16
	v_addc_co_u32_e32 v32, vcc, 0, v28, vcc
	global_load_dword v19, v[29:30], off offset:2
	global_load_dword v33, v[31:32], off offset:2
	global_load_ushort v34, v[27:28], off
	global_load_ushort v35, v[25:26], off
	v_add_u32_e32 v9, 16, v9
	v_cmp_le_u32_e64 s[0:1], s15, v9
	s_or_b64 s[4:5], s[0:1], s[4:5]
	s_waitcnt vmcnt(6)
	v_cvt_f32_f16_e32 v21, v21
	s_waitcnt vmcnt(3)
	v_and_b32_e32 v25, 1, v19
	v_cmp_eq_u32_e64 s[0:1], 0, v25
	v_and_b32_e32 v26, 4, v19
	v_and_b32_e32 v27, 8, v19
	v_lshlrev_b32_e32 v28, 8, v19
	v_cndmask_b32_e64 v25, 1, v11, s[0:1]
	v_and_b32_e32 v29, 16, v19
	v_cmp_eq_u32_e32 vcc, 0, v27
	v_cmp_eq_u32_e64 s[0:1], 0, v26
	v_and_or_b32 v25, v28, s10, v25
	v_and_b32_e32 v31, 0x80, v19
	v_cndmask_b32_e64 v26, v12, v13, s[0:1]
	v_cndmask_b32_e32 v28, v14, v15, vcc
	v_add_u32_e32 v25, 0xff00, v25
	v_cmp_eq_u32_e64 s[0:1], 0, v29
	v_lshlrev_b32_e32 v32, 4, v19
	v_or3_b32 v25, v28, v26, v25
	v_and_b32_e32 v28, 0x100, v19
	v_cmp_eq_u32_e32 vcc, 0, v31
	v_cndmask_b32_e64 v29, 1, v11, s[0:1]
	v_and_b32_e32 v27, 0x400, v19
	v_and_or_b32 v29, v32, s10, v29
	v_cndmask_b32_e32 v32, v14, v15, vcc
	v_cmp_eq_u32_e32 vcc, 0, v28
	v_and_b32_e32 v30, 64, v19
	v_and_b32_e32 v26, 0x800, v19
	v_cndmask_b32_e32 v28, 1, v11, vcc
	v_cmp_eq_u32_e32 vcc, 0, v27
	s_waitcnt vmcnt(2)
	v_and_b32_e32 v31, 1, v33
	v_cmp_eq_u32_e64 s[0:1], 0, v30
	v_cndmask_b32_e32 v27, v12, v13, vcc
	v_cmp_eq_u32_e32 vcc, 0, v26
	v_and_or_b32 v28, v19, s10, v28
	v_cndmask_b32_e64 v30, v12, v13, s[0:1]
	v_add_u32_e32 v29, 0xff00, v29
	v_cndmask_b32_e32 v26, v14, v15, vcc
	v_add_u32_e32 v28, 0xff00, v28
	v_cmp_eq_u32_e64 s[0:1], 0, v31
	v_or3_b32 v29, v32, v30, v29
	v_and_b32_e32 v30, 4, v33
	v_and_b32_e32 v32, 8, v33
	v_or3_b32 v26, v26, v27, v28
	v_lshlrev_b32_e32 v27, 8, v33
	v_cndmask_b32_e64 v31, 1, v11, s[0:1]
	v_and_b32_e32 v28, 16, v33
	v_cmp_eq_u32_e32 vcc, 0, v32
	v_cmp_eq_u32_e64 s[0:1], 0, v30
	v_and_or_b32 v27, v27, s10, v31
	v_cndmask_b32_e64 v30, v12, v13, s[0:1]
	v_cndmask_b32_e32 v31, v14, v15, vcc
	v_add_u32_e32 v27, 0xff00, v27
	v_cmp_eq_u32_e64 s[0:1], 0, v28
	v_and_b32_e32 v32, 64, v33
	v_or3_b32 v27, v31, v30, v27
	v_and_b32_e32 v30, 0x80, v33
	v_lshlrev_b32_e32 v31, 4, v33
	v_cndmask_b32_e64 v28, 1, v11, s[0:1]
	v_cmp_eq_u32_e32 vcc, 0, v30
	v_cmp_eq_u32_e64 s[0:1], 0, v32
	v_and_or_b32 v28, v31, s10, v28
	v_cndmask_b32_e64 v32, v12, v13, s[0:1]
	v_cndmask_b32_e32 v31, v14, v15, vcc
	v_add_u32_e32 v28, 0xff00, v28
	v_or3_b32 v28, v31, v32, v28
	v_and_b32_e32 v32, 0x100, v33
	v_and_b32_e32 v30, 0x400, v33
	v_cmp_eq_u32_e32 vcc, 0, v32
	v_and_b32_e32 v31, 0x800, v33
	v_cndmask_b32_e32 v32, 1, v11, vcc
	v_cmp_eq_u32_e32 vcc, 0, v30
	v_cndmask_b32_e32 v30, v12, v13, vcc
	v_cmp_eq_u32_e32 vcc, 0, v31
	v_and_or_b32 v32, v33, s10, v32
	v_cndmask_b32_e32 v31, v14, v15, vcc
	v_add_u32_e32 v32, 0xff00, v32
	v_or3_b32 v30, v31, v30, v32
	v_and_b32_e32 v31, 0x1000, v19
	v_dot4_i32_i8 v25, v25, v22, 0
	v_and_b32_e32 v32, 0x4000, v19
	v_dot4_i32_i8 v25, v29, v23, v25
	v_dot4_i32_i8 v22, v27, v22, 0
	v_cmp_eq_u32_e64 s[0:1], 0, v31
	v_dot4_i32_i8 v22, v28, v23, v22
	v_dot4_i32_i8 v25, v26, v24, v25
	v_and_b32_e32 v26, 0x10000, v19
	v_cndmask_b32_e64 v31, 1, v11, s[0:1]
	v_cmp_eq_u32_e64 s[0:1], 0, v32
	v_and_b32_e32 v29, 0x8000, v19
	v_lshrrev_b32_e32 v23, 4, v19
	v_dot4_i32_i8 v22, v30, v24, v22
	v_and_b32_e32 v24, 0x40000, v19
	v_cndmask_b32_e64 v32, v12, v13, s[0:1]
	v_cmp_eq_u32_e64 s[0:1], 0, v26
	v_and_b32_e32 v30, 0x100000, v19
	v_cmp_eq_u32_e32 vcc, 0, v29
	v_and_or_b32 v23, v23, s10, v31
	v_cndmask_b32_e64 v26, 1, v11, s[0:1]
	v_cmp_eq_u32_e64 s[0:1], 0, v24
	v_and_b32_e32 v27, 0x80000, v19
	v_lshrrev_b32_e32 v28, 8, v19
	v_and_b32_e32 v36, 0x400000, v19
	v_cndmask_b32_e32 v31, v14, v15, vcc
	v_add_u32_e32 v23, 0xff00, v23
	v_cndmask_b32_e64 v24, v12, v13, s[0:1]
	v_cmp_eq_u32_e64 s[0:1], 0, v30
	v_or3_b32 v23, v31, v32, v23
	v_and_b32_e32 v32, 0x1000000, v19
	v_cmp_eq_u32_e32 vcc, 0, v27
	v_and_or_b32 v26, v28, s10, v26
	v_cndmask_b32_e64 v30, 1, v11, s[0:1]
	v_cmp_eq_u32_e64 s[0:1], 0, v36
	v_and_b32_e32 v29, 0x800000, v19
	v_lshrrev_b32_e32 v31, 12, v19
	v_and_b32_e32 v27, 0x4000000, v19
	v_cndmask_b32_e32 v28, v14, v15, vcc
	v_add_u32_e32 v26, 0xff00, v26
	v_cndmask_b32_e64 v36, v12, v13, s[0:1]
	v_cmp_eq_u32_e64 s[0:1], 0, v32
	v_or3_b32 v24, v28, v24, v26
	v_and_b32_e32 v26, 0x8000000, v19
	v_lshrrev_b32_e32 v28, 16, v19
	v_cmp_eq_u32_e32 vcc, 0, v29
	v_and_b32_e32 v29, 0x1000, v33
	v_and_or_b32 v30, v31, s10, v30
	v_cndmask_b32_e64 v32, 1, v11, s[0:1]
	v_cmp_eq_u32_e64 s[0:1], 0, v27
	v_cndmask_b32_e32 v31, v14, v15, vcc
	v_add_u32_e32 v30, 0xff00, v30
	v_cmp_eq_u32_e32 vcc, 0, v26
	v_cndmask_b32_e64 v27, v12, v13, s[0:1]
	v_and_or_b32 v28, v28, s10, v32
	v_cmp_eq_u32_e64 s[0:1], 0, v29
	v_or3_b32 v30, v31, v36, v30
	v_and_b32_e32 v31, 0x4000, v33
	v_and_b32_e32 v36, 0x8000, v33
	v_lshrrev_b32_e32 v26, 4, v33
	v_cndmask_b32_e32 v32, v14, v15, vcc
	v_add_u32_e32 v28, 0xff00, v28
	v_cndmask_b32_e64 v29, 1, v11, s[0:1]
	v_or3_b32 v27, v32, v27, v28
	v_and_b32_e32 v28, 0x10000, v33
	v_cmp_eq_u32_e32 vcc, 0, v36
	v_cmp_eq_u32_e64 s[0:1], 0, v31
	v_and_or_b32 v26, v26, s10, v29
	v_cndmask_b32_e64 v31, v12, v13, s[0:1]
	v_cndmask_b32_e32 v29, v14, v15, vcc
	v_add_u32_e32 v26, 0xff00, v26
	v_cmp_eq_u32_e64 s[0:1], 0, v28
	v_and_b32_e32 v32, 0x40000, v33
	v_and_b32_e32 v36, 0x80000, v33
	v_or3_b32 v26, v29, v31, v26
	v_lshrrev_b32_e32 v29, 8, v33
	v_cndmask_b32_e64 v28, 1, v11, s[0:1]
	v_and_b32_e32 v31, 0x100000, v33
	v_cmp_eq_u32_e32 vcc, 0, v36
	v_cmp_eq_u32_e64 s[0:1], 0, v32
	v_and_or_b32 v28, v29, s10, v28
	v_cndmask_b32_e64 v32, v12, v13, s[0:1]
	v_cndmask_b32_e32 v29, v14, v15, vcc
	v_add_u32_e32 v28, 0xff00, v28
	v_cmp_eq_u32_e64 s[0:1], 0, v31
	v_and_b32_e32 v36, 0x400000, v33
	v_or3_b32 v28, v29, v32, v28
	v_and_b32_e32 v29, 0x800000, v33
	v_lshrrev_b32_e32 v32, 12, v33
	v_cndmask_b32_e64 v31, 1, v11, s[0:1]
	v_cmp_eq_u32_e32 vcc, 0, v29
	v_cmp_eq_u32_e64 s[0:1], 0, v36
	v_and_or_b32 v31, v32, s10, v31
	v_and_b32_e32 v29, 0x1000000, v33
	v_cndmask_b32_e64 v36, v12, v13, s[0:1]
	v_cndmask_b32_e32 v32, v14, v15, vcc
	v_add_u32_e32 v31, 0xff00, v31
	v_or3_b32 v31, v32, v36, v31
	v_and_b32_e32 v36, 0x8000000, v33
	v_cmp_eq_u32_e64 s[0:1], 0, v29
	v_and_b32_e32 v32, 0x4000000, v33
	v_cmp_eq_u32_e32 vcc, 0, v36
	v_lshrrev_b32_e32 v36, 16, v33
	v_cndmask_b32_e64 v29, 1, v11, s[0:1]
	v_cmp_eq_u32_e64 s[0:1], 0, v32
	v_and_or_b32 v29, v36, s10, v29
	v_cndmask_b32_e64 v32, v12, v13, s[0:1]
	v_cndmask_b32_e32 v36, v14, v15, vcc
	v_add_u32_e32 v29, 0xff00, v29
	v_or3_b32 v29, v36, v32, v29
	v_and_b32_e32 v32, 0x10000000, v19
	v_and_b32_e32 v36, 2.0, v19
	v_ashrrev_i32_e32 v19, 28, v19
	v_cmp_eq_u32_e64 s[0:1], 0, v32
	v_cmp_eq_u32_e32 vcc, 0, v36
	v_and_b32_e32 v36, 8, v19
	v_lshlrev_b32_e32 v19, 8, v19
	v_cndmask_b32_e64 v32, 1, v11, s[0:1]
	v_and_or_b32 v19, v19, s10, v32
	v_cndmask_b32_e32 v32, v12, v13, vcc
	v_cmp_eq_u32_e32 vcc, 0, v36
	v_cndmask_b32_e32 v36, v14, v15, vcc
	v_add_u32_e32 v19, 0xff00, v19
	v_or3_b32 v19, v36, v32, v19
	v_and_b32_e32 v32, 0x10000000, v33
	v_and_b32_e32 v36, 2.0, v33
	v_ashrrev_i32_e32 v33, 28, v33
	v_cmp_eq_u32_e64 s[0:1], 0, v32
	v_cmp_eq_u32_e32 vcc, 0, v36
	v_and_b32_e32 v36, 8, v33
	v_lshlrev_b32_e32 v33, 8, v33
	v_cndmask_b32_e64 v32, 1, v11, s[0:1]
	v_dot4_i32_i8 v23, v23, v2, v25
	v_dot4_i32_i8 v2, v26, v2, v22
	v_and_or_b32 v32, v33, s10, v32
	v_cndmask_b32_e32 v33, v12, v13, vcc
	v_cmp_eq_u32_e32 vcc, 0, v36
	v_dot4_i32_i8 v22, v24, v3, v23
	v_dot4_i32_i8 v2, v28, v3, v2
	v_cndmask_b32_e32 v36, v14, v15, vcc
	v_add_u32_e32 v32, 0xff00, v32
	v_dot4_i32_i8 v3, v30, v4, v22
	v_dot4_i32_i8 v2, v31, v4, v2
	v_or3_b32 v32, v36, v33, v32
	v_dot4_i32_i8 v3, v27, v5, v3
	v_dot4_i32_i8 v2, v29, v5, v2
	s_waitcnt vmcnt(0)
	v_cvt_f32_f16_e32 v35, v35
	v_cvt_f32_f16_e32 v34, v34
	v_dot4_i32_i8 v3, v19, v20, v3
	v_dot4_i32_i8 v2, v32, v20, v2
	v_cvt_f32_i32_e32 v3, v3
	v_cvt_f32_i32_e32 v2, v2
	v_mul_f32_e32 v4, v35, v21
	v_mul_f32_e32 v5, v34, v21
	v_fmac_f32_e32 v6, v4, v3
	v_fmac_f32_e32 v10, v5, v2
	s_andn2_b64 exec, exec, s[4:5]
	s_cbranch_execnz .LBB0_3
; %bb.4:
	s_or_b64 exec, exec, s[4:5]
.LBB0_5:
	s_or_b64 exec, exec, s[2:3]
	v_mbcnt_lo_u32_b32 v2, -1, 0
	v_mbcnt_hi_u32_b32 v2, -1, v2
	v_and_b32_e32 v3, 64, v2
	v_add_u32_e32 v3, 64, v3
	v_xor_b32_e32 v4, 32, v2
	v_cmp_lt_i32_e32 vcc, v4, v3
	v_cndmask_b32_e32 v4, v2, v4, vcc
	v_lshlrev_b32_e32 v4, 2, v4
	ds_bpermute_b32 v8, v4, v6
	ds_bpermute_b32 v4, v4, v10
	v_xor_b32_e32 v5, 16, v2
	v_cmp_lt_i32_e32 vcc, v5, v3
	v_cndmask_b32_e32 v5, v2, v5, vcc
	v_lshlrev_b32_e32 v5, 2, v5
	s_waitcnt lgkmcnt(1)
	v_add_f32_e32 v6, v6, v8
	s_waitcnt lgkmcnt(0)
	v_add_f32_e32 v4, v10, v4
	ds_bpermute_b32 v8, v5, v6
	ds_bpermute_b32 v5, v5, v4
	v_xor_b32_e32 v7, 8, v2
	v_cmp_lt_i32_e32 vcc, v7, v3
	v_cndmask_b32_e32 v7, v2, v7, vcc
	v_lshlrev_b32_e32 v7, 2, v7
	s_waitcnt lgkmcnt(1)
	v_add_f32_e32 v6, v6, v8
	s_waitcnt lgkmcnt(0)
	v_add_f32_e32 v4, v4, v5
	;; [unrolled: 10-line block ×5, first 2 shown]
	ds_bpermute_b32 v3, v7, v2
	ds_bpermute_b32 v5, v7, v4
	v_add_u32_e32 v6, s6, v0
	v_cmp_gt_u32_e32 vcc, 2, v0
	v_cmp_gt_u32_e64 s[0:1], s8, v6
	s_and_b64 s[0:1], vcc, s[0:1]
	s_and_b64 exec, exec, s[0:1]
	s_cbranch_execz .LBB0_7
; %bb.6:
	v_mul_lo_u32 v1, s11, v1
	v_cmp_eq_u32_e32 vcc, 1, v0
	s_mul_i32 s0, s14, s7
	v_or_b32_e32 v0, s6, v0
	v_add3_u32 v0, v0, v1, s0
	v_mov_b32_e32 v1, 0
	v_lshlrev_b64 v[0:1], 2, v[0:1]
	s_waitcnt lgkmcnt(1)
	v_add_f32_e32 v2, v2, v3
	s_waitcnt lgkmcnt(0)
	v_add_f32_e32 v3, v4, v5
	v_cndmask_b32_e32 v2, v2, v3, vcc
	v_mov_b32_e32 v3, s23
	v_add_co_u32_e32 v0, vcc, s22, v0
	v_addc_co_u32_e32 v1, vcc, v3, v1, vcc
	global_store_dword v[0:1], v2, off
.LBB0_7:
	s_endpgm
	.section	.rodata,"a",@progbits
	.p2align	6, 0x0
	.amdhsa_kernel _ZL17mul_mat_vec_q_moeIL9ggml_type41ELi2EEvPKvS2_PKiPfj15HIP_vector_typeIjLj3EEjjjjjjjjj
		.amdhsa_group_segment_fixed_size 0
		.amdhsa_private_segment_fixed_size 0
		.amdhsa_kernarg_size 84
		.amdhsa_user_sgpr_count 6
		.amdhsa_user_sgpr_private_segment_buffer 1
		.amdhsa_user_sgpr_dispatch_ptr 0
		.amdhsa_user_sgpr_queue_ptr 0
		.amdhsa_user_sgpr_kernarg_segment_ptr 1
		.amdhsa_user_sgpr_dispatch_id 0
		.amdhsa_user_sgpr_flat_scratch_init 0
		.amdhsa_user_sgpr_private_segment_size 0
		.amdhsa_uses_dynamic_stack 0
		.amdhsa_system_sgpr_private_segment_wavefront_offset 0
		.amdhsa_system_sgpr_workgroup_id_x 1
		.amdhsa_system_sgpr_workgroup_id_y 1
		.amdhsa_system_sgpr_workgroup_id_z 0
		.amdhsa_system_sgpr_workgroup_info 0
		.amdhsa_system_vgpr_workitem_id 1
		.amdhsa_next_free_vgpr 37
		.amdhsa_next_free_sgpr 28
		.amdhsa_reserve_vcc 1
		.amdhsa_reserve_flat_scratch 0
		.amdhsa_float_round_mode_32 0
		.amdhsa_float_round_mode_16_64 0
		.amdhsa_float_denorm_mode_32 3
		.amdhsa_float_denorm_mode_16_64 3
		.amdhsa_dx10_clamp 1
		.amdhsa_ieee_mode 1
		.amdhsa_fp16_overflow 0
		.amdhsa_exception_fp_ieee_invalid_op 0
		.amdhsa_exception_fp_denorm_src 0
		.amdhsa_exception_fp_ieee_div_zero 0
		.amdhsa_exception_fp_ieee_overflow 0
		.amdhsa_exception_fp_ieee_underflow 0
		.amdhsa_exception_fp_ieee_inexact 0
		.amdhsa_exception_int_div_zero 0
	.end_amdhsa_kernel
	.section	.text._ZL17mul_mat_vec_q_moeIL9ggml_type41ELi2EEvPKvS2_PKiPfj15HIP_vector_typeIjLj3EEjjjjjjjjj,"axG",@progbits,_ZL17mul_mat_vec_q_moeIL9ggml_type41ELi2EEvPKvS2_PKiPfj15HIP_vector_typeIjLj3EEjjjjjjjjj,comdat
.Lfunc_end0:
	.size	_ZL17mul_mat_vec_q_moeIL9ggml_type41ELi2EEvPKvS2_PKiPfj15HIP_vector_typeIjLj3EEjjjjjjjjj, .Lfunc_end0-_ZL17mul_mat_vec_q_moeIL9ggml_type41ELi2EEvPKvS2_PKiPfj15HIP_vector_typeIjLj3EEjjjjjjjjj
                                        ; -- End function
	.set _ZL17mul_mat_vec_q_moeIL9ggml_type41ELi2EEvPKvS2_PKiPfj15HIP_vector_typeIjLj3EEjjjjjjjjj.num_vgpr, 37
	.set _ZL17mul_mat_vec_q_moeIL9ggml_type41ELi2EEvPKvS2_PKiPfj15HIP_vector_typeIjLj3EEjjjjjjjjj.num_agpr, 0
	.set _ZL17mul_mat_vec_q_moeIL9ggml_type41ELi2EEvPKvS2_PKiPfj15HIP_vector_typeIjLj3EEjjjjjjjjj.numbered_sgpr, 28
	.set _ZL17mul_mat_vec_q_moeIL9ggml_type41ELi2EEvPKvS2_PKiPfj15HIP_vector_typeIjLj3EEjjjjjjjjj.num_named_barrier, 0
	.set _ZL17mul_mat_vec_q_moeIL9ggml_type41ELi2EEvPKvS2_PKiPfj15HIP_vector_typeIjLj3EEjjjjjjjjj.private_seg_size, 0
	.set _ZL17mul_mat_vec_q_moeIL9ggml_type41ELi2EEvPKvS2_PKiPfj15HIP_vector_typeIjLj3EEjjjjjjjjj.uses_vcc, 1
	.set _ZL17mul_mat_vec_q_moeIL9ggml_type41ELi2EEvPKvS2_PKiPfj15HIP_vector_typeIjLj3EEjjjjjjjjj.uses_flat_scratch, 0
	.set _ZL17mul_mat_vec_q_moeIL9ggml_type41ELi2EEvPKvS2_PKiPfj15HIP_vector_typeIjLj3EEjjjjjjjjj.has_dyn_sized_stack, 0
	.set _ZL17mul_mat_vec_q_moeIL9ggml_type41ELi2EEvPKvS2_PKiPfj15HIP_vector_typeIjLj3EEjjjjjjjjj.has_recursion, 0
	.set _ZL17mul_mat_vec_q_moeIL9ggml_type41ELi2EEvPKvS2_PKiPfj15HIP_vector_typeIjLj3EEjjjjjjjjj.has_indirect_call, 0
	.section	.AMDGPU.csdata,"",@progbits
; Kernel info:
; codeLenInByte = 2420
; TotalNumSgprs: 32
; NumVgprs: 37
; ScratchSize: 0
; MemoryBound: 0
; FloatMode: 240
; IeeeMode: 1
; LDSByteSize: 0 bytes/workgroup (compile time only)
; SGPRBlocks: 3
; VGPRBlocks: 9
; NumSGPRsForWavesPerEU: 32
; NumVGPRsForWavesPerEU: 37
; Occupancy: 6
; WaveLimiterHint : 1
; COMPUTE_PGM_RSRC2:SCRATCH_EN: 0
; COMPUTE_PGM_RSRC2:USER_SGPR: 6
; COMPUTE_PGM_RSRC2:TRAP_HANDLER: 0
; COMPUTE_PGM_RSRC2:TGID_X_EN: 1
; COMPUTE_PGM_RSRC2:TGID_Y_EN: 1
; COMPUTE_PGM_RSRC2:TGID_Z_EN: 0
; COMPUTE_PGM_RSRC2:TIDIG_COMP_CNT: 1
	.section	.text._ZL13mul_mat_vec_qIL9ggml_type41ELi1ELb1ELb1EEvPKvS2_PKi31ggml_cuda_mm_fusion_args_devicePfj15HIP_vector_typeIjLj3EEjjjS8_jjjS8_jjjj,"axG",@progbits,_ZL13mul_mat_vec_qIL9ggml_type41ELi1ELb1ELb1EEvPKvS2_PKi31ggml_cuda_mm_fusion_args_devicePfj15HIP_vector_typeIjLj3EEjjjS8_jjjS8_jjjj,comdat
	.globl	_ZL13mul_mat_vec_qIL9ggml_type41ELi1ELb1ELb1EEvPKvS2_PKi31ggml_cuda_mm_fusion_args_devicePfj15HIP_vector_typeIjLj3EEjjjS8_jjjS8_jjjj ; -- Begin function _ZL13mul_mat_vec_qIL9ggml_type41ELi1ELb1ELb1EEvPKvS2_PKi31ggml_cuda_mm_fusion_args_devicePfj15HIP_vector_typeIjLj3EEjjjS8_jjjS8_jjjj
	.p2align	8
	.type	_ZL13mul_mat_vec_qIL9ggml_type41ELi1ELb1ELb1EEvPKvS2_PKi31ggml_cuda_mm_fusion_args_devicePfj15HIP_vector_typeIjLj3EEjjjS8_jjjS8_jjjj,@function
_ZL13mul_mat_vec_qIL9ggml_type41ELi1ELb1ELb1EEvPKvS2_PKi31ggml_cuda_mm_fusion_args_devicePfj15HIP_vector_typeIjLj3EEjjjS8_jjjS8_jjjj: ; @_ZL13mul_mat_vec_qIL9ggml_type41ELi1ELb1ELb1EEvPKvS2_PKi31ggml_cuda_mm_fusion_args_devicePfj15HIP_vector_typeIjLj3EEjjjS8_jjjS8_jjjj
; %bb.0:
	s_load_dwordx8 s[60:67], s[4:5], 0x0
	s_load_dwordx4 s[0:3], s[4:5], 0x20
                                        ; implicit-def: $vgpr45 : SGPR spill to VGPR lane
	s_load_dwordx4 s[12:15], s[4:5], 0x40
	s_load_dwordx4 s[24:27], s[4:5], 0x68
	s_mov_b32 s18, s8
	s_mov_b32 s20, s7
	s_waitcnt lgkmcnt(0)
	s_cmp_lg_u64 s[64:65], 0
	v_writelane_b32 v45, s0, 0
	v_writelane_b32 v45, s1, 1
	;; [unrolled: 1-line block ×3, first 2 shown]
	s_mov_b64 s[16:17], s[4:5]
	v_writelane_b32 v45, s3, 3
	s_cselect_b64 s[0:1], -1, 0
	s_cmp_eq_u64 s[64:65], 0
	s_mov_b64 s[2:3], 0
	s_cbranch_scc1 .LBB1_5
; %bb.1:
	s_mov_b32 s21, 0
	s_lshl_b64 s[4:5], s[20:21], 2
	s_add_u32 s4, s64, s4
	s_addc_u32 s5, s65, s5
	s_load_dword s9, s[4:5], 0x0
	s_load_dword s8, s[16:17], 0x50
	;; [unrolled: 1-line block ×3, first 2 shown]
	s_andn2_b64 vcc, exec, s[2:3]
	s_cbranch_vccnz .LBB1_3
.LBB1_2:
	s_load_dwordx2 s[2:3], s[16:17], 0x5c
	s_waitcnt lgkmcnt(0)
	s_mul_hi_u32 s2, s2, s20
	s_add_i32 s2, s20, s2
	s_lshr_b32 s9, s2, s3
.LBB1_3:
	s_andn2_b64 vcc, exec, s[0:1]
	s_cbranch_vccnz .LBB1_6
; %bb.4:
	s_mul_hi_u32 s0, s13, s20
	s_add_i32 s0, s20, s0
	s_lshr_b32 s0, s0, s14
	s_mul_i32 s0, s0, s15
	s_sub_i32 s11, s20, s0
	s_waitcnt lgkmcnt(0)
	s_mov_b32 s13, s9
	s_branch .LBB1_7
.LBB1_5:
                                        ; implicit-def: $sgpr9
	s_load_dword s8, s[16:17], 0x50
	s_load_dword s10, s[16:17], 0x78
	s_branch .LBB1_2
.LBB1_6:
	s_mov_b32 s13, s20
	s_mov_b32 s11, s20
.LBB1_7:
	s_load_dword s19, s[16:17], 0x58
	s_load_dwordx4 s[28:31], s[16:17], 0x80
	s_lshl_b32 s22, s6, 1
	s_cmp_eq_u64 s[66:67], 0
	s_cselect_b64 s[34:35], -1, 0
	v_mov_b32_e32 v16, 0
	s_and_b64 vcc, exec, s[34:35]
	v_cmp_gt_u32_e64 s[0:1], 2, v0
	v_cmp_eq_u32_e64 s[2:3], 0, v1
	v_add_u32_e32 v15, s22, v0
	v_mov_b32_e32 v17, 0
	s_cbranch_vccnz .LBB1_11
; %bb.8:
	s_waitcnt lgkmcnt(0)
	v_cmp_gt_u32_e32 vcc, s19, v15
	s_and_b64 s[0:1], s[0:1], vcc
	s_mov_b32 s5, 0
	s_and_b64 s[2:3], s[0:1], s[2:3]
	v_mov_b32_e32 v17, 0
	s_and_saveexec_b64 s[0:1], s[2:3]
	s_cbranch_execz .LBB1_10
; %bb.9:
	s_mul_i32 s4, s30, s18
	s_lshl_b64 s[2:3], s[4:5], 2
	s_add_u32 s6, s66, s2
	s_mul_i32 s4, s13, s26
	s_addc_u32 s7, s67, s3
	s_lshl_b64 s[2:3], s[4:5], 2
	s_add_u32 s4, s6, s2
	s_addc_u32 s5, s7, s3
	s_ashr_i32 s23, s22, 31
	s_lshl_b64 s[2:3], s[22:23], 2
	s_add_u32 s2, s4, s2
	s_addc_u32 s3, s5, s3
	v_lshlrev_b32_e32 v2, 2, v0
	global_load_dword v17, v2, s[2:3]
.LBB1_10:
	s_or_b64 exec, exec, s[0:1]
.LBB1_11:
	s_load_dwordx4 s[0:3], s[16:17], 0x20
	s_waitcnt lgkmcnt(0)
	s_cmp_lg_u64 s[0:1], 0
	s_cselect_b64 s[4:5], -1, 0
	s_cmp_eq_u64 s[0:1], 0
	s_cselect_b64 s[0:1], -1, 0
	s_cmp_lg_u64 s[2:3], 0
	v_writelane_b32 v45, s0, 4
	s_cselect_b64 s[36:37], -1, 0
	v_writelane_b32 v45, s1, 5
	s_and_b64 s[0:1], s[36:37], s[4:5]
	s_andn2_b64 vcc, exec, s[0:1]
	v_cmp_gt_u32_e64 s[0:1], s19, v15
	s_cbranch_vccnz .LBB1_15
; %bb.12:
	v_cmp_gt_u32_e32 vcc, 2, v0
	v_cmp_eq_u32_e64 s[2:3], 0, v1
	s_and_b64 s[0:1], vcc, s[0:1]
	s_mov_b32 s7, 0
	s_and_b64 s[2:3], s[0:1], s[2:3]
	v_mov_b32_e32 v16, 0
	s_and_saveexec_b64 s[0:1], s[2:3]
	s_cbranch_execz .LBB1_14
; %bb.13:
	s_load_dwordx4 s[40:43], s[16:17], 0x20
	s_mul_i32 s6, s30, s18
	s_lshl_b64 s[2:3], s[6:7], 2
	s_mul_i32 s6, s13, s26
	v_lshlrev_b32_e32 v2, 2, v0
	s_waitcnt lgkmcnt(0)
	s_add_u32 s14, s42, s2
	s_addc_u32 s15, s43, s3
	s_lshl_b64 s[2:3], s[6:7], 2
	s_add_u32 s6, s14, s2
	s_addc_u32 s7, s15, s3
	s_ashr_i32 s23, s22, 31
	s_lshl_b64 s[2:3], s[22:23], 2
	s_add_u32 s2, s6, s2
	s_addc_u32 s3, s7, s3
	global_load_dword v16, v2, s[2:3]
.LBB1_14:
	s_or_b64 exec, exec, s[0:1]
.LBB1_15:
	v_lshl_add_u32 v2, v1, 6, v0
	s_lshr_b32 s0, s12, 7
	v_lshrrev_b32_e32 v19, 2, v2
	v_mov_b32_e32 v12, 0
	v_cndmask_b32_e64 v3, 0, 1, s[4:5]
	v_writelane_b32 v45, s0, 6
	v_cmp_gt_u32_e32 vcc, s0, v19
	v_mov_b32_e32 v13, v12
	v_cmp_ne_u32_e64 s[0:1], 1, v3
	v_mov_b32_e32 v10, v12
	v_writelane_b32 v45, s0, 7
	v_mov_b32_e32 v18, v12
	v_mov_b32_e32 v11, v13
	v_writelane_b32 v45, s1, 8
	s_mov_b64 s[0:1], exec
	v_writelane_b32 v45, s0, 9
	v_writelane_b32 v45, s1, 10
	s_and_b64 s[0:1], s[0:1], vcc
	s_mov_b64 exec, s[0:1]
	s_cbranch_execz .LBB1_23
; %bb.16:
	v_writelane_b32 v45, s36, 11
	v_writelane_b32 v45, s37, 12
	;; [unrolled: 1-line block ×8, first 2 shown]
	s_mul_hi_u32 s0, s27, s18
	v_writelane_b32 v45, s17, 19
	s_add_i32 s0, s18, s0
	s_lshr_b32 s0, s0, s10
	v_writelane_b32 v45, s18, 20
	s_mul_i32 s0, s0, s28
	v_writelane_b32 v45, s28, 21
	v_writelane_b32 v45, s29, 22
	;; [unrolled: 1-line block ×4, first 2 shown]
	s_mul_i32 s1, s9, s24
	v_writelane_b32 v45, s24, 25
	s_mul_i32 s3, s11, s25
	s_add_i32 s4, s1, s0
	s_mul_hi_u32 s0, s3, 36
	s_mul_i32 s3, s3, 36
	v_lshrrev_b32_e32 v5, 2, v2
	v_mov_b32_e32 v2, s3
	v_mov_b32_e32 v3, s0
	s_movk_i32 s0, 0x90
	v_mad_u64_u32 v[2:3], s[0:1], v5, s0, v[2:3]
	v_writelane_b32 v45, s25, 26
	v_writelane_b32 v45, s26, 27
	s_mul_i32 s0, s22, s8
	s_mul_i32 s2, s29, s18
	v_writelane_b32 v45, s27, 28
	s_add_i32 s0, s4, s0
	v_writelane_b32 v45, s0, 29
	v_mad_u64_u32 v[2:3], s[0:1], s2, 36, v[2:3]
	s_mov_b32 s0, s22
	v_writelane_b32 v45, s0, 30
	v_and_b32_e32 v4, 3, v0
	v_writelane_b32 v45, s1, 31
	s_add_i32 s0, s22, 1
	s_mul_i32 s8, s8, s0
	v_mad_u64_u32 v[2:3], s[0:1], v4, 36, v[2:3]
	v_lshlrev_b32_e32 v20, 2, v4
	v_mov_b32_e32 v4, s63
	v_add_co_u32_e32 v2, vcc, s62, v2
	v_addc_co_u32_e32 v3, vcc, v4, v3, vcc
	v_mov_b32_e32 v10, 0
	v_add_co_u32_e32 v13, vcc, 32, v2
	s_add_i32 s0, s4, s8
	v_addc_co_u32_e32 v14, vcc, 0, v3, vcc
	v_mov_b32_e32 v11, v10
	s_mov_b64 s[8:9], 0
	s_movk_i32 s33, 0x200
	v_mov_b32_e32 v21, 0xff
	v_mov_b32_e32 v22, 0x10000
	;; [unrolled: 1-line block ×7, first 2 shown]
	v_writelane_b32 v45, s0, 32
	s_branch .LBB1_18
.LBB1_17:                               ;   in Loop: Header=BB1_18 Depth=1
	v_cndmask_b32_e64 v33, 1, v21, s[50:51]
	v_lshlrev_b32_e32 v41, 8, v28
	v_and_or_b32 v33, v41, s33, v33
	v_cndmask_b32_e64 v34, v22, v23, s[54:55]
	v_cndmask_b32_e64 v35, v24, v25, s[56:57]
	v_add_u32_e32 v33, 0xff00, v33
	v_cndmask_b32_e64 v36, 1, v21, s[48:49]
	v_cndmask_b32_e64 v39, 1, v21, s[42:43]
	v_or3_b32 v33, v35, v34, v33
	v_lshlrev_b32_e32 v34, 4, v28
	v_and_or_b32 v34, v34, s33, v36
	v_and_or_b32 v36, v28, s33, v39
	v_cndmask_b32_e64 v40, v22, v23, s[44:45]
	v_cndmask_b32_e64 v35, v24, v25, s[38:39]
	v_add_u32_e32 v36, 0xff00, v36
	v_or3_b32 v35, v35, v40, v36
	v_cndmask_b32_e64 v36, 1, v21, s[26:27]
	v_lshrrev_b32_e32 v39, 4, v28
	v_cndmask_b32_e64 v37, v22, v23, s[52:53]
	v_cndmask_b32_e64 v38, v24, v25, s[46:47]
	v_add_u32_e32 v34, 0xff00, v34
	v_and_or_b32 v36, v39, s33, v36
	v_readlane_b32 s16, v45, 33
	v_or3_b32 v34, v38, v37, v34
	v_cndmask_b32_e64 v37, v22, v23, s[34:35]
	v_cndmask_b32_e64 v38, v24, v25, s[40:41]
	v_add_u32_e32 v36, 0xff00, v36
	v_readlane_b32 s17, v45, 34
	v_or3_b32 v36, v38, v37, v36
	v_cndmask_b32_e64 v37, 1, v21, s[16:17]
	v_lshrrev_b32_e32 v40, 8, v28
	v_and_or_b32 v37, v40, s33, v37
	v_cndmask_b32_e64 v38, v22, v23, s[28:29]
	v_cndmask_b32_e64 v39, v24, v25, s[36:37]
	v_add_u32_e32 v37, 0xff00, v37
	v_or3_b32 v37, v39, v38, v37
	v_cndmask_b32_e64 v38, 1, v21, s[14:15]
	v_lshrrev_b32_e32 v41, 12, v28
	v_and_or_b32 v38, v41, s33, v38
	v_readlane_b32 s14, v45, 35
	v_cndmask_b32_e64 v39, v22, v23, s[20:21]
	v_cndmask_b32_e64 v40, v24, v25, s[30:31]
	v_add_u32_e32 v38, 0xff00, v38
	v_readlane_b32 s15, v45, 36
	v_or3_b32 v38, v40, v39, v38
	v_cndmask_b32_e64 v39, 1, v21, s[14:15]
	v_readlane_b32 s14, v45, 37
	v_readlane_b32 s15, v45, 38
	v_dot4_i32_i8 v33, v33, v7, 0
	v_cndmask_b32_e64 v40, v22, v23, s[14:15]
	v_readlane_b32 s14, v45, 39
	v_dot4_i32_i8 v33, v34, v8, v33
	v_lshrrev_b32_e32 v28, 16, v28
	v_readlane_b32 s15, v45, 40
	v_dot4_i32_i8 v33, v35, v9, v33
	v_and_or_b32 v28, v28, s33, v39
	v_cndmask_b32_e64 v39, 1, v21, s[14:15]
	v_readlane_b32 s14, v45, 41
	v_lshlrev_b32_e32 v29, 8, v29
	v_dot4_i32_i8 v33, v36, v2, v33
	v_cndmask_b32_e64 v41, v24, v25, s[22:23]
	v_add_u32_e32 v28, 0xff00, v28
	v_readlane_b32 s15, v45, 42
	v_and_or_b32 v29, v29, s33, v39
	v_dot4_i32_i8 v33, v37, v3, v33
	v_or3_b32 v28, v41, v40, v28
	v_cndmask_b32_e64 v40, v22, v23, s[14:15]
	v_cndmask_b32_e64 v41, v24, v25, s[24:25]
	v_add_u32_e32 v29, 0xff00, v29
	v_dot4_i32_i8 v33, v38, v4, v33
	v_or3_b32 v29, v41, v40, v29
	v_dot4_i32_i8 v28, v28, v5, v33
	v_dot4_i32_i8 v28, v29, v26, v28
	v_cndmask_b32_e64 v29, 1, v21, s[58:59]
	v_lshlrev_b32_e32 v35, 8, v31
	v_and_or_b32 v29, v35, s33, v29
	v_cndmask_b32_e64 v33, v22, v23, s[60:61]
	v_cndmask_b32_e64 v34, v24, v25, s[62:63]
	v_add_u32_e32 v29, 0xff00, v29
	v_or3_b32 v29, v34, v33, v29
	v_cndmask_b32_e64 v33, 1, v21, s[64:65]
	v_lshlrev_b32_e32 v36, 4, v31
	v_and_or_b32 v33, v36, s33, v33
	v_cndmask_b32_e64 v34, v22, v23, s[66:67]
	v_cndmask_b32_e64 v35, v24, v25, s[68:69]
	v_add_u32_e32 v33, 0xff00, v33
	v_or3_b32 v33, v35, v34, v33
	v_cndmask_b32_e64 v34, 1, v21, s[70:71]
	v_and_or_b32 v34, v31, s33, v34
	v_cndmask_b32_e64 v35, v22, v23, s[72:73]
	v_cndmask_b32_e64 v36, v24, v25, s[74:75]
	v_add_u32_e32 v34, 0xff00, v34
	v_or3_b32 v34, v36, v35, v34
	v_cndmask_b32_e64 v35, 1, v21, s[76:77]
	v_lshrrev_b32_e32 v38, 4, v31
	v_and_or_b32 v35, v38, s33, v35
	v_cndmask_b32_e64 v36, v22, v23, s[78:79]
	v_cndmask_b32_e64 v37, v24, v25, s[80:81]
	v_add_u32_e32 v35, 0xff00, v35
	v_or3_b32 v35, v37, v36, v35
	v_cndmask_b32_e64 v36, 1, v21, s[82:83]
	v_lshrrev_b32_e32 v39, 8, v31
	;; [unrolled: 7-line block ×3, first 2 shown]
	v_and_or_b32 v37, v40, s33, v37
	v_dot4_i32_i8 v7, v29, v7, 0
	v_cndmask_b32_e64 v38, v22, v23, s[90:91]
	v_cndmask_b32_e64 v39, v24, v25, s[92:93]
	v_add_u32_e32 v37, 0xff00, v37
	v_dot4_i32_i8 v7, v33, v8, v7
	v_or3_b32 v37, v39, v38, v37
	v_cndmask_b32_e64 v38, 1, v21, s[94:95]
	v_lshrrev_b32_e32 v31, 16, v31
	v_dot4_i32_i8 v7, v34, v9, v7
	v_and_or_b32 v31, v31, s33, v38
	v_cndmask_b32_e64 v38, 1, v21, s[6:7]
	v_lshlrev_b32_e32 v32, 8, v32
	v_dot4_i32_i8 v2, v35, v2, v7
	v_cndmask_b32_e64 v39, v22, v23, s[2:3]
	v_cndmask_b32_e64 v40, v24, v25, s[0:1]
	v_add_u32_e32 v31, 0xff00, v31
	v_and_or_b32 v32, v32, s33, v38
	v_dot4_i32_i8 v2, v36, v3, v2
	v_or3_b32 v31, v40, v39, v31
	v_cndmask_b32_e64 v39, v22, v23, s[4:5]
	v_cndmask_b32_e64 v40, v24, v25, s[10:11]
	v_add_u32_e32 v32, 0xff00, v32
	v_dot4_i32_i8 v2, v37, v4, v2
	v_or3_b32 v32, v40, v39, v32
	v_dot4_i32_i8 v2, v31, v5, v2
	v_cvt_f32_f16_e32 v27, v27
	v_dot4_i32_i8 v2, v32, v26, v2
	v_cvt_f32_f16_e32 v3, v30
	v_cvt_f32_i32_e32 v28, v28
	v_cvt_f32_i32_e32 v2, v2
	v_add_u32_e32 v19, 32, v19
	v_readlane_b32 s0, v45, 6
	v_mul_f32_e32 v4, v27, v6
	v_mul_f32_e32 v3, v3, v6
	v_add_co_u32_e32 v13, vcc, 0x1200, v13
	v_cmp_le_u32_e64 s[0:1], s0, v19
	v_fmac_f32_e32 v18, v4, v28
	v_fmac_f32_e32 v12, v3, v2
	s_or_b64 s[8:9], s[0:1], s[8:9]
	v_addc_co_u32_e32 v14, vcc, 0, v14, vcc
	s_mov_b64 s[60:61], s[12:13]
	s_andn2_b64 exec, exec, s[8:9]
	s_cbranch_execz .LBB1_22
.LBB1_18:                               ; =>This Inner Loop Header: Depth=1
	v_readlane_b32 s0, v45, 29
	v_add_u32_e32 v29, s0, v19
	v_mad_i64_i32 v[30:31], s[0:1], v29, 18, s[60:61]
	global_load_dwordx4 v[6:9], v[13:14], off offset:-32
	global_load_dwordx4 v[2:5], v[13:14], off offset:-16
	global_load_dword v26, v[13:14], off
	v_readlane_b32 s0, v45, 7
	global_load_ushort v27, v[30:31], off
	v_add_co_u32_e32 v30, vcc, v30, v20
	v_addc_co_u32_e32 v31, vcc, 0, v31, vcc
	global_load_dword v28, v[30:31], off offset:2
	v_readlane_b32 s1, v45, 8
	s_and_b64 vcc, exec, s[0:1]
	s_waitcnt vmcnt(4)
	v_cvt_f32_f16_e32 v6, v6
	s_cbranch_vccnz .LBB1_20
; %bb.19:                               ;   in Loop: Header=BB1_18 Depth=1
	v_readlane_b32 s0, v45, 0
	v_readlane_b32 s1, v45, 1
	v_mad_i64_i32 v[29:30], s[0:1], v29, 18, s[0:1]
	v_readlane_b32 s2, v45, 2
	v_readlane_b32 s3, v45, 3
	v_add_co_u32_e32 v31, vcc, v29, v20
	v_addc_co_u32_e32 v32, vcc, 0, v30, vcc
	global_load_dword v33, v[31:32], off offset:2
	global_load_ushort v34, v[29:30], off
	s_waitcnt vmcnt(1)
	v_and_b32_e32 v29, 1, v33
	v_and_b32_e32 v36, 64, v33
	v_cmp_eq_u32_e64 s[2:3], 0, v29
	v_and_b32_e32 v29, 0x400, v33
	v_and_b32_e32 v31, 8, v33
	;; [unrolled: 1-line block ×3, first 2 shown]
	v_cmp_eq_u32_e64 s[12:13], 0, v36
	v_and_b32_e32 v36, 0x8000, v33
	v_cmp_eq_u32_e64 s[18:19], 0, v29
	v_and_b32_e32 v29, 0x40000, v33
	;; [unrolled: 2-line block ×6, first 2 shown]
	v_and_b32_e32 v30, 4, v33
	v_lshlrev_b32_e32 v32, 8, v33
	v_cmp_eq_u32_e64 s[22:23], 0, v31
	v_and_b32_e32 v31, 0x80000, v33
	v_cmp_eq_u32_e64 s[24:25], 0, v35
	v_and_b32_e32 v35, 0x100000, v33
	;; [unrolled: 2-line block ×3, first 2 shown]
	v_cmp_eq_u32_e64 s[40:41], 0, v29
	v_cndmask_b32_e64 v29, 1, v21, s[2:3]
	v_and_b32_e32 v37, 0x80, v33
	v_lshlrev_b32_e32 v38, 4, v33
	v_and_b32_e32 v39, 0x100, v33
	v_cmp_eq_u32_e64 s[4:5], 0, v30
	v_cmp_eq_u32_e64 s[34:35], 0, v31
	v_and_b32_e32 v31, 0x4000000, v33
	v_cmp_eq_u32_e64 s[38:39], 0, v35
	v_and_b32_e32 v35, 0x1000000, v33
	v_cmp_eq_u32_e32 vcc, 0, v36
	v_cndmask_b32_e64 v36, 1, v21, s[10:11]
	v_and_or_b32 v29, v32, s33, v29
	v_cmp_eq_u32_e64 s[14:15], 0, v37
	v_cmp_eq_u32_e64 s[16:17], 0, v39
	;; [unrolled: 1-line block ×4, first 2 shown]
	v_cndmask_b32_e64 v31, v22, v23, s[4:5]
	v_cndmask_b32_e64 v35, v24, v25, s[6:7]
	v_add_u32_e32 v29, 0xff00, v29
	v_and_or_b32 v36, v38, s33, v36
	v_and_b32_e32 v30, 0x800, v33
	v_and_b32_e32 v39, 0x10000, v33
	v_cndmask_b32_e64 v32, v22, v23, s[12:13]
	v_or3_b32 v29, v35, v31, v29
	v_cndmask_b32_e64 v31, v24, v25, s[14:15]
	v_cndmask_b32_e64 v35, 1, v21, s[16:17]
	v_add_u32_e32 v36, 0xff00, v36
	v_lshrrev_b32_e32 v37, 4, v33
	v_cmp_eq_u32_e64 s[20:21], 0, v30
	v_cmp_eq_u32_e64 s[28:29], 0, v39
	v_or3_b32 v31, v31, v32, v36
	v_cndmask_b32_e64 v36, 1, v21, s[22:23]
	v_and_or_b32 v35, v33, s33, v35
	v_lshrrev_b32_e32 v30, 8, v33
	v_cndmask_b32_e64 v38, v22, v23, s[18:19]
	v_cndmask_b32_e64 v32, v24, v25, s[20:21]
	v_add_u32_e32 v35, 0xff00, v35
	v_and_or_b32 v36, v37, s33, v36
	v_cndmask_b32_e64 v37, 1, v21, s[28:29]
	v_lshrrev_b32_e32 v39, 12, v33
	v_or3_b32 v32, v32, v38, v35
	v_cndmask_b32_e64 v35, v22, v23, s[24:25]
	v_cndmask_b32_e64 v38, v24, v25, s[26:27]
	v_add_u32_e32 v36, 0xff00, v36
	v_and_or_b32 v30, v30, s33, v37
	v_cndmask_b32_e64 v37, 1, v21, s[38:39]
	v_or3_b32 v35, v38, v35, v36
	v_cndmask_b32_e64 v36, v22, v23, s[30:31]
	v_cndmask_b32_e64 v38, v24, v25, s[34:35]
	v_add_u32_e32 v30, 0xff00, v30
	v_and_or_b32 v37, v39, s33, v37
	v_or3_b32 v30, v38, v36, v30
	v_cndmask_b32_e64 v36, v22, v23, s[40:41]
	v_cndmask_b32_e64 v38, v24, v25, s[36:37]
	v_add_u32_e32 v37, 0xff00, v37
	v_cndmask_b32_e64 v39, 1, v21, s[42:43]
	v_or3_b32 v36, v38, v36, v37
	v_lshrrev_b32_e32 v37, 16, v33
	v_and_or_b32 v37, v37, s33, v39
	v_add_u32_e32 v37, 0xff00, v37
	v_cndmask_b32_e64 v38, v22, v23, s[0:1]
	v_cndmask_b32_e32 v39, v24, v25, vcc
	v_or3_b32 v37, v39, v38, v37
	v_and_b32_e32 v38, 0x10000000, v33
	v_dot4_i32_i8 v29, v29, v7, 0
	v_cmp_eq_u32_e32 vcc, 0, v38
	v_and_b32_e32 v38, 2.0, v33
	v_ashrrev_i32_e32 v33, 28, v33
	v_dot4_i32_i8 v29, v31, v8, v29
	v_cmp_eq_u32_e64 s[0:1], 0, v38
	v_and_b32_e32 v38, 8, v33
	v_dot4_i32_i8 v29, v32, v9, v29
	v_cmp_eq_u32_e64 s[2:3], 0, v38
	v_lshlrev_b32_e32 v33, 8, v33
	v_cndmask_b32_e32 v38, 1, v21, vcc
	v_dot4_i32_i8 v29, v35, v2, v29
	v_and_or_b32 v33, v33, s33, v38
	v_dot4_i32_i8 v29, v30, v3, v29
	v_add_u32_e32 v33, 0xff00, v33
	v_cndmask_b32_e64 v38, v22, v23, s[0:1]
	v_cndmask_b32_e64 v39, v24, v25, s[2:3]
	v_dot4_i32_i8 v29, v36, v4, v29
	v_or3_b32 v33, v39, v38, v33
	v_dot4_i32_i8 v29, v37, v5, v29
	v_dot4_i32_i8 v29, v33, v26, v29
	s_waitcnt vmcnt(0)
	v_cvt_f32_f16_e32 v30, v34
	v_cvt_f32_i32_e32 v29, v29
	v_mul_f32_e32 v30, v6, v30
	v_fma_f32 v10, v30, v29, v10
.LBB1_20:                               ;   in Loop: Header=BB1_18 Depth=1
	s_waitcnt vmcnt(0)
	v_and_b32_e32 v29, 1, v28
	v_cmp_eq_u32_e64 s[50:51], 0, v29
	v_and_b32_e32 v29, 4, v28
	v_cmp_eq_u32_e64 s[54:55], 0, v29
	;; [unrolled: 2-line block ×17, first 2 shown]
	v_and_b32_e32 v29, 0x800000, v28
	v_writelane_b32 v45, s0, 33
	v_cmp_eq_u32_e64 s[30:31], 0, v29
	v_and_b32_e32 v29, 0x1000000, v28
	v_writelane_b32 v45, s1, 34
	v_cmp_eq_u32_e64 s[0:1], 0, v29
	v_writelane_b32 v45, s0, 35
	v_and_b32_e32 v29, 0x4000000, v28
	v_writelane_b32 v45, s1, 36
	v_cmp_eq_u32_e64 s[0:1], 0, v29
	v_writelane_b32 v45, s0, 37
	;; [unrolled: 4-line block ×3, first 2 shown]
	v_and_b32_e32 v30, 2.0, v28
	v_writelane_b32 v45, s1, 40
	v_cmp_eq_u32_e64 s[0:1], 0, v30
	v_writelane_b32 v45, s0, 41
	v_writelane_b32 v45, s1, 42
	v_readlane_b32 s0, v45, 32
	v_add_u32_e32 v33, s0, v19
	v_mad_i64_i32 v[31:32], s[0:1], v33, 18, s[60:61]
	v_and_b32_e32 v29, 0x8000000, v28
	v_cmp_eq_u32_e64 s[22:23], 0, v29
	v_ashrrev_i32_e32 v29, 28, v28
	v_and_b32_e32 v30, 8, v29
	v_cmp_eq_u32_e64 s[24:25], 0, v30
	global_load_ushort v30, v[31:32], off
	v_add_co_u32_e32 v31, vcc, v31, v20
	v_addc_co_u32_e32 v32, vcc, 0, v32, vcc
	global_load_dword v31, v[31:32], off offset:2
	s_mov_b64 s[12:13], s[60:61]
	v_readlane_b32 vcc_lo, v45, 7
	v_readlane_b32 vcc_hi, v45, 8
	s_and_b64 vcc, exec, vcc
	s_waitcnt vmcnt(0)
	v_and_b32_e32 v32, 1, v31
	v_cmp_eq_u32_e64 s[58:59], 0, v32
	v_and_b32_e32 v32, 4, v31
	v_cmp_eq_u32_e64 s[60:61], 0, v32
	;; [unrolled: 2-line block ×20, first 2 shown]
	v_and_b32_e32 v32, 0x8000000, v31
	v_and_b32_e32 v34, 0x10000000, v31
	v_cmp_eq_u32_e64 s[0:1], 0, v32
	v_ashrrev_i32_e32 v32, 28, v31
	v_cmp_eq_u32_e64 s[6:7], 0, v34
	v_and_b32_e32 v34, 2.0, v31
	v_cmp_eq_u32_e64 s[4:5], 0, v34
	v_and_b32_e32 v34, 8, v32
	v_cmp_eq_u32_e64 s[10:11], 0, v34
	s_cbranch_vccnz .LBB1_17
; %bb.21:                               ;   in Loop: Header=BB1_18 Depth=1
	v_readlane_b32 s16, v45, 0
	v_readlane_b32 s17, v45, 1
	v_mad_i64_i32 v[33:34], vcc, v33, 18, s[16:17]
	v_readlane_b32 s18, v45, 2
	v_readlane_b32 s19, v45, 3
	global_load_ushort v35, v[33:34], off
	v_add_co_u32_e32 v33, vcc, v33, v20
	v_addc_co_u32_e32 v34, vcc, 0, v34, vcc
	global_load_dword v33, v[33:34], off offset:2
	s_waitcnt vmcnt(0)
	v_and_b32_e32 v34, 1, v33
	v_cmp_eq_u32_e32 vcc, 0, v34
	v_and_b32_e32 v36, 4, v33
	v_cndmask_b32_e32 v34, 1, v21, vcc
	v_cmp_eq_u32_e32 vcc, 0, v36
	v_and_b32_e32 v37, 8, v33
	v_lshlrev_b32_e32 v38, 8, v33
	v_cndmask_b32_e32 v36, v22, v23, vcc
	v_cmp_eq_u32_e32 vcc, 0, v37
	v_and_or_b32 v34, v38, s33, v34
	v_cndmask_b32_e32 v37, v24, v25, vcc
	v_add_u32_e32 v34, 0xff00, v34
	v_or3_b32 v34, v37, v36, v34
	v_and_b32_e32 v36, 16, v33
	v_cmp_eq_u32_e32 vcc, 0, v36
	v_and_b32_e32 v37, 64, v33
	v_cndmask_b32_e32 v36, 1, v21, vcc
	v_cmp_eq_u32_e32 vcc, 0, v37
	v_and_b32_e32 v38, 0x80, v33
	v_lshlrev_b32_e32 v39, 4, v33
	v_cndmask_b32_e32 v37, v22, v23, vcc
	v_cmp_eq_u32_e32 vcc, 0, v38
	v_and_or_b32 v36, v39, s33, v36
	v_cndmask_b32_e32 v38, v24, v25, vcc
	v_add_u32_e32 v36, 0xff00, v36
	v_or3_b32 v36, v38, v37, v36
	v_and_b32_e32 v37, 0x100, v33
	v_cmp_eq_u32_e32 vcc, 0, v37
	v_and_b32_e32 v38, 0x400, v33
	v_cndmask_b32_e32 v37, 1, v21, vcc
	v_cmp_eq_u32_e32 vcc, 0, v38
	v_and_b32_e32 v39, 0x800, v33
	v_cndmask_b32_e32 v38, v22, v23, vcc
	v_cmp_eq_u32_e32 vcc, 0, v39
	v_and_or_b32 v37, v33, s33, v37
	v_cndmask_b32_e32 v39, v24, v25, vcc
	v_add_u32_e32 v37, 0xff00, v37
	v_or3_b32 v37, v39, v38, v37
	v_and_b32_e32 v38, 0x1000, v33
	v_cmp_eq_u32_e32 vcc, 0, v38
	v_and_b32_e32 v39, 0x4000, v33
	v_cndmask_b32_e32 v38, 1, v21, vcc
	v_cmp_eq_u32_e32 vcc, 0, v39
	v_and_b32_e32 v40, 0x8000, v33
	v_lshrrev_b32_e32 v41, 4, v33
	v_cndmask_b32_e32 v39, v22, v23, vcc
	v_cmp_eq_u32_e32 vcc, 0, v40
	v_and_or_b32 v38, v41, s33, v38
	v_cndmask_b32_e32 v40, v24, v25, vcc
	v_add_u32_e32 v38, 0xff00, v38
	v_or3_b32 v38, v40, v39, v38
	v_and_b32_e32 v39, 0x10000, v33
	v_cmp_eq_u32_e32 vcc, 0, v39
	v_and_b32_e32 v40, 0x40000, v33
	v_cndmask_b32_e32 v39, 1, v21, vcc
	v_cmp_eq_u32_e32 vcc, 0, v40
	v_and_b32_e32 v41, 0x80000, v33
	v_lshrrev_b32_e32 v42, 8, v33
	;; [unrolled: 13-line block ×4, first 2 shown]
	v_cndmask_b32_e32 v42, v22, v23, vcc
	v_cmp_eq_u32_e32 vcc, 0, v43
	v_and_or_b32 v41, v44, s33, v41
	v_cndmask_b32_e32 v43, v24, v25, vcc
	v_add_u32_e32 v41, 0xff00, v41
	v_dot4_i32_i8 v34, v34, v7, 0
	v_or3_b32 v41, v43, v42, v41
	v_and_b32_e32 v43, 0x10000000, v33
	v_dot4_i32_i8 v34, v36, v8, v34
	v_ashrrev_i32_e32 v42, 28, v33
	v_cmp_eq_u32_e32 vcc, 0, v43
	v_and_b32_e32 v33, 2.0, v33
	v_dot4_i32_i8 v34, v37, v9, v34
	v_cndmask_b32_e32 v43, 1, v21, vcc
	v_cmp_eq_u32_e32 vcc, 0, v33
	v_and_b32_e32 v44, 8, v42
	v_lshlrev_b32_e32 v42, 8, v42
	v_dot4_i32_i8 v34, v38, v2, v34
	v_cndmask_b32_e32 v33, v22, v23, vcc
	v_cmp_eq_u32_e32 vcc, 0, v44
	v_and_or_b32 v42, v42, s33, v43
	v_dot4_i32_i8 v34, v39, v3, v34
	v_cndmask_b32_e32 v44, v24, v25, vcc
	v_add_u32_e32 v42, 0xff00, v42
	v_dot4_i32_i8 v34, v40, v4, v34
	v_or3_b32 v33, v44, v33, v42
	v_dot4_i32_i8 v34, v41, v5, v34
	v_dot4_i32_i8 v33, v33, v26, v34
	v_cvt_f32_f16_e32 v34, v35
	v_cvt_f32_i32_e32 v33, v33
	v_mul_f32_e32 v34, v6, v34
	v_fma_f32 v11, v34, v33, v11
	s_branch .LBB1_17
.LBB1_22:
	s_or_b64 exec, exec, s[8:9]
	v_readlane_b32 s16, v45, 18
	v_readlane_b32 s24, v45, 25
	;; [unrolled: 1-line block ×20, first 2 shown]
.LBB1_23:
	v_readlane_b32 s0, v45, 9
	v_readlane_b32 s1, v45, 10
	s_or_b64 exec, exec, s[0:1]
	s_load_dword s6, s[16:17], 0x30
	v_cmp_eq_u32_e64 s[0:1], 0, v1
	v_cmp_ne_u32_e32 vcc, 0, v1
	v_lshlrev_b32_e32 v2, 2, v0
	s_and_saveexec_b64 s[2:3], vcc
	s_cbranch_execz .LBB1_28
; %bb.24:
	v_readlane_b32 s8, v45, 4
	v_lshl_or_b32 v1, v1, 9, v2
	v_readlane_b32 s9, v45, 5
	v_add_u32_e32 v3, 0xfffffe00, v1
	s_mov_b64 s[4:5], -1
	s_and_b64 vcc, exec, s[8:9]
	ds_write_b32 v3, v18
	s_cbranch_vccz .LBB1_26
; %bb.25:
	ds_write_b32 v3, v12 offset:256
	s_mov_b64 s[4:5], 0
.LBB1_26:
	s_andn2_b64 vcc, exec, s[4:5]
	s_cbranch_vccnz .LBB1_28
; %bb.27:
	ds_write_b32 v3, v12 offset:256
	ds_write2st64_b32 v1, v10, v11 offset1:1
.LBB1_28:
	s_or_b64 exec, exec, s[2:3]
	s_waitcnt vmcnt(0) lgkmcnt(0)
	s_barrier
	s_and_saveexec_b64 s[2:3], s[0:1]
	s_cbranch_execz .LBB1_61
; %bb.29:
	ds_read_b32 v4, v2
	v_readlane_b32 s0, v45, 7
	v_readlane_b32 s1, v45, 8
	s_and_b64 vcc, exec, s[0:1]
	v_or_b32_e32 v3, 0x200, v2
	s_cbranch_vccnz .LBB1_31
; %bb.30:
	ds_read_b32 v1, v3
	s_waitcnt lgkmcnt(0)
	v_add_f32_e32 v10, v10, v1
.LBB1_31:
	v_mbcnt_lo_u32_b32 v1, -1, 0
	v_mbcnt_hi_u32_b32 v5, -1, v1
	v_and_b32_e32 v1, 64, v5
	v_add_u32_e32 v13, 64, v1
	v_xor_b32_e32 v1, 32, v5
	v_cmp_lt_i32_e32 vcc, v1, v13
	v_cndmask_b32_e32 v1, v5, v1, vcc
	v_lshlrev_b32_e32 v1, 2, v1
	s_waitcnt lgkmcnt(0)
	v_add_f32_e32 v4, v18, v4
	ds_bpermute_b32 v7, v1, v4
	v_xor_b32_e32 v6, 16, v5
	v_cmp_lt_i32_e32 vcc, v6, v13
	v_cndmask_b32_e32 v6, v5, v6, vcc
	v_lshlrev_b32_e32 v6, 2, v6
	s_waitcnt lgkmcnt(0)
	v_add_f32_e32 v4, v4, v7
	ds_bpermute_b32 v8, v6, v4
	;; [unrolled: 7-line block ×6, first 2 shown]
	v_readlane_b32 s0, v45, 7
	v_readlane_b32 s1, v45, 8
	s_and_b64 vcc, exec, s[0:1]
	s_cbranch_vccnz .LBB1_33
; %bb.32:
	ds_bpermute_b32 v14, v1, v10
	s_waitcnt lgkmcnt(0)
	v_add_f32_e32 v10, v10, v14
	ds_bpermute_b32 v14, v6, v10
	s_waitcnt lgkmcnt(0)
	v_add_f32_e32 v10, v10, v14
	;; [unrolled: 3-line block ×6, first 2 shown]
.LBB1_33:
	ds_read_b32 v14, v2 offset:256
	v_readlane_b32 s0, v45, 7
	v_readlane_b32 s1, v45, 8
	s_and_b64 vcc, exec, s[0:1]
	s_cbranch_vccnz .LBB1_35
; %bb.34:
	ds_read_b32 v3, v3 offset:256
	s_waitcnt lgkmcnt(0)
	v_add_f32_e32 v11, v11, v3
.LBB1_35:
	s_waitcnt lgkmcnt(0)
	v_add_f32_e32 v3, v12, v14
	ds_bpermute_b32 v12, v1, v3
	v_readlane_b32 s0, v45, 7
	v_readlane_b32 s1, v45, 8
	s_and_b64 vcc, exec, s[0:1]
	s_waitcnt lgkmcnt(0)
	v_add_f32_e32 v3, v3, v12
	ds_bpermute_b32 v12, v6, v3
	s_waitcnt lgkmcnt(0)
	v_add_f32_e32 v3, v3, v12
	ds_bpermute_b32 v12, v7, v3
	;; [unrolled: 3-line block ×5, first 2 shown]
	s_cbranch_vccnz .LBB1_37
; %bb.36:
	ds_bpermute_b32 v1, v1, v11
	s_waitcnt lgkmcnt(0)
	v_add_f32_e32 v1, v11, v1
	ds_bpermute_b32 v6, v6, v1
	s_waitcnt lgkmcnt(0)
	v_add_f32_e32 v1, v1, v6
	;; [unrolled: 3-line block ×6, first 2 shown]
.LBB1_37:
	v_cmp_gt_u32_e32 vcc, s19, v15
	v_cmp_gt_u32_e64 s[0:1], 2, v0
	s_and_b64 s[0:1], s[0:1], vcc
	s_and_b64 exec, exec, s[0:1]
	s_cbranch_execz .LBB1_61
; %bb.38:
	v_add_f32_e32 v1, v4, v5
	s_waitcnt lgkmcnt(0)
	v_add_f32_e32 v3, v3, v12
	v_cmp_eq_u32_e64 s[0:1], 1, v0
	v_cndmask_b32_e64 v0, v1, v3, s[0:1]
	v_readlane_b32 s2, v45, 7
	v_add_f32_e32 v1, v17, v0
	v_readlane_b32 s3, v45, 8
	s_and_b64 vcc, exec, s[2:3]
	v_cndmask_b32_e64 v0, v1, v0, s[34:35]
	s_cbranch_vccnz .LBB1_60
; %bb.39:
	v_cndmask_b32_e64 v1, v10, v11, s[0:1]
	v_add_f32_e32 v3, v16, v1
	v_cndmask_b32_e64 v1, v1, v3, s[36:37]
	s_cmp_lt_i32 s6, 2
	s_mov_b64 s[0:1], 0
	s_cbranch_scc1 .LBB1_43
; %bb.40:
	s_cmp_gt_i32 s6, 2
	s_cbranch_scc0 .LBB1_44
; %bb.41:
	s_cmp_eq_u32 s6, 3
	s_cbranch_scc0 .LBB1_45
; %bb.42:
	v_max_f32_e32 v3, v1, v1
	v_min_f32_e32 v3, 0x40e00000, v3
	v_mul_f32_e32 v4, 0xbfd9db23, v3
	s_mov_b32 s2, 0x3fb8aa3b
	v_mul_f32_e32 v5, 0x3fb8aa3b, v4
	v_fma_f32 v6, v4, s2, -v5
	v_rndne_f32_e32 v7, v5
	v_fmac_f32_e32 v6, 0x32a5705f, v4
	v_sub_f32_e32 v5, v5, v7
	v_add_f32_e32 v5, v5, v6
	v_exp_f32_e32 v5, v5
	v_cvt_i32_f32_e32 v6, v7
	s_mov_b32 s2, 0xc2ce8ed0
	v_cmp_ngt_f32_e32 vcc, s2, v4
	s_mov_b32 s2, 0x42b17218
	v_ldexp_f32 v5, v5, v6
	v_cndmask_b32_e32 v5, 0, v5, vcc
	v_mov_b32_e32 v6, 0x7f800000
	v_cmp_nlt_f32_e32 vcc, s2, v4
	v_cndmask_b32_e32 v4, v6, v5, vcc
	v_add_f32_e32 v4, 1.0, v4
	v_div_scale_f32 v5, s[2:3], v4, v4, v3
	v_div_scale_f32 v6, vcc, v3, v4, v3
	s_mov_b64 s[2:3], 0
	v_rcp_f32_e32 v7, v5
	v_fma_f32 v8, -v5, v7, 1.0
	v_fmac_f32_e32 v7, v8, v7
	v_mul_f32_e32 v8, v6, v7
	v_fma_f32 v9, -v5, v8, v6
	v_fmac_f32_e32 v8, v9, v7
	v_fma_f32 v5, -v5, v8, v6
	v_div_fmas_f32 v5, v5, v7, v8
	v_max_f32_e32 v6, v0, v0
	v_min_f32_e32 v6, 0x40e00000, v6
	v_max_f32_e32 v6, 0xc0e00000, v6
	v_add_f32_e32 v6, 1.0, v6
	v_div_fixup_f32 v3, v5, v4, v3
	v_mul_f32_e32 v3, v6, v3
	s_branch .LBB1_46
.LBB1_43:
                                        ; implicit-def: $vgpr3
	s_mov_b64 s[2:3], 0
	s_cbranch_execnz .LBB1_50
	s_branch .LBB1_51
.LBB1_44:
	s_mov_b64 s[4:5], -1
	s_mov_b64 s[2:3], 0
                                        ; implicit-def: $vgpr3
	s_branch .LBB1_47
.LBB1_45:
	s_mov_b64 s[2:3], -1
                                        ; implicit-def: $vgpr3
.LBB1_46:
	s_mov_b64 s[4:5], 0
.LBB1_47:
	s_and_b64 vcc, exec, s[4:5]
	s_cbranch_vccz .LBB1_49
; %bb.48:
	v_mul_f32_e32 v3, 0xbfb8aa3b, v1
	s_mov_b32 s4, 0xbfb8aa3b
	v_rndne_f32_e32 v4, v3
	v_sub_f32_e32 v5, v3, v4
	v_fma_f32 v3, v1, s4, -v3
	v_fmac_f32_e32 v3, 0xb2a5705f, v1
	v_add_f32_e32 v3, v5, v3
	v_exp_f32_e32 v3, v3
	v_cvt_i32_f32_e32 v4, v4
	s_mov_b32 s4, 0x42ce8ed0
	v_cmp_nlt_f32_e32 vcc, s4, v1
	s_mov_b32 s4, 0xc2b17218
	v_ldexp_f32 v3, v3, v4
	v_cndmask_b32_e32 v3, 0, v3, vcc
	v_mov_b32_e32 v4, 0x7f800000
	v_cmp_ngt_f32_e32 vcc, s4, v1
	v_cndmask_b32_e32 v3, v4, v3, vcc
	v_add_f32_e32 v3, 1.0, v3
	v_div_scale_f32 v4, s[4:5], v3, v3, v1
	v_div_scale_f32 v5, vcc, v1, v3, v1
	v_rcp_f32_e32 v6, v4
	v_fma_f32 v7, -v4, v6, 1.0
	v_fmac_f32_e32 v6, v7, v6
	v_mul_f32_e32 v7, v5, v6
	v_fma_f32 v8, -v4, v7, v5
	v_fmac_f32_e32 v7, v8, v6
	v_fma_f32 v4, -v4, v7, v5
	v_div_fmas_f32 v4, v4, v6, v7
	v_div_fixup_f32 v3, v4, v3, v1
	v_mul_f32_e32 v3, v0, v3
.LBB1_49:
	s_branch .LBB1_51
.LBB1_50:
	s_cmp_lg_u32 s6, 1
	s_mov_b64 s[0:1], -1
	s_cselect_b64 s[2:3], -1, 0
.LBB1_51:
	s_andn2_b64 vcc, exec, s[2:3]
	s_cbranch_vccz .LBB1_53
; %bb.52:
	s_andn2_b64 vcc, exec, s[0:1]
	s_cbranch_vccz .LBB1_54
	s_branch .LBB1_59
.LBB1_53:
	v_mul_f32_e32 v3, v1, v0
	s_cbranch_execnz .LBB1_59
.LBB1_54:
	v_mul_f32_e32 v4, 0x3d372713, v1
	v_mul_f32_e32 v3, 0x3f4c422a, v1
	v_fma_f32 v4, v1, v4, 1.0
	v_mul_f32_e32 v3, v3, v4
	s_mov_b32 s0, 0x3f200000
	v_cmp_nlt_f32_e64 s[0:1], |v3|, s0
                                        ; implicit-def: $vgpr4
	s_and_saveexec_b64 s[2:3], s[0:1]
	s_xor_b64 s[0:1], exec, s[2:3]
	s_cbranch_execz .LBB1_56
; %bb.55:
	v_add_f32_e64 v4, |v3|, |v3|
	v_mul_f32_e32 v5, 0x3fb8aa3b, v4
	s_mov_b32 s2, 0x3fb8aa3b
	v_rndne_f32_e32 v6, v5
	v_sub_f32_e32 v7, v5, v6
	v_fma_f32 v5, v4, s2, -v5
	v_fmac_f32_e32 v5, 0x32a5705f, v4
	v_add_f32_e32 v5, v7, v5
	v_exp_f32_e32 v5, v5
	v_cvt_i32_f32_e32 v6, v6
	s_mov_b32 s2, 0xc2ce8ed0
	v_cmp_ngt_f32_e32 vcc, s2, v4
	s_mov_b32 s2, 0x42b17218
	v_ldexp_f32 v5, v5, v6
	v_cndmask_b32_e32 v5, 0, v5, vcc
	v_mov_b32_e32 v6, 0x7f800000
	v_cmp_nlt_f32_e32 vcc, s2, v4
	v_cndmask_b32_e32 v4, v6, v5, vcc
	v_add_f32_e32 v4, 1.0, v4
	v_rcp_f32_e32 v4, v4
	v_fma_f32 v4, v4, -2.0, 1.0
.LBB1_56:
	s_andn2_saveexec_b64 s[0:1], s[0:1]
	s_cbranch_execz .LBB1_58
; %bb.57:
	v_mul_f32_e32 v4, v3, v3
	v_mov_b32_e32 v5, 0x3ca908c9
	v_fmac_f32_e32 v5, 0xbbbac73d, v4
	v_mov_b32_e32 v6, 0xbd5c1c4e
	v_fmac_f32_e32 v6, v4, v5
	;; [unrolled: 2-line block ×4, first 2 shown]
	v_mul_f32_e64 v5, |v3|, v6
	v_fma_f32 v4, v4, v5, |v3|
.LBB1_58:
	s_or_b64 exec, exec, s[0:1]
	s_brev_b32 s0, -2
	v_bfi_b32 v3, s0, v4, v3
	v_mul_f32_e32 v1, 0.5, v1
	v_add_f32_e32 v3, 1.0, v3
	v_mul_f32_e32 v1, v1, v3
	v_mul_f32_e32 v3, v0, v1
.LBB1_59:
	v_mov_b32_e32 v0, v3
.LBB1_60:
	s_load_dwordx2 s[0:1], s[16:17], 0x38
	s_mul_i32 s3, s26, s20
	s_mul_i32 s2, s30, s18
	s_add_i32 s3, s3, s22
	s_add_i32 s2, s3, s2
	s_mov_b32 s3, 0
	s_lshl_b64 s[2:3], s[2:3], 2
	s_waitcnt lgkmcnt(0)
	s_add_u32 s0, s0, s2
	s_addc_u32 s1, s1, s3
	global_store_dword v2, v0, s[0:1]
.LBB1_61:
	s_endpgm
	.section	.rodata,"a",@progbits
	.p2align	6, 0x0
	.amdhsa_kernel _ZL13mul_mat_vec_qIL9ggml_type41ELi1ELb1ELb1EEvPKvS2_PKi31ggml_cuda_mm_fusion_args_devicePfj15HIP_vector_typeIjLj3EEjjjS8_jjjS8_jjjj
		.amdhsa_group_segment_fixed_size 1024
		.amdhsa_private_segment_fixed_size 0
		.amdhsa_kernarg_size 144
		.amdhsa_user_sgpr_count 6
		.amdhsa_user_sgpr_private_segment_buffer 1
		.amdhsa_user_sgpr_dispatch_ptr 0
		.amdhsa_user_sgpr_queue_ptr 0
		.amdhsa_user_sgpr_kernarg_segment_ptr 1
		.amdhsa_user_sgpr_dispatch_id 0
		.amdhsa_user_sgpr_flat_scratch_init 0
		.amdhsa_user_sgpr_private_segment_size 0
		.amdhsa_uses_dynamic_stack 0
		.amdhsa_system_sgpr_private_segment_wavefront_offset 0
		.amdhsa_system_sgpr_workgroup_id_x 1
		.amdhsa_system_sgpr_workgroup_id_y 1
		.amdhsa_system_sgpr_workgroup_id_z 1
		.amdhsa_system_sgpr_workgroup_info 0
		.amdhsa_system_vgpr_workitem_id 1
		.amdhsa_next_free_vgpr 46
		.amdhsa_next_free_sgpr 96
		.amdhsa_reserve_vcc 1
		.amdhsa_reserve_flat_scratch 0
		.amdhsa_float_round_mode_32 0
		.amdhsa_float_round_mode_16_64 0
		.amdhsa_float_denorm_mode_32 3
		.amdhsa_float_denorm_mode_16_64 3
		.amdhsa_dx10_clamp 1
		.amdhsa_ieee_mode 1
		.amdhsa_fp16_overflow 0
		.amdhsa_exception_fp_ieee_invalid_op 0
		.amdhsa_exception_fp_denorm_src 0
		.amdhsa_exception_fp_ieee_div_zero 0
		.amdhsa_exception_fp_ieee_overflow 0
		.amdhsa_exception_fp_ieee_underflow 0
		.amdhsa_exception_fp_ieee_inexact 0
		.amdhsa_exception_int_div_zero 0
	.end_amdhsa_kernel
	.section	.text._ZL13mul_mat_vec_qIL9ggml_type41ELi1ELb1ELb1EEvPKvS2_PKi31ggml_cuda_mm_fusion_args_devicePfj15HIP_vector_typeIjLj3EEjjjS8_jjjS8_jjjj,"axG",@progbits,_ZL13mul_mat_vec_qIL9ggml_type41ELi1ELb1ELb1EEvPKvS2_PKi31ggml_cuda_mm_fusion_args_devicePfj15HIP_vector_typeIjLj3EEjjjS8_jjjS8_jjjj,comdat
.Lfunc_end1:
	.size	_ZL13mul_mat_vec_qIL9ggml_type41ELi1ELb1ELb1EEvPKvS2_PKi31ggml_cuda_mm_fusion_args_devicePfj15HIP_vector_typeIjLj3EEjjjS8_jjjS8_jjjj, .Lfunc_end1-_ZL13mul_mat_vec_qIL9ggml_type41ELi1ELb1ELb1EEvPKvS2_PKi31ggml_cuda_mm_fusion_args_devicePfj15HIP_vector_typeIjLj3EEjjjS8_jjjS8_jjjj
                                        ; -- End function
	.set _ZL13mul_mat_vec_qIL9ggml_type41ELi1ELb1ELb1EEvPKvS2_PKi31ggml_cuda_mm_fusion_args_devicePfj15HIP_vector_typeIjLj3EEjjjS8_jjjS8_jjjj.num_vgpr, 46
	.set _ZL13mul_mat_vec_qIL9ggml_type41ELi1ELb1ELb1EEvPKvS2_PKi31ggml_cuda_mm_fusion_args_devicePfj15HIP_vector_typeIjLj3EEjjjS8_jjjS8_jjjj.num_agpr, 0
	.set _ZL13mul_mat_vec_qIL9ggml_type41ELi1ELb1ELb1EEvPKvS2_PKi31ggml_cuda_mm_fusion_args_devicePfj15HIP_vector_typeIjLj3EEjjjS8_jjjS8_jjjj.numbered_sgpr, 96
	.set _ZL13mul_mat_vec_qIL9ggml_type41ELi1ELb1ELb1EEvPKvS2_PKi31ggml_cuda_mm_fusion_args_devicePfj15HIP_vector_typeIjLj3EEjjjS8_jjjS8_jjjj.num_named_barrier, 0
	.set _ZL13mul_mat_vec_qIL9ggml_type41ELi1ELb1ELb1EEvPKvS2_PKi31ggml_cuda_mm_fusion_args_devicePfj15HIP_vector_typeIjLj3EEjjjS8_jjjS8_jjjj.private_seg_size, 0
	.set _ZL13mul_mat_vec_qIL9ggml_type41ELi1ELb1ELb1EEvPKvS2_PKi31ggml_cuda_mm_fusion_args_devicePfj15HIP_vector_typeIjLj3EEjjjS8_jjjS8_jjjj.uses_vcc, 1
	.set _ZL13mul_mat_vec_qIL9ggml_type41ELi1ELb1ELb1EEvPKvS2_PKi31ggml_cuda_mm_fusion_args_devicePfj15HIP_vector_typeIjLj3EEjjjS8_jjjS8_jjjj.uses_flat_scratch, 0
	.set _ZL13mul_mat_vec_qIL9ggml_type41ELi1ELb1ELb1EEvPKvS2_PKi31ggml_cuda_mm_fusion_args_devicePfj15HIP_vector_typeIjLj3EEjjjS8_jjjS8_jjjj.has_dyn_sized_stack, 0
	.set _ZL13mul_mat_vec_qIL9ggml_type41ELi1ELb1ELb1EEvPKvS2_PKi31ggml_cuda_mm_fusion_args_devicePfj15HIP_vector_typeIjLj3EEjjjS8_jjjS8_jjjj.has_recursion, 0
	.set _ZL13mul_mat_vec_qIL9ggml_type41ELi1ELb1ELb1EEvPKvS2_PKi31ggml_cuda_mm_fusion_args_devicePfj15HIP_vector_typeIjLj3EEjjjS8_jjjS8_jjjj.has_indirect_call, 0
	.section	.AMDGPU.csdata,"",@progbits
; Kernel info:
; codeLenInByte = 6776
; TotalNumSgprs: 100
; NumVgprs: 46
; ScratchSize: 0
; MemoryBound: 0
; FloatMode: 240
; IeeeMode: 1
; LDSByteSize: 1024 bytes/workgroup (compile time only)
; SGPRBlocks: 12
; VGPRBlocks: 11
; NumSGPRsForWavesPerEU: 100
; NumVGPRsForWavesPerEU: 46
; Occupancy: 5
; WaveLimiterHint : 0
; COMPUTE_PGM_RSRC2:SCRATCH_EN: 0
; COMPUTE_PGM_RSRC2:USER_SGPR: 6
; COMPUTE_PGM_RSRC2:TRAP_HANDLER: 0
; COMPUTE_PGM_RSRC2:TGID_X_EN: 1
; COMPUTE_PGM_RSRC2:TGID_Y_EN: 1
; COMPUTE_PGM_RSRC2:TGID_Z_EN: 1
; COMPUTE_PGM_RSRC2:TIDIG_COMP_CNT: 1
	.section	.text._ZL13mul_mat_vec_qIL9ggml_type41ELi1ELb0ELb1EEvPKvS2_PKi31ggml_cuda_mm_fusion_args_devicePfj15HIP_vector_typeIjLj3EEjjjS8_jjjS8_jjjj,"axG",@progbits,_ZL13mul_mat_vec_qIL9ggml_type41ELi1ELb0ELb1EEvPKvS2_PKi31ggml_cuda_mm_fusion_args_devicePfj15HIP_vector_typeIjLj3EEjjjS8_jjjS8_jjjj,comdat
	.globl	_ZL13mul_mat_vec_qIL9ggml_type41ELi1ELb0ELb1EEvPKvS2_PKi31ggml_cuda_mm_fusion_args_devicePfj15HIP_vector_typeIjLj3EEjjjS8_jjjS8_jjjj ; -- Begin function _ZL13mul_mat_vec_qIL9ggml_type41ELi1ELb0ELb1EEvPKvS2_PKi31ggml_cuda_mm_fusion_args_devicePfj15HIP_vector_typeIjLj3EEjjjS8_jjjS8_jjjj
	.p2align	8
	.type	_ZL13mul_mat_vec_qIL9ggml_type41ELi1ELb0ELb1EEvPKvS2_PKi31ggml_cuda_mm_fusion_args_devicePfj15HIP_vector_typeIjLj3EEjjjS8_jjjS8_jjjj,@function
_ZL13mul_mat_vec_qIL9ggml_type41ELi1ELb0ELb1EEvPKvS2_PKi31ggml_cuda_mm_fusion_args_devicePfj15HIP_vector_typeIjLj3EEjjjS8_jjjS8_jjjj: ; @_ZL13mul_mat_vec_qIL9ggml_type41ELi1ELb0ELb1EEvPKvS2_PKi31ggml_cuda_mm_fusion_args_devicePfj15HIP_vector_typeIjLj3EEjjjS8_jjjS8_jjjj
; %bb.0:
	s_load_dwordx2 s[0:1], s[4:5], 0x10
	s_load_dwordx4 s[16:19], s[4:5], 0x40
	s_mov_b32 s10, s7
	s_mov_b64 s[14:15], 0
	s_waitcnt lgkmcnt(0)
	s_cmp_lg_u64 s[0:1], 0
	s_cselect_b64 s[12:13], -1, 0
	s_cmp_eq_u64 s[0:1], 0
	s_cbranch_scc1 .LBB2_5
; %bb.1:
	s_mov_b32 s11, 0
	s_lshl_b64 s[2:3], s[10:11], 2
	s_add_u32 s0, s0, s2
	s_addc_u32 s1, s1, s3
	s_load_dword s21, s[0:1], 0x0
	s_nop 0
	s_load_dwordx4 s[0:3], s[4:5], 0x68
	s_load_dword s20, s[4:5], 0x50
	s_andn2_b64 vcc, exec, s[14:15]
	s_cbranch_vccnz .LBB2_3
.LBB2_2:
	s_load_dwordx2 s[14:15], s[4:5], 0x5c
	s_waitcnt lgkmcnt(0)
	s_mul_hi_u32 s7, s14, s10
	s_add_i32 s7, s10, s7
	s_lshr_b32 s21, s7, s15
.LBB2_3:
	s_load_dword s22, s[4:5], 0x78
	s_andn2_b64 vcc, exec, s[12:13]
	s_cbranch_vccnz .LBB2_6
; %bb.4:
	s_mul_hi_u32 s7, s17, s10
	s_add_i32 s7, s10, s7
	s_lshr_b32 s7, s7, s18
	s_mul_i32 s7, s7, s19
	s_sub_i32 s23, s10, s7
	s_branch .LBB2_7
.LBB2_5:
                                        ; implicit-def: $sgpr21
	s_load_dwordx4 s[0:3], s[4:5], 0x68
	s_load_dword s20, s[4:5], 0x50
	s_branch .LBB2_2
.LBB2_6:
	s_mov_b32 s23, s10
.LBB2_7:
	s_load_dwordx4 s[12:15], s[4:5], 0x80
	v_lshl_add_u32 v2, v1, 6, v0
	s_lshr_b32 s11, s16, 7
	v_lshrrev_b32_e32 v14, 2, v2
	s_lshl_b32 s9, s6, 1
	v_cmp_gt_u32_e32 vcc, s11, v14
	v_mov_b32_e32 v13, 0
	v_mov_b32_e32 v12, 0
	s_and_saveexec_b64 s[6:7], vcc
	s_cbranch_execz .LBB2_11
; %bb.8:
	s_waitcnt lgkmcnt(0)
	s_mul_hi_u32 s3, s3, s8
	s_add_i32 s3, s8, s3
	s_lshr_b32 s3, s3, s22
	s_mul_i32 s0, s21, s0
	s_mul_i32 s3, s3, s12
	;; [unrolled: 1-line block ×3, first 2 shown]
	s_add_i32 s15, s0, s3
	s_mul_hi_u32 s0, s1, 36
	s_mul_i32 s1, s1, 36
	v_lshrrev_b32_e32 v5, 2, v2
	v_mov_b32_e32 v2, s1
	v_mov_b32_e32 v3, s0
	s_movk_i32 s0, 0x90
	v_mad_u64_u32 v[2:3], s[0:1], v5, s0, v[2:3]
	s_mul_i32 s12, s13, s8
	s_mul_i32 s0, s9, s20
	s_add_i32 s3, s15, s0
	v_mad_u64_u32 v[2:3], s[0:1], s12, 36, v[2:3]
	s_load_dwordx4 s[16:19], s[4:5], 0x0
	v_and_b32_e32 v4, 3, v0
	s_add_i32 s0, s9, 1
	s_mul_i32 s20, s20, s0
	v_mad_u64_u32 v[2:3], s[0:1], v4, 36, v[2:3]
	v_lshlrev_b32_e32 v15, 2, v4
	s_waitcnt lgkmcnt(0)
	v_mov_b32_e32 v4, s19
	v_add_co_u32_e32 v2, vcc, s18, v2
	v_addc_co_u32_e32 v3, vcc, v4, v3, vcc
	v_add_co_u32_e32 v10, vcc, 32, v2
	v_mov_b32_e32 v12, 0
	s_add_i32 s15, s15, s20
	v_addc_co_u32_e32 v11, vcc, 0, v3, vcc
	s_mov_b64 s[12:13], 0
	v_mov_b32_e32 v16, 0xff
	v_mov_b32_e32 v17, 0x10000
	;; [unrolled: 1-line block ×5, first 2 shown]
	s_movk_i32 s18, 0x200
	v_mov_b32_e32 v13, 0
.LBB2_9:                                ; =>This Inner Loop Header: Depth=1
	v_add_u32_e32 v21, s3, v14
	v_mad_i64_i32 v[23:24], s[0:1], v21, 18, s[16:17]
	v_add_u32_e32 v22, s15, v14
	v_mad_i64_i32 v[25:26], s[0:1], v22, 18, s[16:17]
	v_add_co_u32_e32 v27, vcc, v23, v15
	v_addc_co_u32_e32 v28, vcc, 0, v24, vcc
	v_add_co_u32_e32 v29, vcc, v25, v15
	global_load_dwordx4 v[2:5], v[10:11], off offset:-16
	global_load_dwordx4 v[6:9], v[10:11], off offset:-32
	v_addc_co_u32_e32 v30, vcc, 0, v26, vcc
	global_load_ushort v21, v[23:24], off
	global_load_dword v31, v[27:28], off offset:2
	global_load_dword v32, v[29:30], off offset:2
	global_load_ushort v22, v[25:26], off
	v_add_u32_e32 v14, 32, v14
	s_waitcnt vmcnt(4)
	v_cvt_f32_f16_e32 v6, v6
	s_waitcnt vmcnt(2)
	v_and_b32_e32 v23, 1, v31
	v_and_b32_e32 v24, 4, v31
	v_cmp_eq_u32_e64 s[0:1], 0, v23
	v_and_b32_e32 v25, 8, v31
	v_lshlrev_b32_e32 v26, 8, v31
	v_and_b32_e32 v27, 16, v31
	v_cndmask_b32_e64 v23, 1, v16, s[0:1]
	v_cmp_eq_u32_e64 s[0:1], 0, v24
	v_and_b32_e32 v29, 0x80, v31
	v_cmp_eq_u32_e32 vcc, 0, v25
	v_cndmask_b32_e64 v24, v17, v18, s[0:1]
	v_and_or_b32 v23, v26, s18, v23
	v_cmp_eq_u32_e64 s[0:1], 0, v27
	v_lshlrev_b32_e32 v30, 4, v31
	v_and_b32_e32 v25, 0x100, v31
	v_cndmask_b32_e32 v26, v19, v20, vcc
	v_add_u32_e32 v23, 0xff00, v23
	v_cmp_eq_u32_e32 vcc, 0, v29
	v_cndmask_b32_e64 v27, 1, v16, s[0:1]
	v_or3_b32 v23, v26, v24, v23
	v_and_b32_e32 v24, 0x400, v31
	v_and_or_b32 v27, v30, s18, v27
	v_cndmask_b32_e32 v30, v19, v20, vcc
	v_cmp_eq_u32_e32 vcc, 0, v25
	v_and_b32_e32 v28, 64, v31
	v_and_b32_e32 v26, 0x800, v31
	v_cndmask_b32_e32 v25, 1, v16, vcc
	v_cmp_eq_u32_e32 vcc, 0, v24
	s_waitcnt vmcnt(1)
	v_and_b32_e32 v29, 1, v32
	v_cmp_eq_u32_e64 s[0:1], 0, v28
	v_cndmask_b32_e32 v24, v17, v18, vcc
	v_cmp_eq_u32_e32 vcc, 0, v26
	v_and_or_b32 v25, v31, s18, v25
	v_cndmask_b32_e64 v28, v17, v18, s[0:1]
	v_add_u32_e32 v27, 0xff00, v27
	v_cndmask_b32_e32 v26, v19, v20, vcc
	v_add_u32_e32 v25, 0xff00, v25
	v_cmp_eq_u32_e64 s[0:1], 0, v29
	v_or3_b32 v27, v30, v28, v27
	v_and_b32_e32 v28, 4, v32
	v_and_b32_e32 v30, 8, v32
	v_or3_b32 v24, v26, v24, v25
	v_lshlrev_b32_e32 v25, 8, v32
	v_cndmask_b32_e64 v29, 1, v16, s[0:1]
	v_and_b32_e32 v26, 16, v32
	v_cmp_eq_u32_e32 vcc, 0, v30
	v_cmp_eq_u32_e64 s[0:1], 0, v28
	v_and_or_b32 v25, v25, s18, v29
	v_cndmask_b32_e64 v28, v17, v18, s[0:1]
	v_cndmask_b32_e32 v29, v19, v20, vcc
	v_add_u32_e32 v25, 0xff00, v25
	v_cmp_eq_u32_e64 s[0:1], 0, v26
	v_and_b32_e32 v30, 64, v32
	v_or3_b32 v25, v29, v28, v25
	v_and_b32_e32 v28, 0x80, v32
	v_lshlrev_b32_e32 v29, 4, v32
	v_cndmask_b32_e64 v26, 1, v16, s[0:1]
	v_cmp_eq_u32_e32 vcc, 0, v28
	v_cmp_eq_u32_e64 s[0:1], 0, v30
	v_and_or_b32 v26, v29, s18, v26
	v_and_b32_e32 v28, 0x100, v32
	v_cndmask_b32_e64 v30, v17, v18, s[0:1]
	v_cndmask_b32_e32 v29, v19, v20, vcc
	v_add_u32_e32 v26, 0xff00, v26
	v_or3_b32 v26, v29, v30, v26
	v_and_b32_e32 v29, 0x400, v32
	v_cmp_eq_u32_e32 vcc, 0, v28
	v_and_b32_e32 v30, 0x800, v32
	v_cndmask_b32_e32 v28, 1, v16, vcc
	v_cmp_eq_u32_e32 vcc, 0, v29
	v_cndmask_b32_e32 v29, v17, v18, vcc
	v_cmp_eq_u32_e32 vcc, 0, v30
	v_and_or_b32 v28, v32, s18, v28
	v_cndmask_b32_e32 v30, v19, v20, vcc
	v_add_u32_e32 v28, 0xff00, v28
	v_or3_b32 v28, v30, v29, v28
	v_and_b32_e32 v29, 0x1000, v31
	v_dot4_i32_i8 v23, v23, v7, 0
	v_and_b32_e32 v30, 0x4000, v31
	v_dot4_i32_i8 v23, v27, v8, v23
	v_dot4_i32_i8 v7, v25, v7, 0
	v_cmp_eq_u32_e64 s[0:1], 0, v29
	v_dot4_i32_i8 v7, v26, v8, v7
	v_dot4_i32_i8 v23, v24, v9, v23
	v_and_b32_e32 v24, 0x10000, v31
	v_cndmask_b32_e64 v29, 1, v16, s[0:1]
	v_cmp_eq_u32_e64 s[0:1], 0, v30
	v_and_b32_e32 v27, 0x8000, v31
	v_lshrrev_b32_e32 v8, 4, v31
	v_dot4_i32_i8 v7, v28, v9, v7
	v_and_b32_e32 v9, 0x40000, v31
	v_cndmask_b32_e64 v30, v17, v18, s[0:1]
	v_cmp_eq_u32_e64 s[0:1], 0, v24
	v_and_b32_e32 v28, 0x100000, v31
	v_cmp_eq_u32_e32 vcc, 0, v27
	v_and_or_b32 v8, v8, s18, v29
	v_cndmask_b32_e64 v24, 1, v16, s[0:1]
	v_cmp_eq_u32_e64 s[0:1], 0, v9
	v_and_b32_e32 v25, 0x80000, v31
	v_lshrrev_b32_e32 v26, 8, v31
	v_cndmask_b32_e32 v29, v19, v20, vcc
	v_add_u32_e32 v8, 0xff00, v8
	v_cndmask_b32_e64 v9, v17, v18, s[0:1]
	v_cmp_eq_u32_e64 s[0:1], 0, v28
	v_and_b32_e32 v33, 0x400000, v31
	v_and_b32_e32 v27, 0x800000, v31
	v_or3_b32 v8, v29, v30, v8
	v_lshrrev_b32_e32 v29, 12, v31
	v_cmp_eq_u32_e32 vcc, 0, v25
	v_and_or_b32 v24, v26, s18, v24
	v_cndmask_b32_e64 v28, 1, v16, s[0:1]
	v_and_b32_e32 v30, 0x1000000, v31
	v_cndmask_b32_e32 v26, v19, v20, vcc
	v_add_u32_e32 v24, 0xff00, v24
	v_cmp_eq_u32_e32 vcc, 0, v27
	v_cmp_eq_u32_e64 s[0:1], 0, v33
	v_and_or_b32 v28, v29, s18, v28
	v_or3_b32 v9, v26, v9, v24
	v_and_b32_e32 v24, 0x8000000, v31
	v_cndmask_b32_e64 v33, v17, v18, s[0:1]
	v_cndmask_b32_e32 v29, v19, v20, vcc
	v_add_u32_e32 v28, 0xff00, v28
	v_cmp_eq_u32_e64 s[0:1], 0, v30
	v_lshrrev_b32_e32 v26, 16, v31
	v_or3_b32 v28, v29, v33, v28
	v_and_b32_e32 v29, 0x10000000, v31
	v_cmp_eq_u32_e32 vcc, 0, v24
	v_cndmask_b32_e64 v30, 1, v16, s[0:1]
	v_and_b32_e32 v25, 0x4000000, v31
	v_ashrrev_i32_e32 v27, 28, v31
	v_and_b32_e32 v31, 2.0, v31
	v_and_or_b32 v26, v26, s18, v30
	v_cndmask_b32_e32 v30, v19, v20, vcc
	v_cmp_eq_u32_e32 vcc, 0, v29
	v_and_b32_e32 v33, 0x1000, v32
	v_cmp_eq_u32_e64 s[0:1], 0, v25
	v_cndmask_b32_e32 v29, 1, v16, vcc
	v_cmp_eq_u32_e32 vcc, 0, v31
	v_lshlrev_b32_e32 v31, 8, v27
	v_and_b32_e32 v27, 8, v27
	v_cndmask_b32_e64 v25, v17, v18, s[0:1]
	v_add_u32_e32 v26, 0xff00, v26
	v_and_or_b32 v29, v31, s18, v29
	v_cndmask_b32_e32 v31, v17, v18, vcc
	v_cmp_eq_u32_e32 vcc, 0, v27
	v_cmp_eq_u32_e64 s[0:1], 0, v33
	v_and_b32_e32 v24, 0x4000, v32
	v_or3_b32 v25, v30, v25, v26
	v_and_b32_e32 v26, 0x8000, v32
	v_lshrrev_b32_e32 v30, 4, v32
	v_cndmask_b32_e32 v27, v19, v20, vcc
	v_add_u32_e32 v29, 0xff00, v29
	v_cndmask_b32_e64 v33, 1, v16, s[0:1]
	v_or3_b32 v27, v27, v31, v29
	v_and_b32_e32 v29, 0x10000, v32
	v_cmp_eq_u32_e32 vcc, 0, v26
	v_cmp_eq_u32_e64 s[0:1], 0, v24
	v_and_or_b32 v30, v30, s18, v33
	v_cndmask_b32_e64 v24, v17, v18, s[0:1]
	v_cndmask_b32_e32 v33, v19, v20, vcc
	v_add_u32_e32 v30, 0xff00, v30
	v_cmp_eq_u32_e64 s[0:1], 0, v29
	v_and_b32_e32 v31, 0x40000, v32
	v_and_b32_e32 v26, 0x80000, v32
	v_or3_b32 v24, v33, v24, v30
	v_lshrrev_b32_e32 v30, 8, v32
	v_cndmask_b32_e64 v29, 1, v16, s[0:1]
	v_and_b32_e32 v33, 0x100000, v32
	v_cmp_eq_u32_e32 vcc, 0, v26
	v_cmp_eq_u32_e64 s[0:1], 0, v31
	v_and_or_b32 v29, v30, s18, v29
	v_cndmask_b32_e64 v31, v17, v18, s[0:1]
	v_cndmask_b32_e32 v30, v19, v20, vcc
	v_add_u32_e32 v29, 0xff00, v29
	v_cmp_eq_u32_e64 s[0:1], 0, v33
	v_and_b32_e32 v26, 0x400000, v32
	v_or3_b32 v29, v30, v31, v29
	v_and_b32_e32 v30, 0x800000, v32
	v_lshrrev_b32_e32 v31, 12, v32
	v_cndmask_b32_e64 v33, 1, v16, s[0:1]
	v_cmp_eq_u32_e32 vcc, 0, v30
	v_cmp_eq_u32_e64 s[0:1], 0, v26
	v_and_or_b32 v31, v31, s18, v33
	v_and_b32_e32 v30, 0x1000000, v32
	v_cndmask_b32_e64 v26, v17, v18, s[0:1]
	v_cndmask_b32_e32 v33, v19, v20, vcc
	v_add_u32_e32 v31, 0xff00, v31
	v_or3_b32 v26, v33, v26, v31
	v_and_b32_e32 v33, 0x8000000, v32
	v_cmp_eq_u32_e64 s[0:1], 0, v30
	v_and_b32_e32 v31, 0x4000000, v32
	v_cmp_eq_u32_e32 vcc, 0, v33
	v_lshrrev_b32_e32 v33, 16, v32
	v_cndmask_b32_e64 v30, 1, v16, s[0:1]
	v_cmp_eq_u32_e64 s[0:1], 0, v31
	v_and_or_b32 v30, v33, s18, v30
	v_cndmask_b32_e64 v31, v17, v18, s[0:1]
	v_cndmask_b32_e32 v33, v19, v20, vcc
	v_add_u32_e32 v30, 0xff00, v30
	v_or3_b32 v30, v33, v31, v30
	v_and_b32_e32 v33, 0x10000000, v32
	v_ashrrev_i32_e32 v31, 28, v32
	v_and_b32_e32 v32, 2.0, v32
	v_cmp_eq_u32_e32 vcc, 0, v33
	v_cndmask_b32_e32 v33, 1, v16, vcc
	v_cmp_eq_u32_e32 vcc, 0, v32
	v_lshlrev_b32_e32 v32, 8, v31
	v_and_b32_e32 v31, 8, v31
	v_and_or_b32 v32, v32, s18, v33
	v_cndmask_b32_e32 v33, v17, v18, vcc
	v_cmp_eq_u32_e32 vcc, 0, v31
	v_cndmask_b32_e32 v31, v19, v20, vcc
	v_add_u32_e32 v32, 0xff00, v32
	v_or3_b32 v31, v31, v33, v32
	global_load_dword v32, v[10:11], off
	v_dot4_i32_i8 v8, v8, v2, v23
	v_dot4_i32_i8 v2, v24, v2, v7
	;; [unrolled: 1-line block ×8, first 2 shown]
	v_cvt_f32_f16_e32 v21, v21
	s_waitcnt vmcnt(1)
	v_cvt_f32_f16_e32 v22, v22
	v_add_co_u32_e32 v10, vcc, 0x1200, v10
	v_addc_co_u32_e32 v11, vcc, 0, v11, vcc
	v_cmp_le_u32_e32 vcc, s11, v14
	v_mul_f32_e32 v4, v21, v6
	v_mul_f32_e32 v5, v22, v6
	s_or_b64 s[12:13], vcc, s[12:13]
	s_waitcnt vmcnt(0)
	v_dot4_i32_i8 v3, v27, v32, v3
	v_dot4_i32_i8 v2, v31, v32, v2
	v_cvt_f32_i32_e32 v3, v3
	v_cvt_f32_i32_e32 v2, v2
	v_fmac_f32_e32 v12, v4, v3
	v_fmac_f32_e32 v13, v5, v2
	s_andn2_b64 exec, exec, s[12:13]
	s_cbranch_execnz .LBB2_9
; %bb.10:
	s_or_b64 exec, exec, s[12:13]
.LBB2_11:
	s_or_b64 exec, exec, s[6:7]
	v_cmp_eq_u32_e32 vcc, 0, v1
	s_waitcnt lgkmcnt(0)
	v_cmp_ne_u32_e64 s[0:1], 0, v1
	v_lshlrev_b32_e32 v2, 2, v0
	s_and_saveexec_b64 s[6:7], s[0:1]
; %bb.12:
	v_lshl_or_b32 v1, v1, 9, v2
	v_add_u32_e32 v1, 0xfffffe00, v1
	ds_write2st64_b32 v1, v12, v13 offset1:1
; %bb.13:
	s_or_b64 exec, exec, s[6:7]
	s_waitcnt lgkmcnt(0)
	s_barrier
	s_and_saveexec_b64 s[0:1], vcc
	s_cbranch_execz .LBB2_16
; %bb.14:
	v_mbcnt_lo_u32_b32 v1, -1, 0
	v_mbcnt_hi_u32_b32 v1, -1, v1
	v_and_b32_e32 v3, 64, v1
	v_add_u32_e32 v5, 64, v3
	v_xor_b32_e32 v3, 32, v1
	v_cmp_lt_i32_e32 vcc, v3, v5
	v_cndmask_b32_e32 v3, v1, v3, vcc
	v_lshlrev_b32_e32 v6, 2, v3
	v_xor_b32_e32 v3, 16, v1
	v_cmp_lt_i32_e32 vcc, v3, v5
	v_cndmask_b32_e32 v3, v1, v3, vcc
	v_lshlrev_b32_e32 v7, 2, v3
	ds_read2st64_b32 v[3:4], v2 offset1:1
	v_xor_b32_e32 v8, 8, v1
	v_cmp_lt_i32_e32 vcc, v8, v5
	v_cndmask_b32_e32 v8, v1, v8, vcc
	v_lshlrev_b32_e32 v8, 2, v8
	s_waitcnt lgkmcnt(0)
	v_add_f32_e32 v3, v12, v3
	v_add_f32_e32 v4, v13, v4
	ds_bpermute_b32 v10, v6, v3
	ds_bpermute_b32 v6, v6, v4
	v_xor_b32_e32 v9, 4, v1
	v_cmp_lt_i32_e32 vcc, v9, v5
	v_cndmask_b32_e32 v9, v1, v9, vcc
	s_waitcnt lgkmcnt(1)
	v_add_f32_e32 v3, v3, v10
	s_waitcnt lgkmcnt(0)
	v_add_f32_e32 v4, v4, v6
	ds_bpermute_b32 v10, v7, v3
	ds_bpermute_b32 v6, v7, v4
	v_lshlrev_b32_e32 v7, 2, v9
	v_xor_b32_e32 v9, 2, v1
	v_cmp_lt_i32_e32 vcc, v9, v5
	s_waitcnt lgkmcnt(1)
	v_add_f32_e32 v3, v3, v10
	s_waitcnt lgkmcnt(0)
	v_add_f32_e32 v4, v4, v6
	ds_bpermute_b32 v10, v8, v3
	ds_bpermute_b32 v6, v8, v4
	v_cndmask_b32_e32 v8, v1, v9, vcc
	s_load_dword s0, s[4:5], 0x58
	s_mov_b32 s3, 0
	s_waitcnt lgkmcnt(0)
	v_add_f32_e32 v3, v3, v10
	v_add_f32_e32 v4, v4, v6
	ds_bpermute_b32 v9, v7, v3
	ds_bpermute_b32 v6, v7, v4
	v_lshlrev_b32_e32 v7, 2, v8
	v_xor_b32_e32 v8, 1, v1
	v_cmp_lt_i32_e32 vcc, v8, v5
	s_waitcnt lgkmcnt(1)
	v_add_f32_e32 v3, v3, v9
	s_waitcnt lgkmcnt(0)
	v_add_f32_e32 v4, v4, v6
	ds_bpermute_b32 v9, v7, v3
	ds_bpermute_b32 v6, v7, v4
	v_cndmask_b32_e32 v1, v1, v8, vcc
	v_lshlrev_b32_e32 v5, 2, v1
	s_waitcnt lgkmcnt(1)
	v_add_f32_e32 v1, v3, v9
	s_waitcnt lgkmcnt(0)
	v_add_f32_e32 v4, v4, v6
	ds_bpermute_b32 v3, v5, v1
	ds_bpermute_b32 v5, v5, v4
	v_or_b32_e32 v6, s9, v0
	v_cmp_gt_u32_e32 vcc, s0, v6
	v_cmp_gt_u32_e64 s[0:1], 2, v0
	s_and_b64 s[0:1], s[0:1], vcc
	s_and_b64 exec, exec, s[0:1]
	s_cbranch_execz .LBB2_16
; %bb.15:
	s_load_dwordx2 s[0:1], s[4:5], 0x38
	s_mul_i32 s2, s2, s10
	s_add_i32 s2, s2, s9
	s_mul_i32 s4, s14, s8
	s_add_i32 s2, s2, s4
	s_lshl_b64 s[2:3], s[2:3], 2
	s_waitcnt lgkmcnt(0)
	s_add_u32 s0, s0, s2
	v_add_f32_e32 v4, v4, v5
	v_add_f32_e32 v1, v1, v3
	v_cmp_eq_u32_e32 vcc, 1, v0
	s_addc_u32 s1, s1, s3
	v_cndmask_b32_e32 v0, v1, v4, vcc
	global_store_dword v2, v0, s[0:1]
.LBB2_16:
	s_endpgm
	.section	.rodata,"a",@progbits
	.p2align	6, 0x0
	.amdhsa_kernel _ZL13mul_mat_vec_qIL9ggml_type41ELi1ELb0ELb1EEvPKvS2_PKi31ggml_cuda_mm_fusion_args_devicePfj15HIP_vector_typeIjLj3EEjjjS8_jjjS8_jjjj
		.amdhsa_group_segment_fixed_size 512
		.amdhsa_private_segment_fixed_size 0
		.amdhsa_kernarg_size 144
		.amdhsa_user_sgpr_count 6
		.amdhsa_user_sgpr_private_segment_buffer 1
		.amdhsa_user_sgpr_dispatch_ptr 0
		.amdhsa_user_sgpr_queue_ptr 0
		.amdhsa_user_sgpr_kernarg_segment_ptr 1
		.amdhsa_user_sgpr_dispatch_id 0
		.amdhsa_user_sgpr_flat_scratch_init 0
		.amdhsa_user_sgpr_private_segment_size 0
		.amdhsa_uses_dynamic_stack 0
		.amdhsa_system_sgpr_private_segment_wavefront_offset 0
		.amdhsa_system_sgpr_workgroup_id_x 1
		.amdhsa_system_sgpr_workgroup_id_y 1
		.amdhsa_system_sgpr_workgroup_id_z 1
		.amdhsa_system_sgpr_workgroup_info 0
		.amdhsa_system_vgpr_workitem_id 1
		.amdhsa_next_free_vgpr 34
		.amdhsa_next_free_sgpr 24
		.amdhsa_reserve_vcc 1
		.amdhsa_reserve_flat_scratch 0
		.amdhsa_float_round_mode_32 0
		.amdhsa_float_round_mode_16_64 0
		.amdhsa_float_denorm_mode_32 3
		.amdhsa_float_denorm_mode_16_64 3
		.amdhsa_dx10_clamp 1
		.amdhsa_ieee_mode 1
		.amdhsa_fp16_overflow 0
		.amdhsa_exception_fp_ieee_invalid_op 0
		.amdhsa_exception_fp_denorm_src 0
		.amdhsa_exception_fp_ieee_div_zero 0
		.amdhsa_exception_fp_ieee_overflow 0
		.amdhsa_exception_fp_ieee_underflow 0
		.amdhsa_exception_fp_ieee_inexact 0
		.amdhsa_exception_int_div_zero 0
	.end_amdhsa_kernel
	.section	.text._ZL13mul_mat_vec_qIL9ggml_type41ELi1ELb0ELb1EEvPKvS2_PKi31ggml_cuda_mm_fusion_args_devicePfj15HIP_vector_typeIjLj3EEjjjS8_jjjS8_jjjj,"axG",@progbits,_ZL13mul_mat_vec_qIL9ggml_type41ELi1ELb0ELb1EEvPKvS2_PKi31ggml_cuda_mm_fusion_args_devicePfj15HIP_vector_typeIjLj3EEjjjS8_jjjS8_jjjj,comdat
.Lfunc_end2:
	.size	_ZL13mul_mat_vec_qIL9ggml_type41ELi1ELb0ELb1EEvPKvS2_PKi31ggml_cuda_mm_fusion_args_devicePfj15HIP_vector_typeIjLj3EEjjjS8_jjjS8_jjjj, .Lfunc_end2-_ZL13mul_mat_vec_qIL9ggml_type41ELi1ELb0ELb1EEvPKvS2_PKi31ggml_cuda_mm_fusion_args_devicePfj15HIP_vector_typeIjLj3EEjjjS8_jjjS8_jjjj
                                        ; -- End function
	.set _ZL13mul_mat_vec_qIL9ggml_type41ELi1ELb0ELb1EEvPKvS2_PKi31ggml_cuda_mm_fusion_args_devicePfj15HIP_vector_typeIjLj3EEjjjS8_jjjS8_jjjj.num_vgpr, 34
	.set _ZL13mul_mat_vec_qIL9ggml_type41ELi1ELb0ELb1EEvPKvS2_PKi31ggml_cuda_mm_fusion_args_devicePfj15HIP_vector_typeIjLj3EEjjjS8_jjjS8_jjjj.num_agpr, 0
	.set _ZL13mul_mat_vec_qIL9ggml_type41ELi1ELb0ELb1EEvPKvS2_PKi31ggml_cuda_mm_fusion_args_devicePfj15HIP_vector_typeIjLj3EEjjjS8_jjjS8_jjjj.numbered_sgpr, 24
	.set _ZL13mul_mat_vec_qIL9ggml_type41ELi1ELb0ELb1EEvPKvS2_PKi31ggml_cuda_mm_fusion_args_devicePfj15HIP_vector_typeIjLj3EEjjjS8_jjjS8_jjjj.num_named_barrier, 0
	.set _ZL13mul_mat_vec_qIL9ggml_type41ELi1ELb0ELb1EEvPKvS2_PKi31ggml_cuda_mm_fusion_args_devicePfj15HIP_vector_typeIjLj3EEjjjS8_jjjS8_jjjj.private_seg_size, 0
	.set _ZL13mul_mat_vec_qIL9ggml_type41ELi1ELb0ELb1EEvPKvS2_PKi31ggml_cuda_mm_fusion_args_devicePfj15HIP_vector_typeIjLj3EEjjjS8_jjjS8_jjjj.uses_vcc, 1
	.set _ZL13mul_mat_vec_qIL9ggml_type41ELi1ELb0ELb1EEvPKvS2_PKi31ggml_cuda_mm_fusion_args_devicePfj15HIP_vector_typeIjLj3EEjjjS8_jjjS8_jjjj.uses_flat_scratch, 0
	.set _ZL13mul_mat_vec_qIL9ggml_type41ELi1ELb0ELb1EEvPKvS2_PKi31ggml_cuda_mm_fusion_args_devicePfj15HIP_vector_typeIjLj3EEjjjS8_jjjS8_jjjj.has_dyn_sized_stack, 0
	.set _ZL13mul_mat_vec_qIL9ggml_type41ELi1ELb0ELb1EEvPKvS2_PKi31ggml_cuda_mm_fusion_args_devicePfj15HIP_vector_typeIjLj3EEjjjS8_jjjS8_jjjj.has_recursion, 0
	.set _ZL13mul_mat_vec_qIL9ggml_type41ELi1ELb0ELb1EEvPKvS2_PKi31ggml_cuda_mm_fusion_args_devicePfj15HIP_vector_typeIjLj3EEjjjS8_jjjS8_jjjj.has_indirect_call, 0
	.section	.AMDGPU.csdata,"",@progbits
; Kernel info:
; codeLenInByte = 2592
; TotalNumSgprs: 28
; NumVgprs: 34
; ScratchSize: 0
; MemoryBound: 0
; FloatMode: 240
; IeeeMode: 1
; LDSByteSize: 512 bytes/workgroup (compile time only)
; SGPRBlocks: 3
; VGPRBlocks: 8
; NumSGPRsForWavesPerEU: 28
; NumVGPRsForWavesPerEU: 34
; Occupancy: 7
; WaveLimiterHint : 0
; COMPUTE_PGM_RSRC2:SCRATCH_EN: 0
; COMPUTE_PGM_RSRC2:USER_SGPR: 6
; COMPUTE_PGM_RSRC2:TRAP_HANDLER: 0
; COMPUTE_PGM_RSRC2:TGID_X_EN: 1
; COMPUTE_PGM_RSRC2:TGID_Y_EN: 1
; COMPUTE_PGM_RSRC2:TGID_Z_EN: 1
; COMPUTE_PGM_RSRC2:TIDIG_COMP_CNT: 1
	.section	.text._ZL13mul_mat_vec_qIL9ggml_type41ELi1ELb1ELb0EEvPKvS2_PKi31ggml_cuda_mm_fusion_args_devicePfj15HIP_vector_typeIjLj3EEjjjS8_jjjS8_jjjj,"axG",@progbits,_ZL13mul_mat_vec_qIL9ggml_type41ELi1ELb1ELb0EEvPKvS2_PKi31ggml_cuda_mm_fusion_args_devicePfj15HIP_vector_typeIjLj3EEjjjS8_jjjS8_jjjj,comdat
	.globl	_ZL13mul_mat_vec_qIL9ggml_type41ELi1ELb1ELb0EEvPKvS2_PKi31ggml_cuda_mm_fusion_args_devicePfj15HIP_vector_typeIjLj3EEjjjS8_jjjS8_jjjj ; -- Begin function _ZL13mul_mat_vec_qIL9ggml_type41ELi1ELb1ELb0EEvPKvS2_PKi31ggml_cuda_mm_fusion_args_devicePfj15HIP_vector_typeIjLj3EEjjjS8_jjjS8_jjjj
	.p2align	8
	.type	_ZL13mul_mat_vec_qIL9ggml_type41ELi1ELb1ELb0EEvPKvS2_PKi31ggml_cuda_mm_fusion_args_devicePfj15HIP_vector_typeIjLj3EEjjjS8_jjjS8_jjjj,@function
_ZL13mul_mat_vec_qIL9ggml_type41ELi1ELb1ELb0EEvPKvS2_PKi31ggml_cuda_mm_fusion_args_devicePfj15HIP_vector_typeIjLj3EEjjjS8_jjjS8_jjjj: ; @_ZL13mul_mat_vec_qIL9ggml_type41ELi1ELb1ELb0EEvPKvS2_PKi31ggml_cuda_mm_fusion_args_devicePfj15HIP_vector_typeIjLj3EEjjjS8_jjjS8_jjjj
; %bb.0:
	s_load_dwordx8 s[16:23], s[4:5], 0x0
	s_load_dwordx4 s[36:39], s[4:5], 0x20
	s_load_dwordx4 s[12:15], s[4:5], 0x40
	;; [unrolled: 1-line block ×3, first 2 shown]
	s_mov_b32 s34, s7
	s_waitcnt lgkmcnt(0)
	s_cmp_lg_u64 s[20:21], 0
	s_cselect_b64 s[0:1], -1, 0
	s_cmp_eq_u64 s[20:21], 0
	s_mov_b64 s[2:3], 0
	s_cbranch_scc1 .LBB3_5
; %bb.1:
	s_mov_b32 s35, 0
	s_lshl_b64 s[10:11], s[34:35], 2
	s_add_u32 s10, s20, s10
	s_addc_u32 s11, s21, s11
	s_load_dword s9, s[10:11], 0x0
	s_load_dword s33, s[4:5], 0x50
	;; [unrolled: 1-line block ×3, first 2 shown]
	s_andn2_b64 vcc, exec, s[2:3]
	s_cbranch_vccnz .LBB3_3
.LBB3_2:
	s_load_dwordx2 s[2:3], s[4:5], 0x5c
	s_waitcnt lgkmcnt(0)
	s_mul_hi_u32 s2, s2, s34
	s_add_i32 s2, s34, s2
	s_lshr_b32 s9, s2, s3
.LBB3_3:
	s_andn2_b64 vcc, exec, s[0:1]
	s_cbranch_vccnz .LBB3_6
; %bb.4:
	s_mul_hi_u32 s0, s13, s34
	s_add_i32 s0, s34, s0
	s_lshr_b32 s0, s0, s14
	s_mul_i32 s0, s0, s15
	s_sub_i32 s40, s34, s0
	s_waitcnt lgkmcnt(0)
	s_mov_b32 s2, s9
	s_branch .LBB3_7
.LBB3_5:
                                        ; implicit-def: $sgpr9
	s_load_dword s33, s[4:5], 0x50
	s_load_dword s35, s[4:5], 0x78
	s_branch .LBB3_2
.LBB3_6:
	s_mov_b32 s2, s34
	s_mov_b32 s40, s34
.LBB3_7:
	s_load_dwordx4 s[28:31], s[4:5], 0x80
	s_cmp_lg_u64 s[22:23], 0
	v_or_b32_e32 v2, v0, v1
	s_cselect_b64 s[0:1], -1, 0
	v_cmp_eq_u32_e32 vcc, 0, v2
	s_mov_b32 s15, 0
	s_and_b64 s[20:21], s[0:1], vcc
	v_mov_b32_e32 v13, 0
	s_mul_i32 s10, s2, s26
	v_lshlrev_b32_e32 v12, 2, v0
	v_mov_b32_e32 v14, 0
	s_and_saveexec_b64 s[2:3], s[20:21]
	s_cbranch_execz .LBB3_9
; %bb.8:
	s_waitcnt lgkmcnt(0)
	s_mul_i32 s14, s30, s8
	s_lshl_b64 s[20:21], s[14:15], 2
	s_add_u32 s7, s22, s20
	s_mov_b32 s11, s15
	s_addc_u32 s13, s23, s21
	s_lshl_b64 s[14:15], s[10:11], 2
	s_add_u32 s11, s7, s14
	s_addc_u32 s13, s13, s15
	s_ashr_i32 s7, s6, 31
	s_lshl_b64 s[14:15], s[6:7], 2
	s_add_u32 s14, s11, s14
	s_addc_u32 s15, s13, s15
	global_load_dword v14, v12, s[14:15]
.LBB3_9:
	s_or_b64 exec, exec, s[2:3]
	s_cmp_lg_u64 s[36:37], 0
	s_cselect_b64 s[14:15], -1, 0
	s_cmp_lg_u64 s[38:39], 0
	s_cselect_b64 s[2:3], -1, 0
	s_and_b64 s[20:21], s[2:3], s[14:15]
	s_and_b64 s[22:23], s[20:21], vcc
	s_and_saveexec_b64 s[20:21], s[22:23]
	s_cbranch_execz .LBB3_11
; %bb.10:
	s_waitcnt lgkmcnt(0)
	s_mul_i32 s22, s30, s8
	s_mov_b32 s23, 0
	s_lshl_b64 s[42:43], s[22:23], 2
	s_add_u32 s7, s38, s42
	s_mov_b32 s11, s23
	s_addc_u32 s13, s39, s43
	s_lshl_b64 s[10:11], s[10:11], 2
	s_add_u32 s22, s7, s10
	s_addc_u32 s13, s13, s11
	s_ashr_i32 s7, s6, 31
	s_lshl_b64 s[10:11], s[6:7], 2
	s_add_u32 s10, s22, s10
	s_addc_u32 s11, s13, s11
	global_load_dword v13, v12, s[10:11]
.LBB3_11:
	s_or_b64 exec, exec, s[20:21]
	v_lshl_add_u32 v2, v1, 6, v0
	s_lshr_b32 s7, s12, 7
	v_lshrrev_b32_e32 v17, 2, v2
	v_cndmask_b32_e64 v3, 0, 1, s[14:15]
	v_cmp_gt_u32_e32 vcc, s7, v17
	v_mov_b32_e32 v16, 0
	v_cmp_ne_u32_e64 s[12:13], 1, v3
	v_mov_b32_e32 v15, 0
	s_and_saveexec_b64 s[20:21], vcc
	s_cbranch_execz .LBB3_17
; %bb.12:
	s_mul_hi_u32 s10, s27, s8
	s_add_i32 s10, s8, s10
	s_waitcnt lgkmcnt(0)
	s_lshr_b32 s10, s10, s35
	s_mul_i32 s22, s10, s28
	s_mul_i32 s10, s40, s25
	s_mul_hi_u32 s11, s10, 36
	s_mul_i32 s10, s10, 36
	v_lshrrev_b32_e32 v4, 2, v2
	v_mov_b32_e32 v2, s10
	v_mov_b32_e32 v3, s11
	s_movk_i32 s10, 0x90
	v_mad_u64_u32 v[2:3], s[10:11], v4, s10, v[2:3]
	s_mul_i32 s23, s29, s8
	v_and_b32_e32 v4, 3, v0
	v_mad_u64_u32 v[2:3], s[10:11], s23, 36, v[2:3]
	v_lshlrev_b32_e32 v18, 2, v4
	s_mul_i32 s33, s33, s6
	v_mad_u64_u32 v[2:3], s[10:11], v4, 36, v[2:3]
	v_mov_b32_e32 v4, s19
	s_mul_i32 s9, s9, s24
	v_add_co_u32_e32 v2, vcc, s18, v2
	v_addc_co_u32_e32 v3, vcc, v4, v3, vcc
	s_add_i32 s22, s22, s33
	v_add_co_u32_e32 v10, vcc, 32, v2
	s_add_i32 s9, s9, s22
	v_mov_b32_e32 v16, 0
	v_addc_co_u32_e32 v11, vcc, 0, v3, vcc
	s_mov_b64 s[18:19], 0
	s_movk_i32 s22, 0x200
	v_mov_b32_e32 v19, 0xff
	v_mov_b32_e32 v20, 0x10000
	;; [unrolled: 1-line block ×6, first 2 shown]
	s_branch .LBB3_14
.LBB3_13:                               ;   in Loop: Header=BB3_14 Depth=1
	s_waitcnt vmcnt(2)
	v_and_b32_e32 v27, 1, v26
	v_cmp_eq_u32_e32 vcc, 0, v27
	v_and_b32_e32 v28, 4, v26
	v_cndmask_b32_e32 v27, 1, v19, vcc
	v_cmp_eq_u32_e32 vcc, 0, v28
	v_and_b32_e32 v29, 8, v26
	v_lshlrev_b32_e32 v30, 8, v26
	v_cndmask_b32_e32 v28, v20, v21, vcc
	v_cmp_eq_u32_e32 vcc, 0, v29
	v_and_or_b32 v27, v30, s22, v27
	v_cndmask_b32_e32 v29, v22, v23, vcc
	v_add_u32_e32 v27, 0xff00, v27
	v_or3_b32 v27, v29, v28, v27
	v_and_b32_e32 v28, 16, v26
	v_cmp_eq_u32_e32 vcc, 0, v28
	v_and_b32_e32 v29, 64, v26
	v_cndmask_b32_e32 v28, 1, v19, vcc
	v_cmp_eq_u32_e32 vcc, 0, v29
	v_and_b32_e32 v30, 0x80, v26
	v_lshlrev_b32_e32 v31, 4, v26
	v_cndmask_b32_e32 v29, v20, v21, vcc
	v_cmp_eq_u32_e32 vcc, 0, v30
	v_and_or_b32 v28, v31, s22, v28
	v_cndmask_b32_e32 v30, v22, v23, vcc
	v_add_u32_e32 v28, 0xff00, v28
	v_or3_b32 v28, v30, v29, v28
	v_and_b32_e32 v29, 0x100, v26
	v_cmp_eq_u32_e32 vcc, 0, v29
	v_and_b32_e32 v30, 0x400, v26
	v_cndmask_b32_e32 v29, 1, v19, vcc
	v_cmp_eq_u32_e32 vcc, 0, v30
	v_and_b32_e32 v31, 0x800, v26
	v_cndmask_b32_e32 v30, v20, v21, vcc
	v_cmp_eq_u32_e32 vcc, 0, v31
	v_and_or_b32 v29, v26, s22, v29
	v_cndmask_b32_e32 v31, v22, v23, vcc
	v_add_u32_e32 v29, 0xff00, v29
	v_or3_b32 v29, v31, v30, v29
	v_and_b32_e32 v30, 0x1000, v26
	v_cmp_eq_u32_e32 vcc, 0, v30
	v_and_b32_e32 v31, 0x4000, v26
	v_cndmask_b32_e32 v30, 1, v19, vcc
	v_cmp_eq_u32_e32 vcc, 0, v31
	v_and_b32_e32 v32, 0x8000, v26
	v_lshrrev_b32_e32 v33, 4, v26
	v_cndmask_b32_e32 v31, v20, v21, vcc
	v_cmp_eq_u32_e32 vcc, 0, v32
	v_and_or_b32 v30, v33, s22, v30
	v_cndmask_b32_e32 v32, v22, v23, vcc
	v_add_u32_e32 v30, 0xff00, v30
	v_or3_b32 v30, v32, v31, v30
	v_and_b32_e32 v31, 0x10000, v26
	v_cmp_eq_u32_e32 vcc, 0, v31
	v_and_b32_e32 v32, 0x40000, v26
	v_cndmask_b32_e32 v31, 1, v19, vcc
	v_cmp_eq_u32_e32 vcc, 0, v32
	v_and_b32_e32 v33, 0x80000, v26
	v_lshrrev_b32_e32 v34, 8, v26
	;; [unrolled: 13-line block ×4, first 2 shown]
	v_cndmask_b32_e32 v34, v20, v21, vcc
	v_cmp_eq_u32_e32 vcc, 0, v35
	v_and_or_b32 v33, v36, s22, v33
	v_cndmask_b32_e32 v35, v22, v23, vcc
	v_add_u32_e32 v33, 0xff00, v33
	v_dot4_i32_i8 v7, v27, v7, 0
	v_or3_b32 v33, v35, v34, v33
	v_and_b32_e32 v35, 0x10000000, v26
	v_dot4_i32_i8 v7, v28, v8, v7
	v_ashrrev_i32_e32 v34, 28, v26
	v_cmp_eq_u32_e32 vcc, 0, v35
	v_and_b32_e32 v26, 2.0, v26
	v_dot4_i32_i8 v7, v29, v9, v7
	v_cndmask_b32_e32 v35, 1, v19, vcc
	v_cmp_eq_u32_e32 vcc, 0, v26
	v_and_b32_e32 v36, 8, v34
	v_lshlrev_b32_e32 v34, 8, v34
	s_waitcnt vmcnt(1)
	v_dot4_i32_i8 v2, v30, v2, v7
	v_cndmask_b32_e32 v26, v20, v21, vcc
	v_cmp_eq_u32_e32 vcc, 0, v36
	v_and_or_b32 v34, v34, s22, v35
	v_dot4_i32_i8 v2, v31, v3, v2
	v_cndmask_b32_e32 v36, v22, v23, vcc
	v_add_u32_e32 v34, 0xff00, v34
	v_dot4_i32_i8 v2, v32, v4, v2
	v_or3_b32 v26, v36, v26, v34
	v_dot4_i32_i8 v2, v33, v5, v2
	s_waitcnt vmcnt(0)
	v_dot4_i32_i8 v2, v26, v25, v2
	v_cvt_f32_f16_e32 v3, v24
	v_cvt_f32_i32_e32 v2, v2
	v_add_u32_e32 v17, 32, v17
	v_add_co_u32_e32 v10, vcc, 0x1200, v10
	v_mul_f32_e32 v3, v3, v6
	v_cmp_le_u32_e64 s[10:11], s7, v17
	v_fmac_f32_e32 v16, v3, v2
	s_or_b64 s[18:19], s[10:11], s[18:19]
	v_addc_co_u32_e32 v11, vcc, 0, v11, vcc
	s_andn2_b64 exec, exec, s[18:19]
	s_cbranch_execz .LBB3_16
.LBB3_14:                               ; =>This Inner Loop Header: Depth=1
	v_add_u32_e32 v27, s9, v17
	v_mad_i64_i32 v[28:29], s[10:11], v27, 18, s[16:17]
	v_add_co_u32_e32 v30, vcc, v28, v18
	v_addc_co_u32_e32 v31, vcc, 0, v29, vcc
	global_load_dwordx4 v[6:9], v[10:11], off offset:-32
	global_load_ushort v24, v[28:29], off
	global_load_dword v26, v[30:31], off offset:2
	global_load_dwordx4 v[2:5], v[10:11], off offset:-16
	global_load_dword v25, v[10:11], off
	s_and_b64 vcc, exec, s[12:13]
	s_waitcnt vmcnt(4)
	v_cvt_f32_f16_e32 v6, v6
	s_cbranch_vccnz .LBB3_13
; %bb.15:                               ;   in Loop: Header=BB3_14 Depth=1
	v_mad_i64_i32 v[27:28], s[10:11], v27, 18, s[36:37]
	v_add_co_u32_e32 v29, vcc, v27, v18
	v_addc_co_u32_e32 v30, vcc, 0, v28, vcc
	global_load_dword v31, v[29:30], off offset:2
	global_load_ushort v32, v[27:28], off
	s_waitcnt vmcnt(1)
	v_and_b32_e32 v27, 1, v31
	v_and_b32_e32 v28, 4, v31
	v_cmp_eq_u32_e32 vcc, 0, v27
	v_and_b32_e32 v29, 8, v31
	v_cndmask_b32_e32 v27, 1, v19, vcc
	v_cmp_eq_u32_e32 vcc, 0, v28
	v_and_b32_e32 v33, 16, v31
	v_cndmask_b32_e32 v28, v20, v21, vcc
	;; [unrolled: 3-line block ×3, first 2 shown]
	v_cmp_eq_u32_e32 vcc, 0, v33
	v_lshlrev_b32_e32 v30, 8, v31
	v_and_b32_e32 v35, 0x80, v31
	v_cndmask_b32_e32 v33, 1, v19, vcc
	v_cmp_eq_u32_e32 vcc, 0, v34
	v_and_b32_e32 v37, 0x100, v31
	v_and_or_b32 v27, v30, s22, v27
	v_cndmask_b32_e32 v34, v20, v21, vcc
	v_cmp_eq_u32_e32 vcc, 0, v35
	v_and_b32_e32 v30, 0x400, v31
	v_add_u32_e32 v27, 0xff00, v27
	v_cndmask_b32_e32 v35, v22, v23, vcc
	v_cmp_eq_u32_e32 vcc, 0, v37
	v_lshlrev_b32_e32 v36, 4, v31
	v_or3_b32 v27, v29, v28, v27
	v_and_b32_e32 v28, 0x800, v31
	v_cndmask_b32_e32 v37, 1, v19, vcc
	v_cmp_eq_u32_e32 vcc, 0, v30
	v_and_b32_e32 v29, 0x1000, v31
	v_and_or_b32 v33, v36, s22, v33
	v_cndmask_b32_e32 v30, v20, v21, vcc
	v_cmp_eq_u32_e32 vcc, 0, v28
	v_and_b32_e32 v36, 0x4000, v31
	v_add_u32_e32 v33, 0xff00, v33
	v_cndmask_b32_e32 v28, v22, v23, vcc
	v_and_or_b32 v37, v31, s22, v37
	v_cmp_eq_u32_e32 vcc, 0, v29
	v_or3_b32 v33, v35, v34, v33
	v_and_b32_e32 v34, 0x8000, v31
	v_lshrrev_b32_e32 v35, 4, v31
	v_add_u32_e32 v37, 0xff00, v37
	v_cndmask_b32_e32 v29, 1, v19, vcc
	v_cmp_eq_u32_e32 vcc, 0, v36
	v_or3_b32 v28, v28, v30, v37
	v_and_b32_e32 v30, 0x10000, v31
	v_and_or_b32 v29, v35, s22, v29
	v_cndmask_b32_e32 v36, v20, v21, vcc
	v_cmp_eq_u32_e32 vcc, 0, v34
	v_and_b32_e32 v37, 0x40000, v31
	v_cndmask_b32_e32 v34, v22, v23, vcc
	v_add_u32_e32 v29, 0xff00, v29
	v_cmp_eq_u32_e32 vcc, 0, v30
	v_and_b32_e32 v35, 0x80000, v31
	v_or3_b32 v29, v34, v36, v29
	v_lshrrev_b32_e32 v34, 8, v31
	v_cndmask_b32_e32 v30, 1, v19, vcc
	v_cmp_eq_u32_e32 vcc, 0, v37
	v_and_b32_e32 v36, 0x100000, v31
	v_and_or_b32 v30, v34, s22, v30
	v_cndmask_b32_e32 v37, v20, v21, vcc
	v_cmp_eq_u32_e32 vcc, 0, v35
	v_and_b32_e32 v34, 0x400000, v31
	v_cndmask_b32_e32 v35, v22, v23, vcc
	v_add_u32_e32 v30, 0xff00, v30
	v_cmp_eq_u32_e32 vcc, 0, v36
	v_or3_b32 v30, v35, v37, v30
	v_and_b32_e32 v35, 0x800000, v31
	v_lshrrev_b32_e32 v37, 12, v31
	v_cndmask_b32_e32 v36, 1, v19, vcc
	v_cmp_eq_u32_e32 vcc, 0, v34
	v_and_or_b32 v36, v37, s22, v36
	v_and_b32_e32 v37, 0x1000000, v31
	v_cndmask_b32_e32 v34, v20, v21, vcc
	v_cmp_eq_u32_e32 vcc, 0, v35
	v_cndmask_b32_e32 v35, v22, v23, vcc
	v_add_u32_e32 v36, 0xff00, v36
	v_cmp_eq_u32_e32 vcc, 0, v37
	v_or3_b32 v34, v35, v34, v36
	v_and_b32_e32 v35, 0x4000000, v31
	v_cndmask_b32_e32 v36, 1, v19, vcc
	v_lshrrev_b32_e32 v37, 16, v31
	v_cmp_eq_u32_e32 vcc, 0, v35
	v_and_or_b32 v36, v37, s22, v36
	v_and_b32_e32 v37, 0x8000000, v31
	v_cndmask_b32_e32 v35, v20, v21, vcc
	v_cmp_eq_u32_e32 vcc, 0, v37
	v_cndmask_b32_e32 v37, v22, v23, vcc
	v_add_u32_e32 v36, 0xff00, v36
	v_dot4_i32_i8 v27, v27, v7, 0
	v_or3_b32 v35, v37, v35, v36
	v_and_b32_e32 v37, 0x10000000, v31
	v_dot4_i32_i8 v27, v33, v8, v27
	v_ashrrev_i32_e32 v36, 28, v31
	v_cmp_eq_u32_e32 vcc, 0, v37
	v_and_b32_e32 v31, 2.0, v31
	v_dot4_i32_i8 v27, v28, v9, v27
	v_cndmask_b32_e32 v37, 1, v19, vcc
	v_lshlrev_b32_e32 v38, 8, v36
	v_cmp_eq_u32_e32 vcc, 0, v31
	v_and_b32_e32 v36, 8, v36
	v_dot4_i32_i8 v27, v29, v2, v27
	v_and_or_b32 v37, v38, s22, v37
	v_cndmask_b32_e32 v31, v20, v21, vcc
	v_cmp_eq_u32_e32 vcc, 0, v36
	v_dot4_i32_i8 v27, v30, v3, v27
	v_cndmask_b32_e32 v36, v22, v23, vcc
	v_add_u32_e32 v37, 0xff00, v37
	v_dot4_i32_i8 v27, v34, v4, v27
	v_or3_b32 v31, v36, v31, v37
	v_dot4_i32_i8 v27, v35, v5, v27
	v_dot4_i32_i8 v27, v31, v25, v27
	s_waitcnt vmcnt(0)
	v_cvt_f32_f16_e32 v28, v32
	v_cvt_f32_i32_e32 v27, v27
	v_mul_f32_e32 v28, v6, v28
	v_fmac_f32_e32 v15, v28, v27
	s_branch .LBB3_13
.LBB3_16:
	s_or_b64 exec, exec, s[18:19]
.LBB3_17:
	s_or_b64 exec, exec, s[20:21]
	s_load_dword s7, s[4:5], 0x30
	v_cmp_eq_u32_e64 s[10:11], 0, v1
	v_cmp_ne_u32_e32 vcc, 0, v1
	s_and_saveexec_b64 s[16:17], vcc
	s_cbranch_execz .LBB3_21
; %bb.18:
	s_and_b64 vcc, exec, s[14:15]
	s_cbranch_vccz .LBB3_20
; %bb.19:
	v_lshl_add_u32 v2, v1, 8, v12
	ds_write_b32 v2, v15
.LBB3_20:
	v_lshlrev_b32_e32 v1, 8, v1
	s_waitcnt lgkmcnt(0)
	s_movk_i32 s9, 0xff00
	v_add3_u32 v1, v1, v12, s9
	ds_write_b32 v1, v16
.LBB3_21:
	s_or_b64 exec, exec, s[16:17]
	s_waitcnt vmcnt(0) lgkmcnt(0)
	s_barrier
	s_and_saveexec_b64 s[14:15], s[10:11]
	s_cbranch_execz .LBB3_50
; %bb.22:
	ds_read_b32 v2, v12
	s_and_b64 vcc, exec, s[12:13]
	s_cbranch_vccnz .LBB3_24
; %bb.23:
	ds_read_b32 v1, v12 offset:256
	s_waitcnt lgkmcnt(0)
	v_add_f32_e32 v15, v15, v1
.LBB3_24:
	v_mbcnt_lo_u32_b32 v1, -1, 0
	v_mbcnt_hi_u32_b32 v3, -1, v1
	v_and_b32_e32 v1, 64, v3
	v_add_u32_e32 v4, 64, v1
	v_xor_b32_e32 v1, 32, v3
	v_cmp_lt_i32_e32 vcc, v1, v4
	v_cndmask_b32_e32 v1, v3, v1, vcc
	v_lshlrev_b32_e32 v1, 2, v1
	s_waitcnt lgkmcnt(0)
	v_add_f32_e32 v5, v16, v2
	ds_bpermute_b32 v6, v1, v5
	v_xor_b32_e32 v2, 16, v3
	v_cmp_lt_i32_e32 vcc, v2, v4
	v_cndmask_b32_e32 v2, v3, v2, vcc
	v_lshlrev_b32_e32 v2, 2, v2
	s_waitcnt lgkmcnt(0)
	v_add_f32_e32 v6, v5, v6
	ds_bpermute_b32 v7, v2, v6
	;; [unrolled: 7-line block ×6, first 2 shown]
	s_and_b64 vcc, exec, s[12:13]
	s_cbranch_vccnz .LBB3_26
; %bb.25:
	ds_bpermute_b32 v1, v1, v15
	s_waitcnt lgkmcnt(0)
	v_add_f32_e32 v1, v15, v1
	ds_bpermute_b32 v2, v2, v1
	s_waitcnt lgkmcnt(0)
	v_add_f32_e32 v1, v1, v2
	;; [unrolled: 3-line block ×6, first 2 shown]
.LBB3_26:
	v_cmp_eq_u32_e32 vcc, 0, v0
	s_and_b64 exec, exec, vcc
	s_cbranch_execz .LBB3_50
; %bb.27:
	s_waitcnt lgkmcnt(0)
	v_add_f32_e32 v0, v3, v4
	v_add_f32_e32 v1, v14, v0
	s_and_b64 vcc, exec, s[12:13]
	v_cndmask_b32_e64 v0, v0, v1, s[0:1]
	s_cbranch_vccnz .LBB3_49
; %bb.28:
	v_add_f32_e32 v1, v13, v15
	v_cndmask_b32_e64 v1, v15, v1, s[2:3]
	s_cmp_lt_i32 s7, 2
	s_mov_b64 s[0:1], 0
	s_cbranch_scc1 .LBB3_32
; %bb.29:
	s_cmp_gt_i32 s7, 2
	s_cbranch_scc0 .LBB3_33
; %bb.30:
	s_cmp_eq_u32 s7, 3
	s_cbranch_scc0 .LBB3_34
; %bb.31:
	v_max_f32_e32 v2, v1, v1
	v_min_f32_e32 v2, 0x40e00000, v2
	v_mul_f32_e32 v3, 0xbfd9db23, v2
	s_mov_b32 s2, 0x3fb8aa3b
	v_mul_f32_e32 v4, 0x3fb8aa3b, v3
	v_fma_f32 v5, v3, s2, -v4
	v_rndne_f32_e32 v6, v4
	v_fmac_f32_e32 v5, 0x32a5705f, v3
	v_sub_f32_e32 v4, v4, v6
	v_add_f32_e32 v4, v4, v5
	v_exp_f32_e32 v4, v4
	v_cvt_i32_f32_e32 v5, v6
	s_mov_b32 s2, 0xc2ce8ed0
	v_cmp_ngt_f32_e32 vcc, s2, v3
	s_mov_b32 s2, 0x42b17218
	v_ldexp_f32 v4, v4, v5
	v_cndmask_b32_e32 v4, 0, v4, vcc
	v_mov_b32_e32 v5, 0x7f800000
	v_cmp_nlt_f32_e32 vcc, s2, v3
	v_cndmask_b32_e32 v3, v5, v4, vcc
	v_add_f32_e32 v3, 1.0, v3
	v_div_scale_f32 v4, s[2:3], v3, v3, v2
	v_div_scale_f32 v5, vcc, v2, v3, v2
	s_mov_b64 s[2:3], 0
	v_rcp_f32_e32 v6, v4
	v_fma_f32 v7, -v4, v6, 1.0
	v_fmac_f32_e32 v6, v7, v6
	v_mul_f32_e32 v7, v5, v6
	v_fma_f32 v8, -v4, v7, v5
	v_fmac_f32_e32 v7, v8, v6
	v_fma_f32 v4, -v4, v7, v5
	v_div_fmas_f32 v4, v4, v6, v7
	v_max_f32_e32 v5, v0, v0
	v_min_f32_e32 v5, 0x40e00000, v5
	v_max_f32_e32 v5, 0xc0e00000, v5
	v_add_f32_e32 v5, 1.0, v5
	v_div_fixup_f32 v2, v4, v3, v2
	v_mul_f32_e32 v2, v5, v2
	s_branch .LBB3_35
.LBB3_32:
                                        ; implicit-def: $vgpr2
	s_mov_b64 s[2:3], 0
	s_cbranch_execnz .LBB3_39
	s_branch .LBB3_40
.LBB3_33:
	s_mov_b64 s[10:11], -1
	s_mov_b64 s[2:3], 0
                                        ; implicit-def: $vgpr2
	s_branch .LBB3_36
.LBB3_34:
	s_mov_b64 s[2:3], -1
                                        ; implicit-def: $vgpr2
.LBB3_35:
	s_mov_b64 s[10:11], 0
.LBB3_36:
	s_and_b64 vcc, exec, s[10:11]
	s_cbranch_vccz .LBB3_38
; %bb.37:
	v_mul_f32_e32 v2, 0xbfb8aa3b, v1
	s_mov_b32 s9, 0xbfb8aa3b
	v_rndne_f32_e32 v3, v2
	v_sub_f32_e32 v4, v2, v3
	v_fma_f32 v2, v1, s9, -v2
	v_fmac_f32_e32 v2, 0xb2a5705f, v1
	v_add_f32_e32 v2, v4, v2
	v_exp_f32_e32 v2, v2
	v_cvt_i32_f32_e32 v3, v3
	s_mov_b32 s9, 0x42ce8ed0
	v_cmp_nlt_f32_e32 vcc, s9, v1
	s_mov_b32 s9, 0xc2b17218
	v_ldexp_f32 v2, v2, v3
	v_cndmask_b32_e32 v2, 0, v2, vcc
	v_mov_b32_e32 v3, 0x7f800000
	v_cmp_ngt_f32_e32 vcc, s9, v1
	v_cndmask_b32_e32 v2, v3, v2, vcc
	v_add_f32_e32 v2, 1.0, v2
	v_div_scale_f32 v3, s[10:11], v2, v2, v1
	v_div_scale_f32 v4, vcc, v1, v2, v1
	v_rcp_f32_e32 v5, v3
	v_fma_f32 v6, -v3, v5, 1.0
	v_fmac_f32_e32 v5, v6, v5
	v_mul_f32_e32 v6, v4, v5
	v_fma_f32 v7, -v3, v6, v4
	v_fmac_f32_e32 v6, v7, v5
	v_fma_f32 v3, -v3, v6, v4
	v_div_fmas_f32 v3, v3, v5, v6
	v_div_fixup_f32 v2, v3, v2, v1
	v_mul_f32_e32 v2, v0, v2
.LBB3_38:
	s_branch .LBB3_40
.LBB3_39:
	s_cmp_lg_u32 s7, 1
	s_mov_b64 s[0:1], -1
	s_cselect_b64 s[2:3], -1, 0
.LBB3_40:
	s_andn2_b64 vcc, exec, s[2:3]
	s_cbranch_vccz .LBB3_42
; %bb.41:
	s_andn2_b64 vcc, exec, s[0:1]
	s_cbranch_vccz .LBB3_43
	s_branch .LBB3_48
.LBB3_42:
	v_mul_f32_e32 v2, v1, v0
	s_cbranch_execnz .LBB3_48
.LBB3_43:
	v_mul_f32_e32 v3, 0x3d372713, v1
	v_mul_f32_e32 v2, 0x3f4c422a, v1
	v_fma_f32 v3, v1, v3, 1.0
	v_mul_f32_e32 v2, v2, v3
	s_mov_b32 s0, 0x3f200000
	v_cmp_nlt_f32_e64 s[0:1], |v2|, s0
                                        ; implicit-def: $vgpr3
	s_and_saveexec_b64 s[2:3], s[0:1]
	s_xor_b64 s[0:1], exec, s[2:3]
	s_cbranch_execz .LBB3_45
; %bb.44:
	v_add_f32_e64 v3, |v2|, |v2|
	v_mul_f32_e32 v4, 0x3fb8aa3b, v3
	s_mov_b32 s2, 0x3fb8aa3b
	v_rndne_f32_e32 v5, v4
	v_sub_f32_e32 v6, v4, v5
	v_fma_f32 v4, v3, s2, -v4
	v_fmac_f32_e32 v4, 0x32a5705f, v3
	v_add_f32_e32 v4, v6, v4
	v_exp_f32_e32 v4, v4
	v_cvt_i32_f32_e32 v5, v5
	s_mov_b32 s2, 0xc2ce8ed0
	v_cmp_ngt_f32_e32 vcc, s2, v3
	s_mov_b32 s2, 0x42b17218
	v_ldexp_f32 v4, v4, v5
	v_cndmask_b32_e32 v4, 0, v4, vcc
	v_mov_b32_e32 v5, 0x7f800000
	v_cmp_nlt_f32_e32 vcc, s2, v3
	v_cndmask_b32_e32 v3, v5, v4, vcc
	v_add_f32_e32 v3, 1.0, v3
	v_rcp_f32_e32 v3, v3
	v_fma_f32 v3, v3, -2.0, 1.0
.LBB3_45:
	s_andn2_saveexec_b64 s[0:1], s[0:1]
	s_cbranch_execz .LBB3_47
; %bb.46:
	v_mul_f32_e32 v3, v2, v2
	v_mov_b32_e32 v4, 0x3ca908c9
	v_fmac_f32_e32 v4, 0xbbbac73d, v3
	v_mov_b32_e32 v5, 0xbd5c1c4e
	v_fmac_f32_e32 v5, v3, v4
	;; [unrolled: 2-line block ×4, first 2 shown]
	v_mul_f32_e64 v4, |v2|, v5
	v_fma_f32 v3, v3, v4, |v2|
.LBB3_47:
	s_or_b64 exec, exec, s[0:1]
	s_brev_b32 s0, -2
	v_bfi_b32 v2, s0, v3, v2
	v_mul_f32_e32 v1, 0.5, v1
	v_add_f32_e32 v2, 1.0, v2
	v_mul_f32_e32 v1, v1, v2
	v_mul_f32_e32 v2, v0, v1
.LBB3_48:
	v_mov_b32_e32 v0, v2
.LBB3_49:
	s_load_dwordx2 s[0:1], s[4:5], 0x38
	s_mul_i32 s3, s26, s34
	s_mul_i32 s2, s30, s8
	s_add_i32 s3, s3, s6
	s_add_i32 s2, s3, s2
	s_mov_b32 s3, 0
	s_lshl_b64 s[2:3], s[2:3], 2
	s_waitcnt lgkmcnt(0)
	s_add_u32 s0, s0, s2
	s_addc_u32 s1, s1, s3
	global_store_dword v12, v0, s[0:1]
.LBB3_50:
	s_endpgm
	.section	.rodata,"a",@progbits
	.p2align	6, 0x0
	.amdhsa_kernel _ZL13mul_mat_vec_qIL9ggml_type41ELi1ELb1ELb0EEvPKvS2_PKi31ggml_cuda_mm_fusion_args_devicePfj15HIP_vector_typeIjLj3EEjjjS8_jjjS8_jjjj
		.amdhsa_group_segment_fixed_size 512
		.amdhsa_private_segment_fixed_size 0
		.amdhsa_kernarg_size 144
		.amdhsa_user_sgpr_count 6
		.amdhsa_user_sgpr_private_segment_buffer 1
		.amdhsa_user_sgpr_dispatch_ptr 0
		.amdhsa_user_sgpr_queue_ptr 0
		.amdhsa_user_sgpr_kernarg_segment_ptr 1
		.amdhsa_user_sgpr_dispatch_id 0
		.amdhsa_user_sgpr_flat_scratch_init 0
		.amdhsa_user_sgpr_private_segment_size 0
		.amdhsa_uses_dynamic_stack 0
		.amdhsa_system_sgpr_private_segment_wavefront_offset 0
		.amdhsa_system_sgpr_workgroup_id_x 1
		.amdhsa_system_sgpr_workgroup_id_y 1
		.amdhsa_system_sgpr_workgroup_id_z 1
		.amdhsa_system_sgpr_workgroup_info 0
		.amdhsa_system_vgpr_workitem_id 1
		.amdhsa_next_free_vgpr 39
		.amdhsa_next_free_sgpr 44
		.amdhsa_reserve_vcc 1
		.amdhsa_reserve_flat_scratch 0
		.amdhsa_float_round_mode_32 0
		.amdhsa_float_round_mode_16_64 0
		.amdhsa_float_denorm_mode_32 3
		.amdhsa_float_denorm_mode_16_64 3
		.amdhsa_dx10_clamp 1
		.amdhsa_ieee_mode 1
		.amdhsa_fp16_overflow 0
		.amdhsa_exception_fp_ieee_invalid_op 0
		.amdhsa_exception_fp_denorm_src 0
		.amdhsa_exception_fp_ieee_div_zero 0
		.amdhsa_exception_fp_ieee_overflow 0
		.amdhsa_exception_fp_ieee_underflow 0
		.amdhsa_exception_fp_ieee_inexact 0
		.amdhsa_exception_int_div_zero 0
	.end_amdhsa_kernel
	.section	.text._ZL13mul_mat_vec_qIL9ggml_type41ELi1ELb1ELb0EEvPKvS2_PKi31ggml_cuda_mm_fusion_args_devicePfj15HIP_vector_typeIjLj3EEjjjS8_jjjS8_jjjj,"axG",@progbits,_ZL13mul_mat_vec_qIL9ggml_type41ELi1ELb1ELb0EEvPKvS2_PKi31ggml_cuda_mm_fusion_args_devicePfj15HIP_vector_typeIjLj3EEjjjS8_jjjS8_jjjj,comdat
.Lfunc_end3:
	.size	_ZL13mul_mat_vec_qIL9ggml_type41ELi1ELb1ELb0EEvPKvS2_PKi31ggml_cuda_mm_fusion_args_devicePfj15HIP_vector_typeIjLj3EEjjjS8_jjjS8_jjjj, .Lfunc_end3-_ZL13mul_mat_vec_qIL9ggml_type41ELi1ELb1ELb0EEvPKvS2_PKi31ggml_cuda_mm_fusion_args_devicePfj15HIP_vector_typeIjLj3EEjjjS8_jjjS8_jjjj
                                        ; -- End function
	.set _ZL13mul_mat_vec_qIL9ggml_type41ELi1ELb1ELb0EEvPKvS2_PKi31ggml_cuda_mm_fusion_args_devicePfj15HIP_vector_typeIjLj3EEjjjS8_jjjS8_jjjj.num_vgpr, 39
	.set _ZL13mul_mat_vec_qIL9ggml_type41ELi1ELb1ELb0EEvPKvS2_PKi31ggml_cuda_mm_fusion_args_devicePfj15HIP_vector_typeIjLj3EEjjjS8_jjjS8_jjjj.num_agpr, 0
	.set _ZL13mul_mat_vec_qIL9ggml_type41ELi1ELb1ELb0EEvPKvS2_PKi31ggml_cuda_mm_fusion_args_devicePfj15HIP_vector_typeIjLj3EEjjjS8_jjjS8_jjjj.numbered_sgpr, 44
	.set _ZL13mul_mat_vec_qIL9ggml_type41ELi1ELb1ELb0EEvPKvS2_PKi31ggml_cuda_mm_fusion_args_devicePfj15HIP_vector_typeIjLj3EEjjjS8_jjjS8_jjjj.num_named_barrier, 0
	.set _ZL13mul_mat_vec_qIL9ggml_type41ELi1ELb1ELb0EEvPKvS2_PKi31ggml_cuda_mm_fusion_args_devicePfj15HIP_vector_typeIjLj3EEjjjS8_jjjS8_jjjj.private_seg_size, 0
	.set _ZL13mul_mat_vec_qIL9ggml_type41ELi1ELb1ELb0EEvPKvS2_PKi31ggml_cuda_mm_fusion_args_devicePfj15HIP_vector_typeIjLj3EEjjjS8_jjjS8_jjjj.uses_vcc, 1
	.set _ZL13mul_mat_vec_qIL9ggml_type41ELi1ELb1ELb0EEvPKvS2_PKi31ggml_cuda_mm_fusion_args_devicePfj15HIP_vector_typeIjLj3EEjjjS8_jjjS8_jjjj.uses_flat_scratch, 0
	.set _ZL13mul_mat_vec_qIL9ggml_type41ELi1ELb1ELb0EEvPKvS2_PKi31ggml_cuda_mm_fusion_args_devicePfj15HIP_vector_typeIjLj3EEjjjS8_jjjS8_jjjj.has_dyn_sized_stack, 0
	.set _ZL13mul_mat_vec_qIL9ggml_type41ELi1ELb1ELb0EEvPKvS2_PKi31ggml_cuda_mm_fusion_args_devicePfj15HIP_vector_typeIjLj3EEjjjS8_jjjS8_jjjj.has_recursion, 0
	.set _ZL13mul_mat_vec_qIL9ggml_type41ELi1ELb1ELb0EEvPKvS2_PKi31ggml_cuda_mm_fusion_args_devicePfj15HIP_vector_typeIjLj3EEjjjS8_jjjS8_jjjj.has_indirect_call, 0
	.section	.AMDGPU.csdata,"",@progbits
; Kernel info:
; codeLenInByte = 3528
; TotalNumSgprs: 48
; NumVgprs: 39
; ScratchSize: 0
; MemoryBound: 0
; FloatMode: 240
; IeeeMode: 1
; LDSByteSize: 512 bytes/workgroup (compile time only)
; SGPRBlocks: 5
; VGPRBlocks: 9
; NumSGPRsForWavesPerEU: 48
; NumVGPRsForWavesPerEU: 39
; Occupancy: 6
; WaveLimiterHint : 0
; COMPUTE_PGM_RSRC2:SCRATCH_EN: 0
; COMPUTE_PGM_RSRC2:USER_SGPR: 6
; COMPUTE_PGM_RSRC2:TRAP_HANDLER: 0
; COMPUTE_PGM_RSRC2:TGID_X_EN: 1
; COMPUTE_PGM_RSRC2:TGID_Y_EN: 1
; COMPUTE_PGM_RSRC2:TGID_Z_EN: 1
; COMPUTE_PGM_RSRC2:TIDIG_COMP_CNT: 1
	.section	.text._ZL13mul_mat_vec_qIL9ggml_type41ELi1ELb0ELb0EEvPKvS2_PKi31ggml_cuda_mm_fusion_args_devicePfj15HIP_vector_typeIjLj3EEjjjS8_jjjS8_jjjj,"axG",@progbits,_ZL13mul_mat_vec_qIL9ggml_type41ELi1ELb0ELb0EEvPKvS2_PKi31ggml_cuda_mm_fusion_args_devicePfj15HIP_vector_typeIjLj3EEjjjS8_jjjS8_jjjj,comdat
	.globl	_ZL13mul_mat_vec_qIL9ggml_type41ELi1ELb0ELb0EEvPKvS2_PKi31ggml_cuda_mm_fusion_args_devicePfj15HIP_vector_typeIjLj3EEjjjS8_jjjS8_jjjj ; -- Begin function _ZL13mul_mat_vec_qIL9ggml_type41ELi1ELb0ELb0EEvPKvS2_PKi31ggml_cuda_mm_fusion_args_devicePfj15HIP_vector_typeIjLj3EEjjjS8_jjjS8_jjjj
	.p2align	8
	.type	_ZL13mul_mat_vec_qIL9ggml_type41ELi1ELb0ELb0EEvPKvS2_PKi31ggml_cuda_mm_fusion_args_devicePfj15HIP_vector_typeIjLj3EEjjjS8_jjjS8_jjjj,@function
_ZL13mul_mat_vec_qIL9ggml_type41ELi1ELb0ELb0EEvPKvS2_PKi31ggml_cuda_mm_fusion_args_devicePfj15HIP_vector_typeIjLj3EEjjjS8_jjjS8_jjjj: ; @_ZL13mul_mat_vec_qIL9ggml_type41ELi1ELb0ELb0EEvPKvS2_PKi31ggml_cuda_mm_fusion_args_devicePfj15HIP_vector_typeIjLj3EEjjjS8_jjjS8_jjjj
; %bb.0:
	s_load_dwordx2 s[0:1], s[4:5], 0x10
	s_load_dwordx4 s[16:19], s[4:5], 0x40
	s_mov_b32 s10, s7
	s_mov_b64 s[14:15], 0
	s_waitcnt lgkmcnt(0)
	s_cmp_lg_u64 s[0:1], 0
	s_cselect_b64 s[12:13], -1, 0
	s_cmp_eq_u64 s[0:1], 0
	s_cbranch_scc1 .LBB4_5
; %bb.1:
	s_mov_b32 s11, 0
	s_lshl_b64 s[2:3], s[10:11], 2
	s_add_u32 s0, s0, s2
	s_addc_u32 s1, s1, s3
	s_load_dword s9, s[0:1], 0x0
	s_nop 0
	s_load_dwordx4 s[0:3], s[4:5], 0x68
	s_load_dword s11, s[4:5], 0x50
	s_andn2_b64 vcc, exec, s[14:15]
	s_cbranch_vccnz .LBB4_3
.LBB4_2:
	s_load_dwordx2 s[14:15], s[4:5], 0x5c
	s_waitcnt lgkmcnt(0)
	s_mul_hi_u32 s7, s14, s10
	s_add_i32 s7, s10, s7
	s_lshr_b32 s9, s7, s15
.LBB4_3:
	s_load_dword s22, s[4:5], 0x78
	s_andn2_b64 vcc, exec, s[12:13]
	s_cbranch_vccnz .LBB4_6
; %bb.4:
	s_mul_hi_u32 s7, s17, s10
	s_add_i32 s7, s10, s7
	s_lshr_b32 s7, s7, s18
	s_mul_i32 s7, s7, s19
	s_sub_i32 s23, s10, s7
	s_branch .LBB4_7
.LBB4_5:
                                        ; implicit-def: $sgpr9
	s_load_dwordx4 s[0:3], s[4:5], 0x68
	s_load_dword s11, s[4:5], 0x50
	s_branch .LBB4_2
.LBB4_6:
	s_mov_b32 s23, s10
.LBB4_7:
	s_load_dwordx4 s[12:15], s[4:5], 0x80
	v_lshl_add_u32 v2, v1, 6, v0
	s_lshr_b32 s7, s16, 7
	v_lshrrev_b32_e32 v5, 2, v2
	v_cmp_gt_u32_e32 vcc, s7, v5
	v_mov_b32_e32 v4, 0
	s_and_saveexec_b64 s[20:21], vcc
	s_cbranch_execz .LBB4_11
; %bb.8:
	s_waitcnt lgkmcnt(0)
	s_mul_i32 s9, s9, s0
	s_mul_hi_u32 s0, s3, s8
	s_add_i32 s0, s8, s0
	s_lshr_b32 s0, s0, s22
	s_mul_i32 s3, s0, s12
	s_mul_i32 s0, s23, s1
	s_mul_hi_u32 s1, s0, 36
	s_mul_i32 s0, s0, 36
	v_lshrrev_b32_e32 v4, 2, v2
	v_mov_b32_e32 v2, s0
	v_mov_b32_e32 v3, s1
	s_movk_i32 s0, 0x90
	v_mad_u64_u32 v[2:3], s[0:1], v4, s0, v[2:3]
	s_mul_i32 s12, s13, s8
	s_load_dwordx4 s[16:19], s[4:5], 0x0
	v_mad_u64_u32 v[2:3], s[0:1], s12, 36, v[2:3]
	v_and_b32_e32 v4, 3, v0
	s_mul_i32 s11, s11, s6
	v_mad_u64_u32 v[2:3], s[0:1], v4, 36, v[2:3]
	s_waitcnt lgkmcnt(0)
	v_mov_b32_e32 v7, s19
	s_add_i32 s3, s3, s11
	v_add_co_u32_e32 v2, vcc, s18, v2
	v_addc_co_u32_e32 v3, vcc, v7, v3, vcc
	v_add_co_u32_e32 v2, vcc, 32, v2
	s_add_i32 s3, s9, s3
	v_lshlrev_b32_e32 v6, 2, v4
	v_mov_b32_e32 v4, 0
	v_addc_co_u32_e32 v3, vcc, 0, v3, vcc
	s_mov_b64 s[12:13], 0
	v_mov_b32_e32 v7, 0xff
	v_mov_b32_e32 v8, 0x10000
	;; [unrolled: 1-line block ×5, first 2 shown]
	s_movk_i32 s9, 0x200
.LBB4_9:                                ; =>This Inner Loop Header: Depth=1
	v_add_u32_e32 v16, s3, v5
	v_mad_i64_i32 v[16:17], s[0:1], v16, 18, s[16:17]
	global_load_dwordx4 v[12:15], v[2:3], off offset:-32
	v_add_u32_e32 v5, 32, v5
	v_add_co_u32_e32 v18, vcc, v16, v6
	v_addc_co_u32_e32 v19, vcc, 0, v17, vcc
	global_load_dword v20, v[18:19], off offset:2
	global_load_ushort v21, v[16:17], off
	s_waitcnt vmcnt(2)
	v_cvt_f32_f16_e32 v12, v12
	s_waitcnt vmcnt(1)
	v_and_b32_e32 v16, 1, v20
	v_cmp_eq_u32_e64 s[0:1], 0, v16
	v_and_b32_e32 v17, 4, v20
	v_and_b32_e32 v18, 8, v20
	v_lshlrev_b32_e32 v19, 8, v20
	v_cndmask_b32_e64 v16, 1, v7, s[0:1]
	v_and_b32_e32 v22, 16, v20
	v_cmp_eq_u32_e32 vcc, 0, v18
	v_cmp_eq_u32_e64 s[0:1], 0, v17
	v_and_or_b32 v16, v19, s9, v16
	v_and_b32_e32 v23, 64, v20
	v_cndmask_b32_e64 v17, v8, v9, s[0:1]
	v_cndmask_b32_e32 v19, v10, v11, vcc
	v_add_u32_e32 v16, 0xff00, v16
	v_cmp_eq_u32_e32 vcc, 0, v22
	v_and_b32_e32 v24, 0x80, v20
	v_or3_b32 v26, v19, v17, v16
	v_cndmask_b32_e32 v19, 1, v7, vcc
	v_cmp_eq_u32_e32 vcc, 0, v23
	v_lshlrev_b32_e32 v25, 4, v20
	v_and_b32_e32 v18, 0x100, v20
	v_cndmask_b32_e32 v22, v8, v9, vcc
	v_cmp_eq_u32_e32 vcc, 0, v24
	v_and_b32_e32 v17, 0x400, v20
	v_cndmask_b32_e32 v23, v10, v11, vcc
	v_cmp_eq_u32_e32 vcc, 0, v18
	v_and_or_b32 v19, v25, s9, v19
	v_and_b32_e32 v16, 0x800, v20
	v_cndmask_b32_e32 v18, 1, v7, vcc
	v_cmp_eq_u32_e32 vcc, 0, v17
	v_add_u32_e32 v19, 0xff00, v19
	v_cndmask_b32_e32 v17, v8, v9, vcc
	v_cmp_eq_u32_e32 vcc, 0, v16
	v_and_or_b32 v18, v20, s9, v18
	v_or3_b32 v22, v23, v22, v19
	v_dot4_i32_i8 v13, v26, v13, 0
	v_cndmask_b32_e32 v16, v10, v11, vcc
	v_add_u32_e32 v18, 0xff00, v18
	v_dot4_i32_i8 v13, v22, v14, v13
	v_and_b32_e32 v14, 0x1000, v20
	v_or3_b32 v23, v16, v17, v18
	v_cmp_eq_u32_e64 s[0:1], 0, v14
	v_dot4_i32_i8 v13, v23, v15, v13
	v_and_b32_e32 v15, 0x4000, v20
	v_and_b32_e32 v22, 0x8000, v20
	v_lshrrev_b32_e32 v23, 4, v20
	v_cndmask_b32_e64 v14, 1, v7, s[0:1]
	v_and_b32_e32 v24, 0x10000, v20
	v_cmp_eq_u32_e32 vcc, 0, v22
	v_cmp_eq_u32_e64 s[0:1], 0, v15
	v_and_or_b32 v14, v23, s9, v14
	v_cndmask_b32_e64 v15, v8, v9, s[0:1]
	v_cndmask_b32_e32 v23, v10, v11, vcc
	v_add_u32_e32 v14, 0xff00, v14
	v_cmp_eq_u32_e64 s[0:1], 0, v24
	v_and_b32_e32 v25, 0x40000, v20
	v_and_b32_e32 v22, 0x80000, v20
	v_or3_b32 v14, v23, v15, v14
	v_lshrrev_b32_e32 v15, 8, v20
	v_cndmask_b32_e64 v24, 1, v7, s[0:1]
	v_and_b32_e32 v23, 0x100000, v20
	v_cmp_eq_u32_e32 vcc, 0, v22
	v_cmp_eq_u32_e64 s[0:1], 0, v25
	v_and_or_b32 v15, v15, s9, v24
	v_cndmask_b32_e64 v25, v8, v9, s[0:1]
	v_cndmask_b32_e32 v24, v10, v11, vcc
	v_add_u32_e32 v15, 0xff00, v15
	v_cmp_eq_u32_e64 s[0:1], 0, v23
	v_and_b32_e32 v22, 0x400000, v20
	v_or3_b32 v15, v24, v25, v15
	v_and_b32_e32 v24, 0x800000, v20
	v_lshrrev_b32_e32 v25, 12, v20
	v_cndmask_b32_e64 v23, 1, v7, s[0:1]
	v_cmp_eq_u32_e32 vcc, 0, v24
	v_cmp_eq_u32_e64 s[0:1], 0, v22
	v_and_or_b32 v23, v25, s9, v23
	v_and_b32_e32 v24, 0x1000000, v20
	v_cndmask_b32_e64 v22, v8, v9, s[0:1]
	v_cndmask_b32_e32 v25, v10, v11, vcc
	v_add_u32_e32 v23, 0xff00, v23
	v_or3_b32 v22, v25, v22, v23
	v_and_b32_e32 v25, 0x8000000, v20
	v_cmp_eq_u32_e64 s[0:1], 0, v24
	v_and_b32_e32 v23, 0x4000000, v20
	v_cmp_eq_u32_e32 vcc, 0, v25
	v_lshrrev_b32_e32 v25, 16, v20
	v_cndmask_b32_e64 v24, 1, v7, s[0:1]
	v_cmp_eq_u32_e64 s[0:1], 0, v23
	v_and_or_b32 v24, v25, s9, v24
	v_cndmask_b32_e64 v23, v8, v9, s[0:1]
	v_cndmask_b32_e32 v25, v10, v11, vcc
	v_add_u32_e32 v24, 0xff00, v24
	v_or3_b32 v23, v25, v23, v24
	v_and_b32_e32 v24, 0x10000000, v20
	global_load_dwordx4 v[16:19], v[2:3], off offset:-16
	v_and_b32_e32 v25, 2.0, v20
	v_ashrrev_i32_e32 v20, 28, v20
	v_cmp_eq_u32_e64 s[0:1], 0, v24
	v_cmp_eq_u32_e32 vcc, 0, v25
	v_and_b32_e32 v25, 8, v20
	v_lshlrev_b32_e32 v20, 8, v20
	v_cndmask_b32_e64 v24, 1, v7, s[0:1]
	v_and_or_b32 v20, v20, s9, v24
	v_cndmask_b32_e32 v24, v8, v9, vcc
	v_cmp_eq_u32_e32 vcc, 0, v25
	v_cndmask_b32_e32 v25, v10, v11, vcc
	v_add_u32_e32 v20, 0xff00, v20
	v_or3_b32 v20, v25, v24, v20
	global_load_dword v24, v[2:3], off
	s_waitcnt vmcnt(2)
	v_cvt_f32_f16_e32 v21, v21
	v_add_co_u32_e32 v2, vcc, 0x1200, v2
	v_addc_co_u32_e32 v3, vcc, 0, v3, vcc
	v_cmp_le_u32_e32 vcc, s7, v5
	v_mul_f32_e32 v12, v21, v12
	s_or_b64 s[12:13], vcc, s[12:13]
	s_waitcnt vmcnt(1)
	v_dot4_i32_i8 v13, v14, v16, v13
	v_dot4_i32_i8 v13, v15, v17, v13
	;; [unrolled: 1-line block ×4, first 2 shown]
	s_waitcnt vmcnt(0)
	v_dot4_i32_i8 v13, v20, v24, v13
	v_cvt_f32_i32_e32 v13, v13
	v_fmac_f32_e32 v4, v12, v13
	s_andn2_b64 exec, exec, s[12:13]
	s_cbranch_execnz .LBB4_9
; %bb.10:
	s_or_b64 exec, exec, s[12:13]
.LBB4_11:
	s_or_b64 exec, exec, s[20:21]
	v_cmp_eq_u32_e32 vcc, 0, v1
	s_waitcnt lgkmcnt(0)
	v_cmp_ne_u32_e64 s[0:1], 0, v1
	v_lshlrev_b32_e32 v2, 2, v0
	s_and_saveexec_b64 s[12:13], s[0:1]
; %bb.12:
	v_lshlrev_b32_e32 v1, 8, v1
	s_movk_i32 s0, 0xff00
	v_add3_u32 v1, v1, v2, s0
	ds_write_b32 v1, v4
; %bb.13:
	s_or_b64 exec, exec, s[12:13]
	s_waitcnt lgkmcnt(0)
	s_barrier
	s_and_saveexec_b64 s[0:1], vcc
	s_cbranch_execz .LBB4_16
; %bb.14:
	ds_read_b32 v1, v2
	v_mbcnt_lo_u32_b32 v2, -1, 0
	v_mbcnt_hi_u32_b32 v2, -1, v2
	v_and_b32_e32 v3, 64, v2
	v_add_u32_e32 v3, 64, v3
	v_xor_b32_e32 v5, 32, v2
	v_cmp_lt_i32_e32 vcc, v5, v3
	v_cndmask_b32_e32 v5, v2, v5, vcc
	v_lshlrev_b32_e32 v5, 2, v5
	s_waitcnt lgkmcnt(0)
	v_add_f32_e32 v1, v4, v1
	ds_bpermute_b32 v4, v5, v1
	v_xor_b32_e32 v5, 16, v2
	v_cmp_lt_i32_e32 vcc, v5, v3
	v_cndmask_b32_e32 v5, v2, v5, vcc
	v_lshlrev_b32_e32 v5, 2, v5
	s_waitcnt lgkmcnt(0)
	v_add_f32_e32 v1, v1, v4
	ds_bpermute_b32 v4, v5, v1
	;; [unrolled: 7-line block ×6, first 2 shown]
	s_mov_b32 s1, 0
	v_cmp_eq_u32_e32 vcc, 0, v0
	s_and_b64 exec, exec, vcc
	s_cbranch_execz .LBB4_16
; %bb.15:
	s_load_dwordx2 s[4:5], s[4:5], 0x38
	s_mul_i32 s0, s2, s10
	s_add_i32 s0, s0, s6
	s_mul_i32 s2, s14, s8
	s_add_i32 s0, s0, s2
	s_lshl_b64 s[0:1], s[0:1], 2
	s_waitcnt lgkmcnt(0)
	s_add_u32 s0, s4, s0
	v_add_f32_e32 v0, v1, v2
	s_addc_u32 s1, s5, s1
	v_mov_b32_e32 v1, 0
	global_store_dword v1, v0, s[0:1]
.LBB4_16:
	s_endpgm
	.section	.rodata,"a",@progbits
	.p2align	6, 0x0
	.amdhsa_kernel _ZL13mul_mat_vec_qIL9ggml_type41ELi1ELb0ELb0EEvPKvS2_PKi31ggml_cuda_mm_fusion_args_devicePfj15HIP_vector_typeIjLj3EEjjjS8_jjjS8_jjjj
		.amdhsa_group_segment_fixed_size 256
		.amdhsa_private_segment_fixed_size 0
		.amdhsa_kernarg_size 144
		.amdhsa_user_sgpr_count 6
		.amdhsa_user_sgpr_private_segment_buffer 1
		.amdhsa_user_sgpr_dispatch_ptr 0
		.amdhsa_user_sgpr_queue_ptr 0
		.amdhsa_user_sgpr_kernarg_segment_ptr 1
		.amdhsa_user_sgpr_dispatch_id 0
		.amdhsa_user_sgpr_flat_scratch_init 0
		.amdhsa_user_sgpr_private_segment_size 0
		.amdhsa_uses_dynamic_stack 0
		.amdhsa_system_sgpr_private_segment_wavefront_offset 0
		.amdhsa_system_sgpr_workgroup_id_x 1
		.amdhsa_system_sgpr_workgroup_id_y 1
		.amdhsa_system_sgpr_workgroup_id_z 1
		.amdhsa_system_sgpr_workgroup_info 0
		.amdhsa_system_vgpr_workitem_id 1
		.amdhsa_next_free_vgpr 27
		.amdhsa_next_free_sgpr 24
		.amdhsa_reserve_vcc 1
		.amdhsa_reserve_flat_scratch 0
		.amdhsa_float_round_mode_32 0
		.amdhsa_float_round_mode_16_64 0
		.amdhsa_float_denorm_mode_32 3
		.amdhsa_float_denorm_mode_16_64 3
		.amdhsa_dx10_clamp 1
		.amdhsa_ieee_mode 1
		.amdhsa_fp16_overflow 0
		.amdhsa_exception_fp_ieee_invalid_op 0
		.amdhsa_exception_fp_denorm_src 0
		.amdhsa_exception_fp_ieee_div_zero 0
		.amdhsa_exception_fp_ieee_overflow 0
		.amdhsa_exception_fp_ieee_underflow 0
		.amdhsa_exception_fp_ieee_inexact 0
		.amdhsa_exception_int_div_zero 0
	.end_amdhsa_kernel
	.section	.text._ZL13mul_mat_vec_qIL9ggml_type41ELi1ELb0ELb0EEvPKvS2_PKi31ggml_cuda_mm_fusion_args_devicePfj15HIP_vector_typeIjLj3EEjjjS8_jjjS8_jjjj,"axG",@progbits,_ZL13mul_mat_vec_qIL9ggml_type41ELi1ELb0ELb0EEvPKvS2_PKi31ggml_cuda_mm_fusion_args_devicePfj15HIP_vector_typeIjLj3EEjjjS8_jjjS8_jjjj,comdat
.Lfunc_end4:
	.size	_ZL13mul_mat_vec_qIL9ggml_type41ELi1ELb0ELb0EEvPKvS2_PKi31ggml_cuda_mm_fusion_args_devicePfj15HIP_vector_typeIjLj3EEjjjS8_jjjS8_jjjj, .Lfunc_end4-_ZL13mul_mat_vec_qIL9ggml_type41ELi1ELb0ELb0EEvPKvS2_PKi31ggml_cuda_mm_fusion_args_devicePfj15HIP_vector_typeIjLj3EEjjjS8_jjjS8_jjjj
                                        ; -- End function
	.set _ZL13mul_mat_vec_qIL9ggml_type41ELi1ELb0ELb0EEvPKvS2_PKi31ggml_cuda_mm_fusion_args_devicePfj15HIP_vector_typeIjLj3EEjjjS8_jjjS8_jjjj.num_vgpr, 27
	.set _ZL13mul_mat_vec_qIL9ggml_type41ELi1ELb0ELb0EEvPKvS2_PKi31ggml_cuda_mm_fusion_args_devicePfj15HIP_vector_typeIjLj3EEjjjS8_jjjS8_jjjj.num_agpr, 0
	.set _ZL13mul_mat_vec_qIL9ggml_type41ELi1ELb0ELb0EEvPKvS2_PKi31ggml_cuda_mm_fusion_args_devicePfj15HIP_vector_typeIjLj3EEjjjS8_jjjS8_jjjj.numbered_sgpr, 24
	.set _ZL13mul_mat_vec_qIL9ggml_type41ELi1ELb0ELb0EEvPKvS2_PKi31ggml_cuda_mm_fusion_args_devicePfj15HIP_vector_typeIjLj3EEjjjS8_jjjS8_jjjj.num_named_barrier, 0
	.set _ZL13mul_mat_vec_qIL9ggml_type41ELi1ELb0ELb0EEvPKvS2_PKi31ggml_cuda_mm_fusion_args_devicePfj15HIP_vector_typeIjLj3EEjjjS8_jjjS8_jjjj.private_seg_size, 0
	.set _ZL13mul_mat_vec_qIL9ggml_type41ELi1ELb0ELb0EEvPKvS2_PKi31ggml_cuda_mm_fusion_args_devicePfj15HIP_vector_typeIjLj3EEjjjS8_jjjS8_jjjj.uses_vcc, 1
	.set _ZL13mul_mat_vec_qIL9ggml_type41ELi1ELb0ELb0EEvPKvS2_PKi31ggml_cuda_mm_fusion_args_devicePfj15HIP_vector_typeIjLj3EEjjjS8_jjjS8_jjjj.uses_flat_scratch, 0
	.set _ZL13mul_mat_vec_qIL9ggml_type41ELi1ELb0ELb0EEvPKvS2_PKi31ggml_cuda_mm_fusion_args_devicePfj15HIP_vector_typeIjLj3EEjjjS8_jjjS8_jjjj.has_dyn_sized_stack, 0
	.set _ZL13mul_mat_vec_qIL9ggml_type41ELi1ELb0ELb0EEvPKvS2_PKi31ggml_cuda_mm_fusion_args_devicePfj15HIP_vector_typeIjLj3EEjjjS8_jjjS8_jjjj.has_recursion, 0
	.set _ZL13mul_mat_vec_qIL9ggml_type41ELi1ELb0ELb0EEvPKvS2_PKi31ggml_cuda_mm_fusion_args_devicePfj15HIP_vector_typeIjLj3EEjjjS8_jjjS8_jjjj.has_indirect_call, 0
	.section	.AMDGPU.csdata,"",@progbits
; Kernel info:
; codeLenInByte = 1648
; TotalNumSgprs: 28
; NumVgprs: 27
; ScratchSize: 0
; MemoryBound: 0
; FloatMode: 240
; IeeeMode: 1
; LDSByteSize: 256 bytes/workgroup (compile time only)
; SGPRBlocks: 3
; VGPRBlocks: 6
; NumSGPRsForWavesPerEU: 28
; NumVGPRsForWavesPerEU: 27
; Occupancy: 9
; WaveLimiterHint : 0
; COMPUTE_PGM_RSRC2:SCRATCH_EN: 0
; COMPUTE_PGM_RSRC2:USER_SGPR: 6
; COMPUTE_PGM_RSRC2:TRAP_HANDLER: 0
; COMPUTE_PGM_RSRC2:TGID_X_EN: 1
; COMPUTE_PGM_RSRC2:TGID_Y_EN: 1
; COMPUTE_PGM_RSRC2:TGID_Z_EN: 1
; COMPUTE_PGM_RSRC2:TIDIG_COMP_CNT: 1
	.section	.text._ZL13mul_mat_vec_qIL9ggml_type41ELi2ELb0ELb0EEvPKvS2_PKi31ggml_cuda_mm_fusion_args_devicePfj15HIP_vector_typeIjLj3EEjjjS8_jjjS8_jjjj,"axG",@progbits,_ZL13mul_mat_vec_qIL9ggml_type41ELi2ELb0ELb0EEvPKvS2_PKi31ggml_cuda_mm_fusion_args_devicePfj15HIP_vector_typeIjLj3EEjjjS8_jjjS8_jjjj,comdat
	.globl	_ZL13mul_mat_vec_qIL9ggml_type41ELi2ELb0ELb0EEvPKvS2_PKi31ggml_cuda_mm_fusion_args_devicePfj15HIP_vector_typeIjLj3EEjjjS8_jjjS8_jjjj ; -- Begin function _ZL13mul_mat_vec_qIL9ggml_type41ELi2ELb0ELb0EEvPKvS2_PKi31ggml_cuda_mm_fusion_args_devicePfj15HIP_vector_typeIjLj3EEjjjS8_jjjS8_jjjj
	.p2align	8
	.type	_ZL13mul_mat_vec_qIL9ggml_type41ELi2ELb0ELb0EEvPKvS2_PKi31ggml_cuda_mm_fusion_args_devicePfj15HIP_vector_typeIjLj3EEjjjS8_jjjS8_jjjj,@function
_ZL13mul_mat_vec_qIL9ggml_type41ELi2ELb0ELb0EEvPKvS2_PKi31ggml_cuda_mm_fusion_args_devicePfj15HIP_vector_typeIjLj3EEjjjS8_jjjS8_jjjj: ; @_ZL13mul_mat_vec_qIL9ggml_type41ELi2ELb0ELb0EEvPKvS2_PKi31ggml_cuda_mm_fusion_args_devicePfj15HIP_vector_typeIjLj3EEjjjS8_jjjS8_jjjj
; %bb.0:
	v_lshl_add_u32 v2, v1, 6, v0
	s_load_dword s2, s[4:5], 0x40
	s_load_dwordx4 s[48:51], s[4:5], 0x50
	s_load_dword s1, s[4:5], 0x60
	s_load_dwordx4 s[52:55], s[4:5], 0x68
	;; [unrolled: 2-line block ×3, first 2 shown]
	s_waitcnt lgkmcnt(0)
	s_lshr_b32 s9, s2, 7
	v_lshrrev_b32_e32 v14, 2, v2
	s_lshl_b32 s6, s6, 1
	v_cmp_gt_u32_e32 vcc, s9, v14
	v_mov_b32_e32 v11, 0
	v_mov_b32_e32 v12, 0
	;; [unrolled: 1-line block ×4, first 2 shown]
	s_and_saveexec_b64 s[64:65], vcc
	s_cbranch_execz .LBB5_4
; %bb.1:
	s_mul_hi_u32 s2, s51, s7
	s_load_dwordx4 s[60:63], s[4:5], 0x0
	s_add_i32 s2, s7, s2
	s_lshr_b32 s1, s2, s1
	s_mul_i32 s10, s1, s52
	s_mul_hi_u32 s1, s55, s8
	s_add_i32 s1, s8, s1
	s_mul_i32 s12, s57, s8
	s_lshr_b32 s0, s1, s0
	s_mul_i32 s1, s12, 36
	s_mul_i32 s11, s0, s56
	s_mul_hi_u32 s0, s12, 36
	s_waitcnt lgkmcnt(0)
	s_add_u32 s2, s62, s1
	s_addc_u32 s3, s63, s0
	s_mul_i32 s0, s53, s7
	s_mul_hi_u32 s1, s0, 36
	s_mul_i32 s0, s0, 36
	s_add_u32 s2, s2, s0
	s_addc_u32 s3, s3, s1
	v_and_b32_e32 v6, 3, v0
	v_mad_u64_u32 v[2:3], s[2:3], v6, 36, s[2:3]
	v_mov_b32_e32 v5, s1
	s_movk_i32 s3, 0x90
	v_mov_b32_e32 v4, s0
	v_mad_u64_u32 v[4:5], s[0:1], v14, s3, v[4:5]
	s_add_i32 s51, s11, s10
	s_mul_i32 s2, s6, s48
	v_mad_u64_u32 v[4:5], s[0:1], s12, 36, v[4:5]
	s_add_i32 s33, s51, s2
	s_add_i32 s2, s6, 1
	s_mul_i32 s0, s48, s2
	s_add_i32 s51, s51, s0
	v_mad_u64_u32 v[4:5], s[0:1], v6, 36, v[4:5]
	v_lshlrev_b32_e32 v15, 2, v6
	v_mov_b32_e32 v6, s63
	v_add_co_u32_e32 v4, vcc, s62, v4
	v_addc_co_u32_e32 v5, vcc, v6, v5, vcc
	v_add_co_u32_e32 v4, vcc, 32, v4
	v_mov_b32_e32 v10, 0
	v_lshl_add_u32 v16, v14, 2, s49
	v_addc_co_u32_e32 v5, vcc, 0, v5, vcc
	s_mov_b64 s[48:49], 0
	v_mov_b32_e32 v17, 0xff
	v_mov_b32_e32 v18, 0x10000
	;; [unrolled: 1-line block ×4, first 2 shown]
	s_movk_i32 s52, 0x200
	v_mov_b32_e32 v21, 0xff000000
	v_mov_b32_e32 v11, 0
	v_mov_b32_e32 v12, 0
	v_mov_b32_e32 v13, 0
.LBB5_2:                                ; =>This Inner Loop Header: Depth=1
	v_add_u32_e32 v6, s33, v14
	v_mad_i64_i32 v[6:7], s[0:1], v6, 18, s[60:61]
	v_add_u32_e32 v23, s51, v14
	v_add_u32_e32 v14, 32, v14
	v_add_co_u32_e32 v8, vcc, v6, v15
	v_addc_co_u32_e32 v9, vcc, 0, v7, vcc
	global_load_dword v22, v[8:9], off offset:2
	s_waitcnt vmcnt(0)
	v_and_b32_e32 v9, 4, v22
	v_cmp_eq_u32_e64 s[0:1], 0, v9
	v_and_b32_e32 v9, 0x100, v22
	v_and_b32_e32 v8, 1, v22
	;; [unrolled: 1-line block ×4, first 2 shown]
	v_cmp_eq_u32_e64 s[20:21], 0, v9
	v_and_b32_e32 v9, 0x80000, v22
	v_cmp_eq_u32_e32 vcc, 0, v8
	v_cmp_eq_u32_e64 s[10:11], 0, v26
	v_and_b32_e32 v26, 0x4000, v22
	v_cmp_eq_u32_e64 s[12:13], 0, v27
	v_and_b32_e32 v27, 0x8000, v22
	;; [unrolled: 2-line block ×3, first 2 shown]
	v_and_b32_e32 v24, 8, v22
	v_lshlrev_b32_e32 v25, 8, v22
	v_cmp_eq_u32_e64 s[24:25], 0, v26
	v_and_b32_e32 v26, 0x100000, v22
	v_cmp_eq_u32_e64 s[26:27], 0, v27
	v_and_b32_e32 v27, 0x400000, v22
	v_cmp_eq_u32_e64 s[42:43], 0, v9
	v_cndmask_b32_e32 v9, 1, v17, vcc
	v_and_b32_e32 v28, 0x80, v22
	v_lshlrev_b32_e32 v29, 4, v22
	v_cmp_eq_u32_e64 s[2:3], 0, v24
	v_cmp_eq_u32_e64 s[36:37], 0, v26
	v_and_b32_e32 v26, 0x4000000, v22
	v_cmp_eq_u32_e64 s[38:39], 0, v27
	v_and_b32_e32 v27, 0x8000000, v22
	v_and_or_b32 v9, v25, s52, v9
	v_cndmask_b32_e64 v25, 1, v17, s[10:11]
	v_cmp_eq_u32_e64 s[14:15], 0, v28
	v_cmp_eq_u32_e64 s[44:45], 0, v26
	;; [unrolled: 1-line block ×3, first 2 shown]
	v_cndmask_b32_e64 v26, v18, v19, s[0:1]
	v_cndmask_b32_e64 v27, v20, v21, s[2:3]
	v_add_u32_e32 v9, 0xff00, v9
	v_and_or_b32 v25, v29, s52, v25
	v_and_b32_e32 v30, 0x400, v22
	v_and_b32_e32 v8, 0x800, v22
	v_or3_b32 v31, v27, v26, v9
	v_cndmask_b32_e64 v9, v18, v19, s[12:13]
	v_cndmask_b32_e64 v26, v20, v21, s[14:15]
	;; [unrolled: 1-line block ×3, first 2 shown]
	v_add_u32_e32 v25, 0xff00, v25
	v_and_b32_e32 v24, 0x1000, v22
	v_cmp_eq_u32_e64 s[16:17], 0, v30
	v_cmp_eq_u32_e64 s[18:19], 0, v8
	v_or3_b32 v32, v26, v9, v25
	v_and_or_b32 v26, v22, s52, v27
	v_cmp_eq_u32_e64 s[22:23], 0, v24
	v_cndmask_b32_e64 v9, v18, v19, s[16:17]
	v_cndmask_b32_e64 v25, v20, v21, s[18:19]
	v_add_u32_e32 v26, 0xff00, v26
	v_lshrrev_b32_e32 v28, 4, v22
	v_or3_b32 v33, v25, v9, v26
	v_cndmask_b32_e64 v9, 1, v17, s[22:23]
	v_and_b32_e32 v30, 0x10000, v22
	v_and_or_b32 v9, v28, s52, v9
	v_cmp_eq_u32_e64 s[28:29], 0, v30
	v_cndmask_b32_e64 v25, v18, v19, s[24:25]
	v_cndmask_b32_e64 v26, v20, v21, s[26:27]
	v_add_u32_e32 v9, 0xff00, v9
	v_and_b32_e32 v8, 0x40000, v22
	v_lshrrev_b32_e32 v24, 8, v22
	v_or3_b32 v34, v26, v25, v9
	v_cndmask_b32_e64 v9, 1, v17, s[28:29]
	v_cmp_eq_u32_e64 s[30:31], 0, v8
	v_and_or_b32 v9, v24, s52, v9
	v_cndmask_b32_e64 v25, v18, v19, s[30:31]
	v_cndmask_b32_e64 v24, v20, v21, s[34:35]
	v_add_u32_e32 v9, 0xff00, v9
	v_and_b32_e32 v30, 0x800000, v22
	v_lshrrev_b32_e32 v8, 12, v22
	v_or3_b32 v35, v24, v25, v9
	v_cndmask_b32_e64 v9, 1, v17, s[36:37]
	v_cmp_eq_u32_e64 s[40:41], 0, v30
	v_and_or_b32 v8, v8, s52, v9
	v_cndmask_b32_e64 v24, v18, v19, s[38:39]
	v_cndmask_b32_e64 v9, v20, v21, s[40:41]
	v_add_u32_e32 v8, 0xff00, v8
	v_lshrrev_b32_e32 v30, 16, v22
	v_or3_b32 v36, v9, v24, v8
	v_cndmask_b32_e64 v8, 1, v17, s[42:43]
	v_and_or_b32 v8, v30, s52, v8
	v_cndmask_b32_e64 v9, v18, v19, s[44:45]
	v_cndmask_b32_e64 v24, v20, v21, s[46:47]
	v_add_u32_e32 v8, 0xff00, v8
	v_or3_b32 v37, v24, v9, v8
	v_mad_i64_i32 v[8:9], s[0:1], v23, 18, s[60:61]
	v_add_co_u32_e32 v23, vcc, v8, v15
	v_addc_co_u32_e32 v24, vcc, 0, v9, vcc
	global_load_dword v38, v[23:24], off offset:2
	s_waitcnt vmcnt(0)
	v_and_b32_e32 v23, 1, v38
	v_cmp_eq_u32_e32 vcc, 0, v23
	v_and_b32_e32 v23, 4, v38
	v_cmp_eq_u32_e64 s[0:1], 0, v23
	v_and_b32_e32 v23, 8, v38
	v_cmp_eq_u32_e64 s[2:3], 0, v23
	v_lshlrev_b32_e32 v23, 8, v38
	v_cndmask_b32_e32 v24, 1, v17, vcc
	v_and_or_b32 v23, v23, s52, v24
	v_add_u32_e32 v23, 0xff00, v23
	v_cndmask_b32_e64 v24, v18, v19, s[0:1]
	v_cndmask_b32_e64 v25, v20, v21, s[2:3]
	v_or3_b32 v28, v25, v24, v23
	v_and_b32_e32 v23, 16, v38
	v_cmp_eq_u32_e32 vcc, 0, v23
	v_and_b32_e32 v23, 64, v38
	v_cmp_eq_u32_e64 s[0:1], 0, v23
	v_and_b32_e32 v23, 0x80, v38
	v_cmp_eq_u32_e64 s[2:3], 0, v23
	v_lshlrev_b32_e32 v23, 4, v38
	v_cndmask_b32_e32 v24, 1, v17, vcc
	v_and_or_b32 v23, v23, s52, v24
	v_add_u32_e32 v23, 0xff00, v23
	v_cndmask_b32_e64 v24, v18, v19, s[0:1]
	v_cndmask_b32_e64 v25, v20, v21, s[2:3]
	v_or3_b32 v39, v25, v24, v23
	v_and_b32_e32 v23, 0x400, v38
	v_cmp_eq_u32_e32 vcc, 0, v23
	v_and_b32_e32 v23, 0x800, v38
	v_cmp_eq_u32_e64 s[0:1], 0, v23
	v_and_b32_e32 v23, 0x100, v38
	v_cmp_eq_u32_e64 s[2:3], 0, v23
	v_cndmask_b32_e64 v23, 1, v17, s[2:3]
	v_and_or_b32 v23, v38, s52, v23
	v_add_u32_e32 v23, 0xff00, v23
	v_cndmask_b32_e32 v24, v18, v19, vcc
	v_cndmask_b32_e64 v25, v20, v21, s[0:1]
	v_or3_b32 v40, v25, v24, v23
	v_and_b32_e32 v23, 0x1000, v38
	v_cmp_eq_u32_e32 vcc, 0, v23
	v_and_b32_e32 v23, 0x4000, v38
	v_cmp_eq_u32_e64 s[0:1], 0, v23
	v_and_b32_e32 v23, 0x8000, v38
	v_cmp_eq_u32_e64 s[2:3], 0, v23
	v_lshrrev_b32_e32 v23, 4, v38
	v_cndmask_b32_e32 v24, 1, v17, vcc
	v_and_or_b32 v23, v23, s52, v24
	v_add_u32_e32 v23, 0xff00, v23
	v_cndmask_b32_e64 v24, v18, v19, s[0:1]
	v_cndmask_b32_e64 v25, v20, v21, s[2:3]
	v_or3_b32 v41, v25, v24, v23
	v_and_b32_e32 v23, 0x10000, v38
	v_cmp_eq_u32_e32 vcc, 0, v23
	v_and_b32_e32 v23, 0x40000, v38
	v_cmp_eq_u32_e64 s[0:1], 0, v23
	v_and_b32_e32 v23, 0x80000, v38
	v_cmp_eq_u32_e64 s[2:3], 0, v23
	v_lshrrev_b32_e32 v23, 8, v38
	v_cndmask_b32_e32 v24, 1, v17, vcc
	v_and_or_b32 v23, v23, s52, v24
	v_add_u32_e32 v23, 0xff00, v23
	v_cndmask_b32_e64 v24, v18, v19, s[0:1]
	;; [unrolled: 13-line block ×4, first 2 shown]
	v_cndmask_b32_e64 v25, v20, v21, s[2:3]
	v_or3_b32 v44, v25, v24, v23
	global_load_dwordx4 v[23:26], v[4:5], off offset:-32
	s_waitcnt vmcnt(0)
	v_dot4_i32_i8 v27, v31, v24, 0
	v_dot4_i32_i8 v24, v28, v24, 0
	v_dot4_i32_i8 v27, v32, v25, v27
	v_dot4_i32_i8 v24, v39, v25, v24
	v_dot4_i32_i8 v29, v33, v26, v27
	v_dot4_i32_i8 v30, v40, v26, v24
	global_load_dwordx4 v[24:27], v[4:5], off offset:-16
	v_cvt_f32_f16_e32 v23, v23
	s_waitcnt vmcnt(0)
	v_dot4_i32_i8 v29, v34, v24, v29
	v_dot4_i32_i8 v24, v41, v24, v30
	;; [unrolled: 1-line block ×5, first 2 shown]
	v_mad_u64_u32 v[29:30], s[0:1], v16, 36, v[2:3]
	v_dot4_i32_i8 v24, v43, v26, v24
	v_dot4_i32_i8 v45, v37, v27, v25
	;; [unrolled: 1-line block ×3, first 2 shown]
	global_load_dwordx4 v[24:27], v[29:30], off
	v_add_u32_e32 v16, 0x80, v16
	s_waitcnt vmcnt(0)
	v_dot4_i32_i8 v31, v31, v25, 0
	v_dot4_i32_i8 v25, v28, v25, 0
	;; [unrolled: 1-line block ×6, first 2 shown]
	global_load_dwordx4 v[25:28], v[29:30], off offset:16
	v_cvt_f32_f16_e32 v24, v24
	s_waitcnt vmcnt(0)
	v_dot4_i32_i8 v31, v34, v25, v31
	v_dot4_i32_i8 v25, v41, v25, v32
	;; [unrolled: 1-line block ×6, first 2 shown]
	v_and_b32_e32 v27, 0x10000000, v22
	v_cmp_eq_u32_e32 vcc, 0, v27
	v_and_b32_e32 v27, 2.0, v22
	v_ashrrev_i32_e32 v22, 28, v22
	v_cmp_eq_u32_e64 s[0:1], 0, v27
	v_and_b32_e32 v27, 8, v22
	v_cmp_eq_u32_e64 s[2:3], 0, v27
	v_lshlrev_b32_e32 v22, 8, v22
	v_cndmask_b32_e32 v27, 1, v17, vcc
	v_and_or_b32 v22, v22, s52, v27
	v_dot4_i32_i8 v26, v37, v28, v26
	v_dot4_i32_i8 v25, v44, v28, v25
	v_add_u32_e32 v22, 0xff00, v22
	v_cndmask_b32_e64 v27, v18, v19, s[0:1]
	v_cndmask_b32_e64 v28, v20, v21, s[2:3]
	v_or3_b32 v22, v28, v27, v22
	v_and_b32_e32 v27, 0x10000000, v38
	v_cmp_eq_u32_e32 vcc, 0, v27
	v_and_b32_e32 v27, 2.0, v38
	v_cmp_eq_u32_e64 s[0:1], 0, v27
	v_ashrrev_i32_e32 v27, 28, v38
	v_and_b32_e32 v28, 8, v27
	v_cmp_eq_u32_e64 s[2:3], 0, v28
	v_lshlrev_b32_e32 v27, 8, v27
	v_cndmask_b32_e32 v28, 1, v17, vcc
	v_and_or_b32 v27, v27, s52, v28
	v_add_u32_e32 v27, 0xff00, v27
	v_cndmask_b32_e64 v28, v18, v19, s[0:1]
	v_cndmask_b32_e64 v31, v20, v21, s[2:3]
	v_or3_b32 v27, v31, v28, v27
	global_load_dword v28, v[29:30], off offset:32
	global_load_ushort v31, v[6:7], off
	global_load_dword v32, v[4:5], off
	global_load_ushort v33, v[8:9], off
	v_add_co_u32_e32 v4, vcc, 0x1200, v4
	v_cmp_le_u32_e64 s[0:1], s9, v14
	v_addc_co_u32_e32 v5, vcc, 0, v5, vcc
	s_or_b64 s[48:49], s[0:1], s[48:49]
	s_waitcnt vmcnt(3)
	v_dot4_i32_i8 v25, v27, v28, v25
	s_waitcnt vmcnt(2)
	v_cvt_f32_f16_e32 v6, v31
	v_cvt_f32_i32_e32 v25, v25
	s_waitcnt vmcnt(0)
	v_cvt_f32_f16_e32 v7, v33
	v_mul_f32_e32 v8, v6, v23
	v_mul_f32_e32 v6, v6, v24
	;; [unrolled: 1-line block ×4, first 2 shown]
	v_dot4_i32_i8 v23, v22, v32, v45
	v_dot4_i32_i8 v24, v27, v32, v46
	;; [unrolled: 1-line block ×3, first 2 shown]
	v_cvt_f32_i32_e32 v23, v23
	v_cvt_f32_i32_e32 v24, v24
	;; [unrolled: 1-line block ×3, first 2 shown]
	v_fmac_f32_e32 v10, v7, v25
	v_fmac_f32_e32 v13, v8, v23
	;; [unrolled: 1-line block ×4, first 2 shown]
	s_andn2_b64 exec, exec, s[48:49]
	s_cbranch_execnz .LBB5_2
; %bb.3:
	s_or_b64 exec, exec, s[48:49]
.LBB5_4:
	s_or_b64 exec, exec, s[64:65]
	v_cmp_eq_u32_e32 vcc, 0, v1
	v_cmp_ne_u32_e64 s[0:1], 0, v1
	v_lshlrev_b32_e32 v2, 2, v0
	s_and_saveexec_b64 s[2:3], s[0:1]
	s_cbranch_execz .LBB5_6
; %bb.5:
	v_lshl_or_b32 v1, v1, 10, v2
	v_add_u32_e32 v1, 0xfffffc00, v1
	ds_write2st64_b32 v1, v13, v12 offset1:1
	ds_write2st64_b32 v1, v11, v10 offset0:2 offset1:3
.LBB5_6:
	s_or_b64 exec, exec, s[2:3]
	s_waitcnt lgkmcnt(0)
	s_barrier
	s_and_saveexec_b64 s[0:1], vcc
	s_cbranch_execz .LBB5_11
; %bb.7:
	v_mbcnt_lo_u32_b32 v1, -1, 0
	v_mbcnt_hi_u32_b32 v7, -1, v1
	ds_read2st64_b32 v[5:6], v2 offset1:1
	v_and_b32_e32 v1, 64, v7
	v_add_u32_e32 v8, 64, v1
	v_xor_b32_e32 v1, 32, v7
	v_cmp_lt_i32_e32 vcc, v1, v8
	v_cndmask_b32_e32 v1, v7, v1, vcc
	v_lshlrev_b32_e32 v1, 2, v1
	s_waitcnt lgkmcnt(0)
	v_add_f32_e32 v13, v5, v13
	v_add_f32_e32 v6, v6, v12
	ds_bpermute_b32 v14, v1, v13
	ds_bpermute_b32 v12, v1, v6
	v_xor_b32_e32 v3, 16, v7
	v_cmp_lt_i32_e32 vcc, v3, v8
	v_cndmask_b32_e32 v3, v7, v3, vcc
	v_lshlrev_b32_e32 v3, 2, v3
	s_waitcnt lgkmcnt(1)
	v_add_f32_e32 v13, v13, v14
	s_waitcnt lgkmcnt(0)
	v_add_f32_e32 v6, v6, v12
	ds_bpermute_b32 v14, v3, v13
	ds_bpermute_b32 v12, v3, v6
	v_xor_b32_e32 v4, 8, v7
	v_cmp_lt_i32_e32 vcc, v4, v8
	v_cndmask_b32_e32 v4, v7, v4, vcc
	v_lshlrev_b32_e32 v4, 2, v4
	s_waitcnt lgkmcnt(1)
	v_add_f32_e32 v13, v13, v14
	s_waitcnt lgkmcnt(0)
	v_add_f32_e32 v12, v6, v12
	ds_bpermute_b32 v14, v4, v13
	ds_bpermute_b32 v15, v4, v12
	v_xor_b32_e32 v9, 4, v7
	v_cmp_lt_i32_e32 vcc, v9, v8
	v_cndmask_b32_e32 v9, v7, v9, vcc
	v_lshlrev_b32_e32 v5, 2, v9
	s_waitcnt lgkmcnt(1)
	v_add_f32_e32 v13, v13, v14
	s_waitcnt lgkmcnt(0)
	v_add_f32_e32 v12, v12, v15
	ds_bpermute_b32 v14, v5, v13
	ds_bpermute_b32 v15, v5, v12
	v_xor_b32_e32 v9, 2, v7
	v_cmp_lt_i32_e32 vcc, v9, v8
	v_cndmask_b32_e32 v9, v7, v9, vcc
	v_lshlrev_b32_e32 v6, 2, v9
	v_xor_b32_e32 v9, 1, v7
	v_cmp_lt_i32_e32 vcc, v9, v8
	s_waitcnt lgkmcnt(1)
	v_add_f32_e32 v8, v13, v14
	s_waitcnt lgkmcnt(0)
	v_add_f32_e32 v12, v12, v15
	ds_bpermute_b32 v13, v6, v8
	ds_bpermute_b32 v14, v6, v12
	s_load_dwordx2 s[0:1], s[4:5], 0x38
	v_cndmask_b32_e32 v7, v7, v9, vcc
	s_mul_i32 s3, s54, s7
	v_lshlrev_b32_e32 v9, 2, v7
	s_waitcnt lgkmcnt(0)
	v_add_f32_e32 v7, v8, v13
	v_add_f32_e32 v12, v12, v14
	s_mul_i32 s2, s58, s8
	s_add_i32 s3, s3, s6
	ds_bpermute_b32 v8, v9, v7
	ds_bpermute_b32 v13, v9, v12
	s_add_i32 s2, s3, s2
	s_mov_b32 s3, 0
	s_lshl_b64 s[2:3], s[2:3], 2
	s_add_u32 s2, s0, s2
	v_add_u32_e32 v14, s6, v0
	s_addc_u32 s3, s1, s3
	v_cmp_gt_u32_e32 vcc, 2, v0
	v_cmp_gt_u32_e64 s[0:1], s50, v14
	s_and_b64 s[0:1], vcc, s[0:1]
	s_waitcnt lgkmcnt(1)
	v_add_f32_e32 v7, v7, v8
	s_waitcnt lgkmcnt(0)
	v_add_f32_e32 v8, v12, v13
	s_and_saveexec_b64 s[4:5], s[0:1]
	s_cbranch_execz .LBB5_9
; %bb.8:
	v_cmp_eq_u32_e32 vcc, 1, v0
	v_cndmask_b32_e32 v12, v7, v8, vcc
	v_cmp_eq_u32_e32 vcc, 2, v0
	v_cndmask_b32_e32 v12, v12, v11, vcc
	;; [unrolled: 2-line block ×3, first 2 shown]
	global_store_dword v2, v12, s[2:3]
.LBB5_9:
	s_or_b64 exec, exec, s[4:5]
	ds_read2st64_b32 v[12:13], v2 offset0:2 offset1:3
	s_waitcnt lgkmcnt(0)
	v_add_f32_e32 v2, v12, v11
	v_add_f32_e32 v10, v13, v10
	ds_bpermute_b32 v11, v1, v2
	ds_bpermute_b32 v1, v1, v10
	s_waitcnt lgkmcnt(1)
	v_add_f32_e32 v2, v2, v11
	s_waitcnt lgkmcnt(0)
	v_add_f32_e32 v1, v10, v1
	ds_bpermute_b32 v10, v3, v2
	ds_bpermute_b32 v3, v3, v1
	s_waitcnt lgkmcnt(1)
	v_add_f32_e32 v2, v2, v10
	s_waitcnt lgkmcnt(0)
	;; [unrolled: 6-line block ×5, first 2 shown]
	v_add_f32_e32 v2, v3, v4
	ds_bpermute_b32 v3, v9, v1
	ds_bpermute_b32 v4, v9, v2
	s_and_b64 exec, exec, s[0:1]
	s_cbranch_execz .LBB5_11
; %bb.10:
	s_waitcnt lgkmcnt(1)
	v_add_f32_e32 v1, v1, v3
	v_add_u32_e32 v3, 2, v0
	v_cmp_eq_u32_e32 vcc, 1, v3
	s_waitcnt lgkmcnt(0)
	v_add_f32_e32 v2, v2, v4
	v_cndmask_b32_e32 v4, v7, v8, vcc
	v_cmp_eq_u32_e32 vcc, 2, v3
	v_cndmask_b32_e32 v1, v4, v1, vcc
	v_cmp_eq_u32_e32 vcc, 3, v3
	v_cndmask_b32_e32 v2, v1, v2, vcc
	v_add_u32_e32 v0, s50, v0
	v_mov_b32_e32 v1, 0
	v_lshlrev_b64 v[0:1], 2, v[0:1]
	v_mov_b32_e32 v3, s3
	v_add_co_u32_e32 v0, vcc, s2, v0
	v_addc_co_u32_e32 v1, vcc, v3, v1, vcc
	global_store_dword v[0:1], v2, off
.LBB5_11:
	s_endpgm
	.section	.rodata,"a",@progbits
	.p2align	6, 0x0
	.amdhsa_kernel _ZL13mul_mat_vec_qIL9ggml_type41ELi2ELb0ELb0EEvPKvS2_PKi31ggml_cuda_mm_fusion_args_devicePfj15HIP_vector_typeIjLj3EEjjjS8_jjjS8_jjjj
		.amdhsa_group_segment_fixed_size 1024
		.amdhsa_private_segment_fixed_size 0
		.amdhsa_kernarg_size 144
		.amdhsa_user_sgpr_count 6
		.amdhsa_user_sgpr_private_segment_buffer 1
		.amdhsa_user_sgpr_dispatch_ptr 0
		.amdhsa_user_sgpr_queue_ptr 0
		.amdhsa_user_sgpr_kernarg_segment_ptr 1
		.amdhsa_user_sgpr_dispatch_id 0
		.amdhsa_user_sgpr_flat_scratch_init 0
		.amdhsa_user_sgpr_private_segment_size 0
		.amdhsa_uses_dynamic_stack 0
		.amdhsa_system_sgpr_private_segment_wavefront_offset 0
		.amdhsa_system_sgpr_workgroup_id_x 1
		.amdhsa_system_sgpr_workgroup_id_y 1
		.amdhsa_system_sgpr_workgroup_id_z 1
		.amdhsa_system_sgpr_workgroup_info 0
		.amdhsa_system_vgpr_workitem_id 1
		.amdhsa_next_free_vgpr 47
		.amdhsa_next_free_sgpr 66
		.amdhsa_reserve_vcc 1
		.amdhsa_reserve_flat_scratch 0
		.amdhsa_float_round_mode_32 0
		.amdhsa_float_round_mode_16_64 0
		.amdhsa_float_denorm_mode_32 3
		.amdhsa_float_denorm_mode_16_64 3
		.amdhsa_dx10_clamp 1
		.amdhsa_ieee_mode 1
		.amdhsa_fp16_overflow 0
		.amdhsa_exception_fp_ieee_invalid_op 0
		.amdhsa_exception_fp_denorm_src 0
		.amdhsa_exception_fp_ieee_div_zero 0
		.amdhsa_exception_fp_ieee_overflow 0
		.amdhsa_exception_fp_ieee_underflow 0
		.amdhsa_exception_fp_ieee_inexact 0
		.amdhsa_exception_int_div_zero 0
	.end_amdhsa_kernel
	.section	.text._ZL13mul_mat_vec_qIL9ggml_type41ELi2ELb0ELb0EEvPKvS2_PKi31ggml_cuda_mm_fusion_args_devicePfj15HIP_vector_typeIjLj3EEjjjS8_jjjS8_jjjj,"axG",@progbits,_ZL13mul_mat_vec_qIL9ggml_type41ELi2ELb0ELb0EEvPKvS2_PKi31ggml_cuda_mm_fusion_args_devicePfj15HIP_vector_typeIjLj3EEjjjS8_jjjS8_jjjj,comdat
.Lfunc_end5:
	.size	_ZL13mul_mat_vec_qIL9ggml_type41ELi2ELb0ELb0EEvPKvS2_PKi31ggml_cuda_mm_fusion_args_devicePfj15HIP_vector_typeIjLj3EEjjjS8_jjjS8_jjjj, .Lfunc_end5-_ZL13mul_mat_vec_qIL9ggml_type41ELi2ELb0ELb0EEvPKvS2_PKi31ggml_cuda_mm_fusion_args_devicePfj15HIP_vector_typeIjLj3EEjjjS8_jjjS8_jjjj
                                        ; -- End function
	.set _ZL13mul_mat_vec_qIL9ggml_type41ELi2ELb0ELb0EEvPKvS2_PKi31ggml_cuda_mm_fusion_args_devicePfj15HIP_vector_typeIjLj3EEjjjS8_jjjS8_jjjj.num_vgpr, 47
	.set _ZL13mul_mat_vec_qIL9ggml_type41ELi2ELb0ELb0EEvPKvS2_PKi31ggml_cuda_mm_fusion_args_devicePfj15HIP_vector_typeIjLj3EEjjjS8_jjjS8_jjjj.num_agpr, 0
	.set _ZL13mul_mat_vec_qIL9ggml_type41ELi2ELb0ELb0EEvPKvS2_PKi31ggml_cuda_mm_fusion_args_devicePfj15HIP_vector_typeIjLj3EEjjjS8_jjjS8_jjjj.numbered_sgpr, 66
	.set _ZL13mul_mat_vec_qIL9ggml_type41ELi2ELb0ELb0EEvPKvS2_PKi31ggml_cuda_mm_fusion_args_devicePfj15HIP_vector_typeIjLj3EEjjjS8_jjjS8_jjjj.num_named_barrier, 0
	.set _ZL13mul_mat_vec_qIL9ggml_type41ELi2ELb0ELb0EEvPKvS2_PKi31ggml_cuda_mm_fusion_args_devicePfj15HIP_vector_typeIjLj3EEjjjS8_jjjS8_jjjj.private_seg_size, 0
	.set _ZL13mul_mat_vec_qIL9ggml_type41ELi2ELb0ELb0EEvPKvS2_PKi31ggml_cuda_mm_fusion_args_devicePfj15HIP_vector_typeIjLj3EEjjjS8_jjjS8_jjjj.uses_vcc, 1
	.set _ZL13mul_mat_vec_qIL9ggml_type41ELi2ELb0ELb0EEvPKvS2_PKi31ggml_cuda_mm_fusion_args_devicePfj15HIP_vector_typeIjLj3EEjjjS8_jjjS8_jjjj.uses_flat_scratch, 0
	.set _ZL13mul_mat_vec_qIL9ggml_type41ELi2ELb0ELb0EEvPKvS2_PKi31ggml_cuda_mm_fusion_args_devicePfj15HIP_vector_typeIjLj3EEjjjS8_jjjS8_jjjj.has_dyn_sized_stack, 0
	.set _ZL13mul_mat_vec_qIL9ggml_type41ELi2ELb0ELb0EEvPKvS2_PKi31ggml_cuda_mm_fusion_args_devicePfj15HIP_vector_typeIjLj3EEjjjS8_jjjS8_jjjj.has_recursion, 0
	.set _ZL13mul_mat_vec_qIL9ggml_type41ELi2ELb0ELb0EEvPKvS2_PKi31ggml_cuda_mm_fusion_args_devicePfj15HIP_vector_typeIjLj3EEjjjS8_jjjS8_jjjj.has_indirect_call, 0
	.section	.AMDGPU.csdata,"",@progbits
; Kernel info:
; codeLenInByte = 3148
; TotalNumSgprs: 70
; NumVgprs: 47
; ScratchSize: 0
; MemoryBound: 0
; FloatMode: 240
; IeeeMode: 1
; LDSByteSize: 1024 bytes/workgroup (compile time only)
; SGPRBlocks: 8
; VGPRBlocks: 11
; NumSGPRsForWavesPerEU: 70
; NumVGPRsForWavesPerEU: 47
; Occupancy: 5
; WaveLimiterHint : 0
; COMPUTE_PGM_RSRC2:SCRATCH_EN: 0
; COMPUTE_PGM_RSRC2:USER_SGPR: 6
; COMPUTE_PGM_RSRC2:TRAP_HANDLER: 0
; COMPUTE_PGM_RSRC2:TGID_X_EN: 1
; COMPUTE_PGM_RSRC2:TGID_Y_EN: 1
; COMPUTE_PGM_RSRC2:TGID_Z_EN: 1
; COMPUTE_PGM_RSRC2:TIDIG_COMP_CNT: 1
	.section	.text._ZL13mul_mat_vec_qIL9ggml_type41ELi3ELb0ELb0EEvPKvS2_PKi31ggml_cuda_mm_fusion_args_devicePfj15HIP_vector_typeIjLj3EEjjjS8_jjjS8_jjjj,"axG",@progbits,_ZL13mul_mat_vec_qIL9ggml_type41ELi3ELb0ELb0EEvPKvS2_PKi31ggml_cuda_mm_fusion_args_devicePfj15HIP_vector_typeIjLj3EEjjjS8_jjjS8_jjjj,comdat
	.globl	_ZL13mul_mat_vec_qIL9ggml_type41ELi3ELb0ELb0EEvPKvS2_PKi31ggml_cuda_mm_fusion_args_devicePfj15HIP_vector_typeIjLj3EEjjjS8_jjjS8_jjjj ; -- Begin function _ZL13mul_mat_vec_qIL9ggml_type41ELi3ELb0ELb0EEvPKvS2_PKi31ggml_cuda_mm_fusion_args_devicePfj15HIP_vector_typeIjLj3EEjjjS8_jjjS8_jjjj
	.p2align	8
	.type	_ZL13mul_mat_vec_qIL9ggml_type41ELi3ELb0ELb0EEvPKvS2_PKi31ggml_cuda_mm_fusion_args_devicePfj15HIP_vector_typeIjLj3EEjjjS8_jjjS8_jjjj,@function
_ZL13mul_mat_vec_qIL9ggml_type41ELi3ELb0ELb0EEvPKvS2_PKi31ggml_cuda_mm_fusion_args_devicePfj15HIP_vector_typeIjLj3EEjjjS8_jjjS8_jjjj: ; @_ZL13mul_mat_vec_qIL9ggml_type41ELi3ELb0ELb0EEvPKvS2_PKi31ggml_cuda_mm_fusion_args_devicePfj15HIP_vector_typeIjLj3EEjjjS8_jjjS8_jjjj
; %bb.0:
	s_load_dword s9, s[4:5], 0x40
	s_load_dwordx4 s[0:3], s[4:5], 0x50
	s_load_dword s25, s[4:5], 0x60
	s_load_dwordx4 s[12:15], s[4:5], 0x68
	;; [unrolled: 2-line block ×3, first 2 shown]
	v_lshl_add_u32 v2, v1, 6, v0
	s_waitcnt lgkmcnt(0)
	s_lshr_b32 s9, s9, 7
	v_lshrrev_b32_e32 v12, 2, v2
	v_mov_b32_e32 v7, 0
	s_lshl_b32 s6, s6, 1
	v_cmp_gt_u32_e32 vcc, s9, v12
	v_mov_b32_e32 v8, v7
	v_mov_b32_e32 v9, v7
	;; [unrolled: 1-line block ×5, first 2 shown]
	s_and_saveexec_b64 s[10:11], vcc
	s_cbranch_execz .LBB6_4
; %bb.1:
	s_mul_hi_u32 s3, s3, s7
	s_add_i32 s3, s7, s3
	s_load_dwordx4 s[20:23], s[4:5], 0x0
	s_lshr_b32 s3, s3, s25
	s_mul_i32 s3, s3, s12
	s_mul_hi_u32 s12, s15, s8
	s_add_i32 s12, s8, s12
	s_lshr_b32 s12, s12, s24
	s_mul_i32 s19, s17, s8
	s_mul_i32 s15, s12, s16
	;; [unrolled: 1-line block ×3, first 2 shown]
	s_mul_hi_u32 s12, s19, 36
	s_waitcnt lgkmcnt(0)
	s_add_u32 s16, s22, s16
	s_addc_u32 s17, s23, s12
	s_mul_i32 s12, s13, s7
	s_mul_hi_u32 s13, s12, 36
	s_mul_i32 s12, s12, 36
	s_add_u32 s16, s16, s12
	s_addc_u32 s17, s17, s13
	v_and_b32_e32 v7, 3, v0
	v_mad_u64_u32 v[2:3], s[16:17], v7, 36, s[16:17]
	v_mov_b32_e32 v4, s12
	s_movk_i32 s17, 0x90
	v_mov_b32_e32 v5, s13
	v_mad_u64_u32 v[4:5], s[12:13], v12, s17, v[4:5]
	v_lshlrev_b32_e32 v13, 2, v7
	s_add_i32 s16, s6, 1
	v_mad_u64_u32 v[4:5], s[12:13], s19, 36, v[4:5]
	s_add_i32 s15, s15, s3
	v_mov_b32_e32 v6, 0
	v_mad_u64_u32 v[4:5], s[12:13], v7, 36, v[4:5]
	v_mov_b32_e32 v7, s23
	s_mul_i32 s3, s6, s0
	v_add_co_u32_e32 v4, vcc, s22, v4
	v_addc_co_u32_e32 v5, vcc, v7, v5, vcc
	s_mul_i32 s0, s0, s16
	v_lshlrev_b32_e32 v8, 2, v12
	v_add_co_u32_e32 v4, vcc, 32, v4
	s_add_i32 s3, s15, s3
	s_add_i32 s15, s15, s0
	v_add_u32_e32 v14, s1, v8
	v_lshl_add_u32 v15, s1, 1, v8
	v_addc_co_u32_e32 v5, vcc, 0, v5, vcc
	s_mov_b64 s[12:13], 0
	v_mov_b32_e32 v16, 0xff
	v_mov_b32_e32 v17, 0x10000
	;; [unrolled: 1-line block ×3, first 2 shown]
	s_movk_i32 s16, 0x200
	v_mov_b32_e32 v19, 0x1000000
	v_mov_b32_e32 v20, 0xff000000
	v_mov_b32_e32 v7, v6
	v_mov_b32_e32 v8, v6
	v_mov_b32_e32 v9, v6
	v_mov_b32_e32 v10, v6
	v_mov_b32_e32 v11, v6
.LBB6_2:                                ; =>This Inner Loop Header: Depth=1
	v_add_u32_e32 v29, s3, v12
	v_mad_u64_u32 v[41:42], s[0:1], v14, 36, v[2:3]
	v_mad_i64_i32 v[45:46], s[0:1], v29, 18, s[20:21]
	v_add_u32_e32 v30, s15, v12
	v_mad_u64_u32 v[43:44], s[0:1], v15, 36, v[2:3]
	v_mad_i64_i32 v[47:48], s[0:1], v30, 18, s[20:21]
	global_load_dwordx4 v[21:24], v[4:5], off offset:-32
	global_load_dwordx4 v[25:28], v[4:5], off offset:-16
	global_load_dwordx4 v[29:32], v[41:42], off
	global_load_dwordx4 v[33:36], v[41:42], off offset:16
	global_load_dwordx4 v[37:40], v[43:44], off
	global_load_dword v51, v[41:42], off offset:32
	v_add_co_u32_e32 v41, vcc, v45, v13
	v_addc_co_u32_e32 v42, vcc, 0, v46, vcc
	v_add_co_u32_e32 v49, vcc, v47, v13
	v_addc_co_u32_e32 v50, vcc, 0, v48, vcc
	global_load_dword v52, v[41:42], off offset:2
	global_load_dword v53, v[49:50], off offset:2
	global_load_ushort v54, v[47:48], off
	global_load_ushort v55, v[45:46], off
	global_load_dword v63, v[43:44], off offset:32
	v_add_u32_e32 v12, 32, v12
	v_add_u32_e32 v14, 0x80, v14
	;; [unrolled: 1-line block ×3, first 2 shown]
	s_waitcnt vmcnt(8)
	v_cvt_f32_f16_e32 v29, v29
	v_cvt_f32_f16_e32 v41, v21
	s_waitcnt vmcnt(6)
	v_cvt_f32_f16_e32 v37, v37
	s_waitcnt vmcnt(4)
	v_and_b32_e32 v21, 1, v52
	v_and_b32_e32 v42, 4, v52
	v_cmp_eq_u32_e64 s[0:1], 0, v21
	v_and_b32_e32 v45, 8, v52
	v_and_b32_e32 v47, 16, v52
	v_cndmask_b32_e64 v21, 1, v16, s[0:1]
	v_cmp_eq_u32_e64 s[0:1], 0, v42
	v_lshlrev_b32_e32 v46, 8, v52
	v_and_b32_e32 v49, 0x80, v52
	v_cmp_eq_u32_e32 vcc, 0, v45
	v_cndmask_b32_e64 v42, v17, v18, s[0:1]
	v_cmp_eq_u32_e64 s[0:1], 0, v47
	v_lshlrev_b32_e32 v50, 4, v52
	v_and_b32_e32 v58, 0x100, v52
	v_and_or_b32 v21, v46, s16, v21
	v_cndmask_b32_e32 v46, v19, v20, vcc
	v_cmp_eq_u32_e32 vcc, 0, v49
	v_cndmask_b32_e64 v47, 1, v16, s[0:1]
	v_and_b32_e32 v56, 0x400, v52
	v_and_or_b32 v47, v50, s16, v47
	v_cndmask_b32_e32 v50, v19, v20, vcc
	v_cmp_eq_u32_e32 vcc, 0, v58
	v_and_b32_e32 v48, 64, v52
	v_and_b32_e32 v57, 0x800, v52
	v_cndmask_b32_e32 v58, 1, v16, vcc
	v_cmp_eq_u32_e32 vcc, 0, v56
	s_waitcnt vmcnt(3)
	v_and_b32_e32 v49, 1, v53
	v_cmp_eq_u32_e64 s[0:1], 0, v48
	v_cndmask_b32_e32 v56, v17, v18, vcc
	v_cmp_eq_u32_e32 vcc, 0, v57
	v_and_or_b32 v58, v52, s16, v58
	v_cndmask_b32_e64 v48, v17, v18, s[0:1]
	v_add_u32_e32 v47, 0xff00, v47
	v_cndmask_b32_e32 v57, v19, v20, vcc
	v_add_u32_e32 v58, 0xff00, v58
	v_cmp_eq_u32_e64 s[0:1], 0, v49
	v_or3_b32 v47, v50, v48, v47
	v_and_b32_e32 v48, 4, v53
	v_and_b32_e32 v50, 8, v53
	v_or3_b32 v56, v57, v56, v58
	v_lshlrev_b32_e32 v57, 8, v53
	v_cndmask_b32_e64 v49, 1, v16, s[0:1]
	v_and_b32_e32 v58, 16, v53
	v_cmp_eq_u32_e32 vcc, 0, v50
	v_cmp_eq_u32_e64 s[0:1], 0, v48
	v_and_or_b32 v49, v57, s16, v49
	v_cndmask_b32_e64 v48, v17, v18, s[0:1]
	v_cndmask_b32_e32 v57, v19, v20, vcc
	v_add_u32_e32 v49, 0xff00, v49
	v_cmp_eq_u32_e64 s[0:1], 0, v58
	v_and_b32_e32 v50, 64, v53
	v_or3_b32 v48, v57, v48, v49
	v_and_b32_e32 v49, 0x80, v53
	v_lshlrev_b32_e32 v57, 4, v53
	v_cndmask_b32_e64 v58, 1, v16, s[0:1]
	v_cmp_eq_u32_e32 vcc, 0, v49
	v_cmp_eq_u32_e64 s[0:1], 0, v50
	v_and_or_b32 v57, v57, s16, v58
	v_cndmask_b32_e64 v50, v17, v18, s[0:1]
	v_cndmask_b32_e32 v58, v19, v20, vcc
	v_add_u32_e32 v57, 0xff00, v57
	v_or3_b32 v50, v58, v50, v57
	v_and_b32_e32 v58, 0x100, v53
	v_and_b32_e32 v49, 0x400, v53
	v_cmp_eq_u32_e32 vcc, 0, v58
	v_and_b32_e32 v57, 0x800, v53
	v_cndmask_b32_e32 v58, 1, v16, vcc
	v_cmp_eq_u32_e32 vcc, 0, v49
	v_add_u32_e32 v21, 0xff00, v21
	v_cndmask_b32_e32 v49, v17, v18, vcc
	v_cmp_eq_u32_e32 vcc, 0, v57
	v_and_or_b32 v58, v53, s16, v58
	v_or3_b32 v21, v46, v42, v21
	v_cndmask_b32_e32 v57, v19, v20, vcc
	v_add_u32_e32 v58, 0xff00, v58
	v_and_b32_e32 v59, 0x1000, v52
	v_or3_b32 v49, v57, v49, v58
	v_dot4_i32_i8 v57, v21, v22, 0
	v_dot4_i32_i8 v22, v48, v22, 0
	v_and_b32_e32 v45, 0x4000, v52
	v_dot4_i32_i8 v22, v50, v23, v22
	v_cmp_eq_u32_e64 s[0:1], 0, v59
	v_dot4_i32_i8 v57, v47, v23, v57
	v_dot4_i32_i8 v58, v49, v24, v22
	v_and_b32_e32 v22, 0x10000, v52
	v_cndmask_b32_e64 v59, 1, v16, s[0:1]
	v_cmp_eq_u32_e64 s[0:1], 0, v45
	v_and_b32_e32 v42, 0x8000, v52
	v_lshrrev_b32_e32 v46, 4, v52
	v_dot4_i32_i8 v57, v56, v24, v57
	v_and_b32_e32 v23, 0x40000, v52
	v_dot4_i32_i8 v24, v21, v30, 0
	v_dot4_i32_i8 v30, v48, v30, 0
	v_cndmask_b32_e64 v45, v17, v18, s[0:1]
	v_cmp_eq_u32_e64 s[0:1], 0, v22
	v_dot4_i32_i8 v24, v47, v31, v24
	v_dot4_i32_i8 v30, v50, v31, v30
	v_and_b32_e32 v60, 0x100000, v52
	v_cmp_eq_u32_e32 vcc, 0, v42
	v_and_or_b32 v46, v46, s16, v59
	v_cndmask_b32_e64 v22, 1, v16, s[0:1]
	v_cmp_eq_u32_e64 s[0:1], 0, v23
	v_dot4_i32_i8 v31, v56, v32, v24
	v_dot4_i32_i8 v30, v49, v32, v30
	v_and_b32_e32 v24, 0x80000, v52
	v_lshrrev_b32_e32 v32, 8, v52
	v_and_b32_e32 v61, 0x400000, v52
	v_cndmask_b32_e32 v59, v19, v20, vcc
	v_add_u32_e32 v46, 0xff00, v46
	v_cndmask_b32_e64 v23, v17, v18, s[0:1]
	v_cmp_eq_u32_e64 s[0:1], 0, v60
	v_or3_b32 v45, v59, v45, v46
	v_and_b32_e32 v59, 0x1000000, v52
	v_cmp_eq_u32_e32 vcc, 0, v24
	v_and_or_b32 v22, v32, s16, v22
	v_cndmask_b32_e64 v60, 1, v16, s[0:1]
	v_cmp_eq_u32_e64 s[0:1], 0, v61
	v_and_b32_e32 v42, 0x800000, v52
	v_lshrrev_b32_e32 v46, 12, v52
	v_and_b32_e32 v24, 0x4000000, v52
	v_cndmask_b32_e32 v32, v19, v20, vcc
	v_add_u32_e32 v22, 0xff00, v22
	v_cndmask_b32_e64 v61, v17, v18, s[0:1]
	v_cmp_eq_u32_e64 s[0:1], 0, v59
	v_or3_b32 v32, v32, v23, v22
	v_and_b32_e32 v22, 0x8000000, v52
	v_lshrrev_b32_e32 v23, 16, v52
	v_cmp_eq_u32_e32 vcc, 0, v42
	v_and_b32_e32 v42, 0x1000, v53
	v_and_or_b32 v46, v46, s16, v60
	v_cndmask_b32_e64 v59, 1, v16, s[0:1]
	v_cmp_eq_u32_e64 s[0:1], 0, v24
	v_cndmask_b32_e32 v60, v19, v20, vcc
	v_add_u32_e32 v46, 0xff00, v46
	v_cmp_eq_u32_e32 vcc, 0, v22
	v_cndmask_b32_e64 v24, v17, v18, s[0:1]
	v_and_or_b32 v23, v23, s16, v59
	v_cmp_eq_u32_e64 s[0:1], 0, v42
	v_or3_b32 v46, v60, v61, v46
	v_and_b32_e32 v60, 0x4000, v53
	v_and_b32_e32 v61, 0x8000, v53
	v_lshrrev_b32_e32 v22, 4, v53
	v_cndmask_b32_e32 v59, v19, v20, vcc
	v_add_u32_e32 v23, 0xff00, v23
	v_cndmask_b32_e64 v42, 1, v16, s[0:1]
	v_or3_b32 v59, v59, v24, v23
	v_and_b32_e32 v23, 0x10000, v53
	v_cmp_eq_u32_e32 vcc, 0, v61
	v_cmp_eq_u32_e64 s[0:1], 0, v60
	v_and_or_b32 v22, v22, s16, v42
	v_cndmask_b32_e64 v60, v17, v18, s[0:1]
	v_cndmask_b32_e32 v42, v19, v20, vcc
	v_add_u32_e32 v22, 0xff00, v22
	v_cmp_eq_u32_e64 s[0:1], 0, v23
	v_and_b32_e32 v24, 0x40000, v53
	v_and_b32_e32 v61, 0x80000, v53
	v_or3_b32 v42, v42, v60, v22
	v_lshrrev_b32_e32 v22, 8, v53
	v_cndmask_b32_e64 v23, 1, v16, s[0:1]
	v_and_b32_e32 v60, 0x100000, v53
	v_cmp_eq_u32_e32 vcc, 0, v61
	v_cmp_eq_u32_e64 s[0:1], 0, v24
	v_and_or_b32 v22, v22, s16, v23
	v_cndmask_b32_e64 v24, v17, v18, s[0:1]
	v_cndmask_b32_e32 v23, v19, v20, vcc
	v_add_u32_e32 v22, 0xff00, v22
	v_cmp_eq_u32_e64 s[0:1], 0, v60
	v_and_b32_e32 v61, 0x400000, v53
	v_or3_b32 v62, v23, v24, v22
	v_and_b32_e32 v22, 0x800000, v53
	v_lshrrev_b32_e32 v23, 12, v53
	v_cndmask_b32_e64 v24, 1, v16, s[0:1]
	v_cmp_eq_u32_e32 vcc, 0, v22
	v_cmp_eq_u32_e64 s[0:1], 0, v61
	v_and_or_b32 v23, v23, s16, v24
	v_and_b32_e32 v22, 0x1000000, v53
	v_cndmask_b32_e64 v60, v17, v18, s[0:1]
	v_cndmask_b32_e32 v24, v19, v20, vcc
	v_add_u32_e32 v23, 0xff00, v23
	v_or3_b32 v60, v24, v60, v23
	v_and_b32_e32 v24, 0x8000000, v53
	v_cmp_eq_u32_e64 s[0:1], 0, v22
	v_and_b32_e32 v23, 0x4000000, v53
	v_cmp_eq_u32_e32 vcc, 0, v24
	v_lshrrev_b32_e32 v24, 16, v53
	v_cndmask_b32_e64 v22, 1, v16, s[0:1]
	v_cmp_eq_u32_e64 s[0:1], 0, v23
	v_and_or_b32 v22, v24, s16, v22
	v_cndmask_b32_e64 v23, v17, v18, s[0:1]
	v_cndmask_b32_e32 v24, v19, v20, vcc
	v_add_u32_e32 v22, 0xff00, v22
	v_or3_b32 v61, v24, v23, v22
	v_and_b32_e32 v22, 0x10000000, v52
	v_and_b32_e32 v23, 2.0, v52
	v_ashrrev_i32_e32 v24, 28, v52
	v_cmp_eq_u32_e64 s[0:1], 0, v22
	v_cmp_eq_u32_e32 vcc, 0, v23
	v_and_b32_e32 v23, 8, v24
	v_lshlrev_b32_e32 v24, 8, v24
	v_cndmask_b32_e64 v22, 1, v16, s[0:1]
	v_and_or_b32 v22, v24, s16, v22
	v_cndmask_b32_e32 v24, v17, v18, vcc
	v_cmp_eq_u32_e32 vcc, 0, v23
	v_cndmask_b32_e32 v23, v19, v20, vcc
	v_add_u32_e32 v22, 0xff00, v22
	v_or3_b32 v52, v23, v24, v22
	v_and_b32_e32 v22, 0x10000000, v53
	v_and_b32_e32 v23, 2.0, v53
	v_ashrrev_i32_e32 v24, 28, v53
	v_cmp_eq_u32_e64 s[0:1], 0, v22
	v_cmp_eq_u32_e32 vcc, 0, v23
	v_and_b32_e32 v23, 8, v24
	v_lshlrev_b32_e32 v24, 8, v24
	v_cndmask_b32_e64 v22, 1, v16, s[0:1]
	v_and_or_b32 v22, v24, s16, v22
	v_cndmask_b32_e32 v24, v17, v18, vcc
	v_cmp_eq_u32_e32 vcc, 0, v23
	v_cndmask_b32_e32 v23, v19, v20, vcc
	v_add_u32_e32 v22, 0xff00, v22
	v_dot4_i32_i8 v21, v21, v38, 0
	v_or3_b32 v53, v23, v24, v22
	v_dot4_i32_i8 v47, v47, v39, v21
	global_load_dwordx4 v[21:24], v[43:44], off offset:16
	v_dot4_i32_i8 v38, v48, v38, 0
	v_dot4_i32_i8 v38, v50, v39, v38
	global_load_dword v39, v[4:5], off
	v_dot4_i32_i8 v43, v56, v40, v47
	s_waitcnt vmcnt(3)
	v_cvt_f32_f16_e32 v44, v55
	v_cvt_f32_f16_e32 v47, v54
	v_dot4_i32_i8 v38, v49, v40, v38
	v_dot4_i32_i8 v31, v45, v33, v31
	v_mul_f32_e32 v40, v44, v41
	v_mul_f32_e32 v41, v47, v41
	;; [unrolled: 1-line block ×6, first 2 shown]
	v_dot4_i32_i8 v47, v45, v25, v57
	v_dot4_i32_i8 v25, v42, v25, v58
	;; [unrolled: 1-line block ×6, first 2 shown]
	v_add_co_u32_e32 v4, vcc, 0x1200, v4
	v_cmp_le_u32_e64 s[0:1], s9, v12
	v_addc_co_u32_e32 v5, vcc, 0, v5, vcc
	s_or_b64 s[12:13], s[0:1], s[12:13]
	s_waitcnt vmcnt(1)
	v_dot4_i32_i8 v33, v45, v21, v43
	v_dot4_i32_i8 v21, v42, v21, v38
	;; [unrolled: 1-line block ×17, first 2 shown]
	s_waitcnt vmcnt(0)
	v_dot4_i32_i8 v22, v52, v39, v22
	v_dot4_i32_i8 v23, v53, v39, v23
	v_dot4_i32_i8 v24, v52, v51, v25
	v_dot4_i32_i8 v25, v53, v51, v26
	v_dot4_i32_i8 v26, v52, v63, v27
	v_dot4_i32_i8 v21, v53, v63, v21
	v_cvt_f32_i32_e32 v22, v22
	v_cvt_f32_i32_e32 v23, v23
	;; [unrolled: 1-line block ×6, first 2 shown]
	v_fmac_f32_e32 v11, v40, v22
	v_fmac_f32_e32 v10, v41, v23
	;; [unrolled: 1-line block ×6, first 2 shown]
	s_andn2_b64 exec, exec, s[12:13]
	s_cbranch_execnz .LBB6_2
; %bb.3:
	s_or_b64 exec, exec, s[12:13]
.LBB6_4:
	s_or_b64 exec, exec, s[10:11]
	v_cmp_eq_u32_e32 vcc, 0, v1
	v_cmp_ne_u32_e64 s[0:1], 0, v1
	s_and_saveexec_b64 s[10:11], s[0:1]
	s_cbranch_execz .LBB6_6
; %bb.5:
	v_mul_u32_u24_e32 v1, 0x600, v1
	v_lshl_or_b32 v1, v0, 2, v1
	v_add_u32_e32 v1, 0xfffffa00, v1
	ds_write2st64_b32 v1, v11, v10 offset1:1
	ds_write2st64_b32 v1, v9, v8 offset0:2 offset1:3
	ds_write2st64_b32 v1, v7, v6 offset0:4 offset1:5
.LBB6_6:
	s_or_b64 exec, exec, s[10:11]
	s_waitcnt lgkmcnt(0)
	s_barrier
	s_and_saveexec_b64 s[0:1], vcc
	s_cbranch_execz .LBB6_13
; %bb.7:
	v_lshlrev_b32_e32 v3, 2, v0
	v_mbcnt_lo_u32_b32 v1, -1, 0
	v_mbcnt_hi_u32_b32 v14, -1, v1
	ds_read2st64_b32 v[12:13], v3 offset1:1
	v_and_b32_e32 v1, 64, v14
	v_add_u32_e32 v15, 64, v1
	v_xor_b32_e32 v1, 32, v14
	v_cmp_lt_i32_e32 vcc, v1, v15
	v_cndmask_b32_e32 v1, v14, v1, vcc
	v_lshlrev_b32_e32 v1, 2, v1
	s_waitcnt lgkmcnt(0)
	v_add_f32_e32 v11, v12, v11
	v_add_f32_e32 v10, v13, v10
	ds_bpermute_b32 v12, v1, v11
	ds_bpermute_b32 v13, v1, v10
	v_xor_b32_e32 v2, 16, v14
	v_cmp_lt_i32_e32 vcc, v2, v15
	v_cndmask_b32_e32 v2, v14, v2, vcc
	v_lshlrev_b32_e32 v2, 2, v2
	s_waitcnt lgkmcnt(1)
	v_add_f32_e32 v11, v11, v12
	s_waitcnt lgkmcnt(0)
	v_add_f32_e32 v10, v10, v13
	ds_bpermute_b32 v12, v2, v11
	ds_bpermute_b32 v13, v2, v10
	v_xor_b32_e32 v4, 8, v14
	v_cmp_lt_i32_e32 vcc, v4, v15
	v_cndmask_b32_e32 v4, v14, v4, vcc
	v_lshlrev_b32_e32 v4, 2, v4
	s_waitcnt lgkmcnt(1)
	v_add_f32_e32 v11, v11, v12
	s_waitcnt lgkmcnt(0)
	;; [unrolled: 10-line block ×3, first 2 shown]
	v_add_f32_e32 v13, v13, v17
	ds_bpermute_b32 v12, v5, v11
	ds_bpermute_b32 v17, v5, v13
	v_xor_b32_e32 v16, 2, v14
	v_cmp_lt_i32_e32 vcc, v16, v15
	v_cndmask_b32_e32 v16, v14, v16, vcc
	v_lshlrev_b32_e32 v10, 2, v16
	v_xor_b32_e32 v16, 1, v14
	v_cmp_lt_i32_e32 vcc, v16, v15
	s_waitcnt lgkmcnt(1)
	v_add_f32_e32 v11, v11, v12
	s_waitcnt lgkmcnt(0)
	v_add_f32_e32 v15, v13, v17
	v_cndmask_b32_e32 v14, v14, v16, vcc
	ds_bpermute_b32 v12, v10, v11
	ds_bpermute_b32 v16, v10, v15
	s_load_dwordx2 s[0:1], s[4:5], 0x38
	s_mul_i32 s4, s14, s7
	v_lshlrev_b32_e32 v13, 2, v14
	s_waitcnt lgkmcnt(0)
	v_add_f32_e32 v11, v11, v12
	v_add_f32_e32 v14, v15, v16
	s_mul_i32 s3, s18, s8
	s_add_i32 s4, s4, s6
	ds_bpermute_b32 v12, v13, v11
	ds_bpermute_b32 v15, v13, v14
	s_add_i32 s4, s4, s3
	s_mov_b32 s5, 0
	s_lshl_b64 s[4:5], s[4:5], 2
	s_add_u32 s4, s0, s4
	v_add_u32_e32 v16, s6, v0
	s_addc_u32 s5, s1, s5
	v_cmp_gt_u32_e32 vcc, 2, v0
	v_cmp_gt_u32_e64 s[0:1], s2, v16
	s_and_b64 s[0:1], vcc, s[0:1]
	s_waitcnt lgkmcnt(1)
	v_add_f32_e32 v11, v11, v12
	s_waitcnt lgkmcnt(0)
	v_add_f32_e32 v12, v14, v15
	s_and_saveexec_b64 s[6:7], s[0:1]
	s_cbranch_execz .LBB6_9
; %bb.8:
	v_cmp_eq_u32_e32 vcc, 1, v0
	v_cndmask_b32_e32 v14, v11, v12, vcc
	v_cmp_eq_u32_e32 vcc, 2, v0
	v_cndmask_b32_e32 v14, v14, v9, vcc
	;; [unrolled: 2-line block ×5, first 2 shown]
	global_store_dword v3, v14, s[4:5]
.LBB6_9:
	s_or_b64 exec, exec, s[6:7]
	ds_read2st64_b32 v[14:15], v3 offset0:2 offset1:3
	s_waitcnt lgkmcnt(0)
	v_add_f32_e32 v9, v14, v9
	v_add_f32_e32 v8, v15, v8
	ds_bpermute_b32 v14, v1, v9
	ds_bpermute_b32 v15, v1, v8
	s_waitcnt lgkmcnt(1)
	v_add_f32_e32 v9, v9, v14
	s_waitcnt lgkmcnt(0)
	v_add_f32_e32 v8, v8, v15
	ds_bpermute_b32 v14, v2, v9
	ds_bpermute_b32 v15, v2, v8
	s_waitcnt lgkmcnt(1)
	v_add_f32_e32 v9, v9, v14
	s_waitcnt lgkmcnt(0)
	;; [unrolled: 6-line block ×6, first 2 shown]
	v_add_f32_e32 v8, v8, v15
	s_and_saveexec_b64 s[6:7], s[0:1]
	s_cbranch_execz .LBB6_11
; %bb.10:
	v_add_u32_e32 v14, 2, v0
	v_cmp_eq_u32_e32 vcc, 1, v14
	v_cndmask_b32_e32 v15, v11, v12, vcc
	v_cmp_eq_u32_e32 vcc, 2, v14
	v_cndmask_b32_e32 v15, v15, v9, vcc
	v_cmp_eq_u32_e32 vcc, 3, v14
	v_cndmask_b32_e32 v15, v15, v8, vcc
	v_cmp_eq_u32_e32 vcc, 4, v14
	v_cndmask_b32_e32 v15, v15, v7, vcc
	v_cmp_eq_u32_e32 vcc, 5, v14
	v_cndmask_b32_e32 v16, v15, v6, vcc
	v_add_u32_e32 v14, s2, v0
	v_mov_b32_e32 v15, 0
	v_lshlrev_b64 v[14:15], 2, v[14:15]
	v_mov_b32_e32 v17, s5
	v_add_co_u32_e32 v14, vcc, s4, v14
	v_addc_co_u32_e32 v15, vcc, v17, v15, vcc
	global_store_dword v[14:15], v16, off
.LBB6_11:
	s_or_b64 exec, exec, s[6:7]
	ds_read2st64_b32 v[14:15], v3 offset0:4 offset1:5
	s_waitcnt lgkmcnt(0)
	v_add_f32_e32 v3, v14, v7
	v_add_f32_e32 v6, v15, v6
	ds_bpermute_b32 v7, v1, v3
	ds_bpermute_b32 v1, v1, v6
	s_waitcnt lgkmcnt(1)
	v_add_f32_e32 v3, v3, v7
	s_waitcnt lgkmcnt(0)
	v_add_f32_e32 v1, v6, v1
	ds_bpermute_b32 v6, v2, v3
	ds_bpermute_b32 v2, v2, v1
	s_waitcnt lgkmcnt(1)
	v_add_f32_e32 v3, v3, v6
	s_waitcnt lgkmcnt(0)
	;; [unrolled: 6-line block ×5, first 2 shown]
	v_add_f32_e32 v2, v3, v4
	ds_bpermute_b32 v3, v13, v1
	ds_bpermute_b32 v4, v13, v2
	s_and_b64 exec, exec, s[0:1]
	s_cbranch_execz .LBB6_13
; %bb.12:
	s_waitcnt lgkmcnt(1)
	v_add_f32_e32 v1, v1, v3
	v_add_u32_e32 v3, 4, v0
	v_cmp_eq_u32_e32 vcc, 1, v3
	s_waitcnt lgkmcnt(0)
	v_add_f32_e32 v2, v2, v4
	v_cndmask_b32_e32 v4, v11, v12, vcc
	v_cmp_eq_u32_e32 vcc, 2, v3
	v_cndmask_b32_e32 v4, v4, v9, vcc
	v_cmp_eq_u32_e32 vcc, 3, v3
	;; [unrolled: 2-line block ×4, first 2 shown]
	v_cndmask_b32_e32 v2, v1, v2, vcc
	v_lshl_or_b32 v0, s2, 1, v0
	v_mov_b32_e32 v1, 0
	v_lshlrev_b64 v[0:1], 2, v[0:1]
	v_mov_b32_e32 v3, s5
	v_add_co_u32_e32 v0, vcc, s4, v0
	v_addc_co_u32_e32 v1, vcc, v3, v1, vcc
	global_store_dword v[0:1], v2, off
.LBB6_13:
	s_endpgm
	.section	.rodata,"a",@progbits
	.p2align	6, 0x0
	.amdhsa_kernel _ZL13mul_mat_vec_qIL9ggml_type41ELi3ELb0ELb0EEvPKvS2_PKi31ggml_cuda_mm_fusion_args_devicePfj15HIP_vector_typeIjLj3EEjjjS8_jjjS8_jjjj
		.amdhsa_group_segment_fixed_size 1536
		.amdhsa_private_segment_fixed_size 0
		.amdhsa_kernarg_size 144
		.amdhsa_user_sgpr_count 6
		.amdhsa_user_sgpr_private_segment_buffer 1
		.amdhsa_user_sgpr_dispatch_ptr 0
		.amdhsa_user_sgpr_queue_ptr 0
		.amdhsa_user_sgpr_kernarg_segment_ptr 1
		.amdhsa_user_sgpr_dispatch_id 0
		.amdhsa_user_sgpr_flat_scratch_init 0
		.amdhsa_user_sgpr_private_segment_size 0
		.amdhsa_uses_dynamic_stack 0
		.amdhsa_system_sgpr_private_segment_wavefront_offset 0
		.amdhsa_system_sgpr_workgroup_id_x 1
		.amdhsa_system_sgpr_workgroup_id_y 1
		.amdhsa_system_sgpr_workgroup_id_z 1
		.amdhsa_system_sgpr_workgroup_info 0
		.amdhsa_system_vgpr_workitem_id 1
		.amdhsa_next_free_vgpr 64
		.amdhsa_next_free_sgpr 26
		.amdhsa_reserve_vcc 1
		.amdhsa_reserve_flat_scratch 0
		.amdhsa_float_round_mode_32 0
		.amdhsa_float_round_mode_16_64 0
		.amdhsa_float_denorm_mode_32 3
		.amdhsa_float_denorm_mode_16_64 3
		.amdhsa_dx10_clamp 1
		.amdhsa_ieee_mode 1
		.amdhsa_fp16_overflow 0
		.amdhsa_exception_fp_ieee_invalid_op 0
		.amdhsa_exception_fp_denorm_src 0
		.amdhsa_exception_fp_ieee_div_zero 0
		.amdhsa_exception_fp_ieee_overflow 0
		.amdhsa_exception_fp_ieee_underflow 0
		.amdhsa_exception_fp_ieee_inexact 0
		.amdhsa_exception_int_div_zero 0
	.end_amdhsa_kernel
	.section	.text._ZL13mul_mat_vec_qIL9ggml_type41ELi3ELb0ELb0EEvPKvS2_PKi31ggml_cuda_mm_fusion_args_devicePfj15HIP_vector_typeIjLj3EEjjjS8_jjjS8_jjjj,"axG",@progbits,_ZL13mul_mat_vec_qIL9ggml_type41ELi3ELb0ELb0EEvPKvS2_PKi31ggml_cuda_mm_fusion_args_devicePfj15HIP_vector_typeIjLj3EEjjjS8_jjjS8_jjjj,comdat
.Lfunc_end6:
	.size	_ZL13mul_mat_vec_qIL9ggml_type41ELi3ELb0ELb0EEvPKvS2_PKi31ggml_cuda_mm_fusion_args_devicePfj15HIP_vector_typeIjLj3EEjjjS8_jjjS8_jjjj, .Lfunc_end6-_ZL13mul_mat_vec_qIL9ggml_type41ELi3ELb0ELb0EEvPKvS2_PKi31ggml_cuda_mm_fusion_args_devicePfj15HIP_vector_typeIjLj3EEjjjS8_jjjS8_jjjj
                                        ; -- End function
	.set _ZL13mul_mat_vec_qIL9ggml_type41ELi3ELb0ELb0EEvPKvS2_PKi31ggml_cuda_mm_fusion_args_devicePfj15HIP_vector_typeIjLj3EEjjjS8_jjjS8_jjjj.num_vgpr, 64
	.set _ZL13mul_mat_vec_qIL9ggml_type41ELi3ELb0ELb0EEvPKvS2_PKi31ggml_cuda_mm_fusion_args_devicePfj15HIP_vector_typeIjLj3EEjjjS8_jjjS8_jjjj.num_agpr, 0
	.set _ZL13mul_mat_vec_qIL9ggml_type41ELi3ELb0ELb0EEvPKvS2_PKi31ggml_cuda_mm_fusion_args_devicePfj15HIP_vector_typeIjLj3EEjjjS8_jjjS8_jjjj.numbered_sgpr, 26
	.set _ZL13mul_mat_vec_qIL9ggml_type41ELi3ELb0ELb0EEvPKvS2_PKi31ggml_cuda_mm_fusion_args_devicePfj15HIP_vector_typeIjLj3EEjjjS8_jjjS8_jjjj.num_named_barrier, 0
	.set _ZL13mul_mat_vec_qIL9ggml_type41ELi3ELb0ELb0EEvPKvS2_PKi31ggml_cuda_mm_fusion_args_devicePfj15HIP_vector_typeIjLj3EEjjjS8_jjjS8_jjjj.private_seg_size, 0
	.set _ZL13mul_mat_vec_qIL9ggml_type41ELi3ELb0ELb0EEvPKvS2_PKi31ggml_cuda_mm_fusion_args_devicePfj15HIP_vector_typeIjLj3EEjjjS8_jjjS8_jjjj.uses_vcc, 1
	.set _ZL13mul_mat_vec_qIL9ggml_type41ELi3ELb0ELb0EEvPKvS2_PKi31ggml_cuda_mm_fusion_args_devicePfj15HIP_vector_typeIjLj3EEjjjS8_jjjS8_jjjj.uses_flat_scratch, 0
	.set _ZL13mul_mat_vec_qIL9ggml_type41ELi3ELb0ELb0EEvPKvS2_PKi31ggml_cuda_mm_fusion_args_devicePfj15HIP_vector_typeIjLj3EEjjjS8_jjjS8_jjjj.has_dyn_sized_stack, 0
	.set _ZL13mul_mat_vec_qIL9ggml_type41ELi3ELb0ELb0EEvPKvS2_PKi31ggml_cuda_mm_fusion_args_devicePfj15HIP_vector_typeIjLj3EEjjjS8_jjjS8_jjjj.has_recursion, 0
	.set _ZL13mul_mat_vec_qIL9ggml_type41ELi3ELb0ELb0EEvPKvS2_PKi31ggml_cuda_mm_fusion_args_devicePfj15HIP_vector_typeIjLj3EEjjjS8_jjjS8_jjjj.has_indirect_call, 0
	.section	.AMDGPU.csdata,"",@progbits
; Kernel info:
; codeLenInByte = 3620
; TotalNumSgprs: 30
; NumVgprs: 64
; ScratchSize: 0
; MemoryBound: 0
; FloatMode: 240
; IeeeMode: 1
; LDSByteSize: 1536 bytes/workgroup (compile time only)
; SGPRBlocks: 3
; VGPRBlocks: 15
; NumSGPRsForWavesPerEU: 30
; NumVGPRsForWavesPerEU: 64
; Occupancy: 4
; WaveLimiterHint : 0
; COMPUTE_PGM_RSRC2:SCRATCH_EN: 0
; COMPUTE_PGM_RSRC2:USER_SGPR: 6
; COMPUTE_PGM_RSRC2:TRAP_HANDLER: 0
; COMPUTE_PGM_RSRC2:TGID_X_EN: 1
; COMPUTE_PGM_RSRC2:TGID_Y_EN: 1
; COMPUTE_PGM_RSRC2:TGID_Z_EN: 1
; COMPUTE_PGM_RSRC2:TIDIG_COMP_CNT: 1
	.section	.text._ZL13mul_mat_vec_qIL9ggml_type41ELi4ELb0ELb0EEvPKvS2_PKi31ggml_cuda_mm_fusion_args_devicePfj15HIP_vector_typeIjLj3EEjjjS8_jjjS8_jjjj,"axG",@progbits,_ZL13mul_mat_vec_qIL9ggml_type41ELi4ELb0ELb0EEvPKvS2_PKi31ggml_cuda_mm_fusion_args_devicePfj15HIP_vector_typeIjLj3EEjjjS8_jjjS8_jjjj,comdat
	.globl	_ZL13mul_mat_vec_qIL9ggml_type41ELi4ELb0ELb0EEvPKvS2_PKi31ggml_cuda_mm_fusion_args_devicePfj15HIP_vector_typeIjLj3EEjjjS8_jjjS8_jjjj ; -- Begin function _ZL13mul_mat_vec_qIL9ggml_type41ELi4ELb0ELb0EEvPKvS2_PKi31ggml_cuda_mm_fusion_args_devicePfj15HIP_vector_typeIjLj3EEjjjS8_jjjS8_jjjj
	.p2align	8
	.type	_ZL13mul_mat_vec_qIL9ggml_type41ELi4ELb0ELb0EEvPKvS2_PKi31ggml_cuda_mm_fusion_args_devicePfj15HIP_vector_typeIjLj3EEjjjS8_jjjS8_jjjj,@function
_ZL13mul_mat_vec_qIL9ggml_type41ELi4ELb0ELb0EEvPKvS2_PKi31ggml_cuda_mm_fusion_args_devicePfj15HIP_vector_typeIjLj3EEjjjS8_jjjS8_jjjj: ; @_ZL13mul_mat_vec_qIL9ggml_type41ELi4ELb0ELb0EEvPKvS2_PKi31ggml_cuda_mm_fusion_args_devicePfj15HIP_vector_typeIjLj3EEjjjS8_jjjS8_jjjj
; %bb.0:
	v_lshl_add_u32 v2, v1, 6, v0
	s_load_dword s2, s[4:5], 0x40
	s_load_dwordx4 s[48:51], s[4:5], 0x50
	s_load_dword s1, s[4:5], 0x60
	s_load_dwordx4 s[52:55], s[4:5], 0x68
	;; [unrolled: 2-line block ×3, first 2 shown]
	s_waitcnt lgkmcnt(0)
	s_lshr_b32 s9, s2, 7
	v_lshrrev_b32_e32 v19, 2, v2
	v_mov_b32_e32 v12, 0
	s_lshl_b32 s6, s6, 1
	v_cmp_gt_u32_e32 vcc, s9, v19
	v_mov_b32_e32 v13, v12
	v_mov_b32_e32 v14, v12
	;; [unrolled: 1-line block ×7, first 2 shown]
	s_and_saveexec_b64 s[64:65], vcc
	s_cbranch_execz .LBB7_4
; %bb.1:
	s_mul_hi_u32 s2, s51, s7
	s_load_dwordx4 s[60:63], s[4:5], 0x0
	s_add_i32 s2, s7, s2
	s_lshr_b32 s1, s2, s1
	s_mul_i32 s10, s1, s52
	s_mul_hi_u32 s1, s55, s8
	s_add_i32 s1, s8, s1
	s_mul_i32 s12, s57, s8
	s_lshr_b32 s0, s1, s0
	s_mul_i32 s1, s12, 36
	s_mul_i32 s11, s0, s56
	s_mul_hi_u32 s0, s12, 36
	s_waitcnt lgkmcnt(0)
	s_add_u32 s2, s62, s1
	s_addc_u32 s3, s63, s0
	s_mul_i32 s0, s53, s7
	s_mul_hi_u32 s1, s0, 36
	s_mul_i32 s0, s0, 36
	s_add_u32 s2, s2, s0
	s_addc_u32 s3, s3, s1
	v_and_b32_e32 v9, 3, v0
	v_mad_u64_u32 v[2:3], s[2:3], v9, 36, s[2:3]
	s_add_i32 s51, s11, s10
	s_mul_i32 s2, s6, s48
	s_add_i32 s33, s51, s2
	s_add_i32 s2, s6, 1
	s_mul_i32 s2, s48, s2
	v_mov_b32_e32 v5, s1
	s_add_i32 s51, s51, s2
	s_movk_i32 s2, 0x90
	v_mov_b32_e32 v4, s0
	v_mad_u64_u32 v[4:5], s[0:1], v19, s2, v[4:5]
	v_lshlrev_b32_e32 v6, 2, v19
	v_add_u32_e32 v21, s49, v6
	v_mad_u64_u32 v[7:8], s[0:1], s12, 36, v[4:5]
	v_lshl_add_u32 v22, s49, 1, v6
	v_mov_b32_e32 v11, 0
	v_mad_u64_u32 v[4:5], s[0:1], s49, 3, v[6:7]
	v_mad_u64_u32 v[7:8], s[0:1], v9, 36, v[7:8]
	v_mov_b32_e32 v5, s63
	v_lshlrev_b32_e32 v20, 2, v9
	v_add_co_u32_e32 v6, vcc, s62, v7
	v_addc_co_u32_e32 v7, vcc, v5, v8, vcc
	v_add_co_u32_e32 v5, vcc, 16, v6
	v_addc_co_u32_e32 v6, vcc, 0, v7, vcc
	s_mov_b64 s[48:49], 0
	v_mov_b32_e32 v23, 0xff
	s_movk_i32 s52, 0x200
	v_mov_b32_e32 v24, 0x10000
	v_mov_b32_e32 v25, 0xff0000
	;; [unrolled: 1-line block ×11, first 2 shown]
.LBB7_2:                                ; =>This Inner Loop Header: Depth=1
	v_add_u32_e32 v7, s33, v19
	v_mad_i64_i32 v[9:10], s[0:1], v7, 18, s[60:61]
	v_add_u32_e32 v8, s51, v19
	v_mad_i64_i32 v[7:8], s[0:1], v8, 18, s[60:61]
	v_add_co_u32_e32 v28, vcc, v9, v20
	v_addc_co_u32_e32 v29, vcc, 0, v10, vcc
	global_load_dword v28, v[28:29], off offset:2
	v_add_u32_e32 v19, 32, v19
	s_waitcnt vmcnt(0)
	v_and_b32_e32 v29, 1, v28
	v_cmp_eq_u32_e32 vcc, 0, v29
	v_and_b32_e32 v29, 0x800, v28
	v_and_b32_e32 v30, 4, v28
	;; [unrolled: 1-line block ×3, first 2 shown]
	v_cmp_eq_u32_e64 s[18:19], 0, v29
	v_and_b32_e32 v29, 0x40000, v28
	v_cmp_eq_u32_e64 s[0:1], 0, v30
	v_and_b32_e32 v30, 0x100, v28
	;; [unrolled: 2-line block ×4, first 2 shown]
	v_and_b32_e32 v31, 8, v28
	v_lshlrev_b32_e32 v32, 8, v28
	v_cmp_eq_u32_e64 s[20:21], 0, v30
	v_and_b32_e32 v30, 0x80000, v28
	v_cmp_eq_u32_e64 s[24:25], 0, v33
	v_and_b32_e32 v33, 0x100000, v28
	v_cmp_eq_u32_e64 s[42:43], 0, v29
	v_cndmask_b32_e32 v29, 1, v23, vcc
	v_and_b32_e32 v34, 64, v28
	v_and_b32_e32 v35, 0x80, v28
	v_lshlrev_b32_e32 v36, 4, v28
	v_cmp_eq_u32_e64 s[2:3], 0, v31
	v_cmp_eq_u32_e64 s[34:35], 0, v30
	;; [unrolled: 1-line block ×3, first 2 shown]
	v_and_b32_e32 v30, 0x4000000, v28
	v_and_b32_e32 v33, 0x8000000, v28
	v_and_or_b32 v29, v32, s52, v29
	v_cndmask_b32_e64 v32, 1, v23, s[10:11]
	v_cmp_eq_u32_e64 s[12:13], 0, v34
	v_cmp_eq_u32_e64 s[14:15], 0, v35
	;; [unrolled: 1-line block ×4, first 2 shown]
	v_cndmask_b32_e64 v30, v24, v25, s[0:1]
	v_cndmask_b32_e64 v33, v26, v27, s[2:3]
	v_add_u32_e32 v29, 0xff00, v29
	v_and_or_b32 v32, v36, s52, v32
	v_and_b32_e32 v37, 0x400, v28
	v_or3_b32 v29, v33, v30, v29
	v_cndmask_b32_e64 v30, v24, v25, s[12:13]
	v_cndmask_b32_e64 v33, v26, v27, s[14:15]
	;; [unrolled: 1-line block ×3, first 2 shown]
	v_add_u32_e32 v32, 0xff00, v32
	v_and_b32_e32 v31, 0x1000, v28
	v_cmp_eq_u32_e64 s[16:17], 0, v37
	v_or3_b32 v45, v33, v30, v32
	v_and_or_b32 v33, v28, s52, v36
	v_cmp_eq_u32_e64 s[22:23], 0, v31
	v_cndmask_b32_e64 v30, v24, v25, s[16:17]
	v_cndmask_b32_e64 v32, v26, v27, s[18:19]
	v_add_u32_e32 v33, 0xff00, v33
	v_and_b32_e32 v34, 0x8000, v28
	v_lshrrev_b32_e32 v35, 4, v28
	v_or3_b32 v46, v32, v30, v33
	v_cndmask_b32_e64 v30, 1, v23, s[22:23]
	v_and_b32_e32 v37, 0x10000, v28
	v_cmp_eq_u32_e64 s[26:27], 0, v34
	v_and_or_b32 v30, v35, s52, v30
	v_cmp_eq_u32_e64 s[28:29], 0, v37
	v_cndmask_b32_e64 v32, v24, v25, s[24:25]
	v_cndmask_b32_e64 v33, v26, v27, s[26:27]
	v_add_u32_e32 v30, 0xff00, v30
	v_lshrrev_b32_e32 v31, 8, v28
	v_or3_b32 v47, v33, v32, v30
	v_cndmask_b32_e64 v30, 1, v23, s[28:29]
	v_and_or_b32 v30, v31, s52, v30
	v_cndmask_b32_e64 v32, v24, v25, s[30:31]
	v_cndmask_b32_e64 v31, v26, v27, s[34:35]
	v_add_u32_e32 v30, 0xff00, v30
	v_and_b32_e32 v34, 0x400000, v28
	v_and_b32_e32 v37, 0x800000, v28
	v_lshrrev_b32_e32 v38, 12, v28
	v_or3_b32 v48, v31, v32, v30
	v_cndmask_b32_e64 v30, 1, v23, s[36:37]
	v_cmp_eq_u32_e64 s[38:39], 0, v34
	v_cmp_eq_u32_e64 s[40:41], 0, v37
	v_and_or_b32 v30, v38, s52, v30
	v_cndmask_b32_e64 v31, v24, v25, s[38:39]
	v_cndmask_b32_e64 v32, v26, v27, s[40:41]
	v_add_u32_e32 v30, 0xff00, v30
	v_lshrrev_b32_e32 v34, 16, v28
	v_or3_b32 v49, v32, v31, v30
	v_cndmask_b32_e64 v30, 1, v23, s[42:43]
	v_and_or_b32 v30, v34, s52, v30
	v_cndmask_b32_e64 v31, v24, v25, s[44:45]
	v_cndmask_b32_e64 v32, v26, v27, s[46:47]
	v_add_u32_e32 v30, 0xff00, v30
	v_or3_b32 v50, v32, v31, v30
	v_add_co_u32_e32 v30, vcc, v7, v20
	v_addc_co_u32_e32 v31, vcc, 0, v8, vcc
	global_load_dword v30, v[30:31], off offset:2
	s_waitcnt vmcnt(0)
	v_and_b32_e32 v31, 1, v30
	v_cmp_eq_u32_e32 vcc, 0, v31
	v_and_b32_e32 v31, 4, v30
	v_cmp_eq_u32_e64 s[0:1], 0, v31
	v_and_b32_e32 v31, 8, v30
	v_cmp_eq_u32_e64 s[2:3], 0, v31
	v_lshlrev_b32_e32 v31, 8, v30
	v_cndmask_b32_e32 v32, 1, v23, vcc
	v_and_or_b32 v31, v31, s52, v32
	v_add_u32_e32 v31, 0xff00, v31
	v_cndmask_b32_e64 v32, v24, v25, s[0:1]
	v_cndmask_b32_e64 v33, v26, v27, s[2:3]
	v_or3_b32 v38, v33, v32, v31
	v_and_b32_e32 v31, 16, v30
	v_cmp_eq_u32_e32 vcc, 0, v31
	v_and_b32_e32 v31, 64, v30
	v_cmp_eq_u32_e64 s[0:1], 0, v31
	v_and_b32_e32 v31, 0x80, v30
	v_cmp_eq_u32_e64 s[2:3], 0, v31
	v_lshlrev_b32_e32 v31, 4, v30
	v_cndmask_b32_e32 v32, 1, v23, vcc
	v_and_or_b32 v31, v31, s52, v32
	v_add_u32_e32 v31, 0xff00, v31
	v_cndmask_b32_e64 v32, v24, v25, s[0:1]
	v_cndmask_b32_e64 v33, v26, v27, s[2:3]
	v_or3_b32 v51, v33, v32, v31
	v_and_b32_e32 v31, 0x400, v30
	v_cmp_eq_u32_e32 vcc, 0, v31
	v_and_b32_e32 v31, 0x800, v30
	v_cmp_eq_u32_e64 s[0:1], 0, v31
	v_and_b32_e32 v31, 0x100, v30
	v_cmp_eq_u32_e64 s[2:3], 0, v31
	v_cndmask_b32_e64 v31, 1, v23, s[2:3]
	v_and_or_b32 v31, v30, s52, v31
	v_add_u32_e32 v31, 0xff00, v31
	v_cndmask_b32_e32 v32, v24, v25, vcc
	v_cndmask_b32_e64 v33, v26, v27, s[0:1]
	v_or3_b32 v52, v33, v32, v31
	v_and_b32_e32 v31, 0x1000, v30
	v_cmp_eq_u32_e32 vcc, 0, v31
	v_and_b32_e32 v31, 0x4000, v30
	v_cmp_eq_u32_e64 s[0:1], 0, v31
	v_and_b32_e32 v31, 0x8000, v30
	v_cmp_eq_u32_e64 s[2:3], 0, v31
	v_lshrrev_b32_e32 v31, 4, v30
	v_cndmask_b32_e32 v32, 1, v23, vcc
	v_and_or_b32 v31, v31, s52, v32
	v_add_u32_e32 v31, 0xff00, v31
	v_cndmask_b32_e64 v32, v24, v25, s[0:1]
	v_cndmask_b32_e64 v33, v26, v27, s[2:3]
	v_or3_b32 v53, v33, v32, v31
	v_and_b32_e32 v31, 0x10000, v30
	v_cmp_eq_u32_e32 vcc, 0, v31
	v_and_b32_e32 v31, 0x40000, v30
	v_cmp_eq_u32_e64 s[0:1], 0, v31
	v_and_b32_e32 v31, 0x80000, v30
	v_cmp_eq_u32_e64 s[2:3], 0, v31
	v_lshrrev_b32_e32 v31, 8, v30
	v_cndmask_b32_e32 v32, 1, v23, vcc
	v_and_or_b32 v31, v31, s52, v32
	v_add_u32_e32 v31, 0xff00, v31
	v_cndmask_b32_e64 v32, v24, v25, s[0:1]
	v_cndmask_b32_e64 v33, v26, v27, s[2:3]
	v_or3_b32 v54, v33, v32, v31
	v_and_b32_e32 v31, 0x100000, v30
	v_cmp_eq_u32_e32 vcc, 0, v31
	v_and_b32_e32 v31, 0x400000, v30
	v_cmp_eq_u32_e64 s[0:1], 0, v31
	v_and_b32_e32 v31, 0x800000, v30
	v_cmp_eq_u32_e64 s[2:3], 0, v31
	v_lshrrev_b32_e32 v31, 12, v30
	v_cndmask_b32_e32 v32, 1, v23, vcc
	v_and_or_b32 v31, v31, s52, v32
	v_add_u32_e32 v31, 0xff00, v31
	v_cndmask_b32_e64 v32, v24, v25, s[0:1]
	v_cndmask_b32_e64 v33, v26, v27, s[2:3]
	v_or3_b32 v55, v33, v32, v31
	v_and_b32_e32 v31, 0x1000000, v30
	v_cmp_eq_u32_e32 vcc, 0, v31
	v_and_b32_e32 v31, 0x4000000, v30
	v_cmp_eq_u32_e64 s[0:1], 0, v31
	v_and_b32_e32 v31, 0x8000000, v30
	v_cmp_eq_u32_e64 s[2:3], 0, v31
	v_lshrrev_b32_e32 v31, 16, v30
	v_cndmask_b32_e32 v32, 1, v23, vcc
	v_and_or_b32 v31, v31, s52, v32
	v_add_u32_e32 v31, 0xff00, v31
	v_cndmask_b32_e64 v32, v24, v25, s[0:1]
	v_cndmask_b32_e64 v33, v26, v27, s[2:3]
	v_or3_b32 v56, v33, v32, v31
	global_load_dwordx4 v[31:34], v[5:6], off offset:-16
	v_mad_u64_u32 v[39:40], s[0:1], v21, 36, v[2:3]
	v_add_u32_e32 v21, 0x80, v21
	s_waitcnt vmcnt(0)
	v_dot4_i32_i8 v35, v29, v32, 0
	v_dot4_i32_i8 v32, v38, v32, 0
	;; [unrolled: 1-line block ×6, first 2 shown]
	global_load_dwordx4 v[32:35], v[5:6], off
	v_cvt_f32_f16_e32 v31, v31
	s_waitcnt vmcnt(0)
	v_dot4_i32_i8 v36, v47, v32, v36
	v_dot4_i32_i8 v32, v53, v32, v37
	;; [unrolled: 1-line block ×8, first 2 shown]
	global_load_dwordx4 v[32:35], v[39:40], off
	s_waitcnt vmcnt(0)
	v_dot4_i32_i8 v36, v29, v33, 0
	v_dot4_i32_i8 v33, v38, v33, 0
	v_dot4_i32_i8 v36, v45, v34, v36
	v_dot4_i32_i8 v33, v51, v34, v33
	v_dot4_i32_i8 v37, v46, v35, v36
	v_dot4_i32_i8 v41, v52, v35, v33
	global_load_dwordx4 v[33:36], v[39:40], off offset:16
	v_cvt_f32_f16_e32 v32, v32
	s_waitcnt vmcnt(0)
	v_dot4_i32_i8 v37, v47, v33, v37
	v_dot4_i32_i8 v33, v53, v33, v41
	v_mad_u64_u32 v[41:42], s[0:1], v22, 36, v[2:3]
	v_dot4_i32_i8 v37, v48, v34, v37
	v_dot4_i32_i8 v33, v54, v34, v33
	;; [unrolled: 1-line block ×6, first 2 shown]
	global_load_dwordx4 v[33:36], v[41:42], off
	v_add_u32_e32 v22, 0x80, v22
	s_waitcnt vmcnt(0)
	v_dot4_i32_i8 v37, v29, v34, 0
	v_dot4_i32_i8 v34, v38, v34, 0
	;; [unrolled: 1-line block ×6, first 2 shown]
	global_load_dwordx4 v[34:37], v[41:42], off offset:16
	v_cvt_f32_f16_e32 v33, v33
	s_waitcnt vmcnt(0)
	v_dot4_i32_i8 v43, v47, v34, v43
	v_dot4_i32_i8 v34, v53, v34, v44
	v_dot4_i32_i8 v43, v48, v35, v43
	v_dot4_i32_i8 v34, v54, v35, v34
	v_dot4_i32_i8 v35, v49, v36, v43
	v_mad_u64_u32 v[43:44], s[0:1], v4, 36, v[2:3]
	v_dot4_i32_i8 v34, v55, v36, v34
	v_dot4_i32_i8 v61, v50, v37, v35
	;; [unrolled: 1-line block ×3, first 2 shown]
	global_load_dwordx4 v[34:37], v[43:44], off
	v_add_u32_e32 v4, 0x80, v4
	s_waitcnt vmcnt(0)
	v_dot4_i32_i8 v29, v29, v35, 0
	v_dot4_i32_i8 v35, v38, v35, 0
	;; [unrolled: 1-line block ×6, first 2 shown]
	global_load_dwordx4 v[35:38], v[43:44], off offset:16
	v_cvt_f32_f16_e32 v34, v34
	s_waitcnt vmcnt(0)
	v_dot4_i32_i8 v29, v47, v35, v29
	v_dot4_i32_i8 v35, v53, v35, v45
	;; [unrolled: 1-line block ×4, first 2 shown]
	v_and_b32_e32 v36, 0x10000000, v28
	v_cmp_eq_u32_e32 vcc, 0, v36
	v_and_b32_e32 v36, 2.0, v28
	v_ashrrev_i32_e32 v28, 28, v28
	v_cmp_eq_u32_e64 s[0:1], 0, v36
	v_and_b32_e32 v36, 8, v28
	v_cmp_eq_u32_e64 s[2:3], 0, v36
	v_lshlrev_b32_e32 v28, 8, v28
	v_cndmask_b32_e32 v36, 1, v23, vcc
	v_and_or_b32 v28, v28, s52, v36
	v_dot4_i32_i8 v29, v49, v37, v29
	v_dot4_i32_i8 v35, v55, v37, v35
	v_add_u32_e32 v28, 0xff00, v28
	v_cndmask_b32_e64 v36, v24, v25, s[0:1]
	v_cndmask_b32_e64 v37, v26, v27, s[2:3]
	v_or3_b32 v28, v37, v36, v28
	v_and_b32_e32 v36, 0x10000000, v30
	v_cmp_eq_u32_e32 vcc, 0, v36
	v_and_b32_e32 v36, 2.0, v30
	v_ashrrev_i32_e32 v30, 28, v30
	v_cmp_eq_u32_e64 s[0:1], 0, v36
	v_and_b32_e32 v36, 8, v30
	v_cmp_eq_u32_e64 s[2:3], 0, v36
	v_lshlrev_b32_e32 v30, 8, v30
	v_cndmask_b32_e32 v36, 1, v23, vcc
	v_and_or_b32 v30, v30, s52, v36
	v_add_u32_e32 v30, 0xff00, v30
	v_cndmask_b32_e64 v36, v24, v25, s[0:1]
	v_cndmask_b32_e64 v37, v26, v27, s[2:3]
	v_dot4_i32_i8 v29, v50, v38, v29
	v_dot4_i32_i8 v35, v56, v38, v35
	v_or3_b32 v30, v37, v36, v30
	global_load_dword v36, v[39:40], off offset:32
	global_load_dword v37, v[41:42], off offset:32
	;; [unrolled: 1-line block ×4, first 2 shown]
	v_add_co_u32_e32 v5, vcc, 0x1200, v5
	global_load_ushort v9, v[9:10], off
	v_cmp_le_u32_e64 s[0:1], s9, v19
	global_load_ushort v7, v[7:8], off
	v_addc_co_u32_e32 v6, vcc, 0, v6, vcc
	s_or_b64 s[48:49], s[0:1], s[48:49]
	s_waitcnt vmcnt(5)
	v_dot4_i32_i8 v41, v28, v36, v59
	v_dot4_i32_i8 v36, v30, v36, v60
	s_waitcnt vmcnt(4)
	v_dot4_i32_i8 v42, v28, v37, v61
	s_waitcnt vmcnt(2)
	v_dot4_i32_i8 v39, v28, v45, v57
	v_cvt_f32_i32_e32 v10, v39
	v_dot4_i32_i8 v40, v30, v45, v58
	s_waitcnt vmcnt(1)
	v_cvt_f32_f16_e32 v9, v9
	v_dot4_i32_i8 v37, v30, v37, v62
	s_waitcnt vmcnt(0)
	v_cvt_f32_f16_e32 v7, v7
	v_dot4_i32_i8 v28, v28, v38, v29
	v_dot4_i32_i8 v29, v30, v38, v35
	v_mul_f32_e32 v30, v9, v31
	v_fmac_f32_e32 v18, v30, v10
	v_mul_f32_e32 v8, v7, v31
	v_mul_f32_e32 v10, v9, v32
	;; [unrolled: 1-line block ×7, first 2 shown]
	v_cvt_f32_i32_e32 v33, v40
	v_cvt_f32_i32_e32 v34, v41
	;; [unrolled: 1-line block ×7, first 2 shown]
	v_fmac_f32_e32 v17, v8, v33
	v_fmac_f32_e32 v16, v10, v34
	;; [unrolled: 1-line block ×7, first 2 shown]
	s_andn2_b64 exec, exec, s[48:49]
	s_cbranch_execnz .LBB7_2
; %bb.3:
	s_or_b64 exec, exec, s[48:49]
.LBB7_4:
	s_or_b64 exec, exec, s[64:65]
	v_cmp_eq_u32_e32 vcc, 0, v1
	v_cmp_ne_u32_e64 s[0:1], 0, v1
	v_lshlrev_b32_e32 v2, 2, v0
	s_and_saveexec_b64 s[2:3], s[0:1]
	s_cbranch_execz .LBB7_6
; %bb.5:
	v_lshl_or_b32 v1, v1, 11, v2
	v_add_u32_e32 v1, 0xfffff800, v1
	ds_write2st64_b32 v1, v18, v17 offset1:1
	ds_write2st64_b32 v1, v16, v15 offset0:2 offset1:3
	ds_write2st64_b32 v1, v14, v13 offset0:4 offset1:5
	;; [unrolled: 1-line block ×3, first 2 shown]
.LBB7_6:
	s_or_b64 exec, exec, s[2:3]
	s_waitcnt lgkmcnt(0)
	s_barrier
	s_and_saveexec_b64 s[0:1], vcc
	s_cbranch_execz .LBB7_15
; %bb.7:
	v_mbcnt_lo_u32_b32 v1, -1, 0
	v_mbcnt_hi_u32_b32 v7, -1, v1
	ds_read2st64_b32 v[5:6], v2 offset1:1
	v_and_b32_e32 v1, 64, v7
	v_add_u32_e32 v8, 64, v1
	v_xor_b32_e32 v1, 32, v7
	v_cmp_lt_i32_e32 vcc, v1, v8
	v_cndmask_b32_e32 v1, v7, v1, vcc
	v_lshlrev_b32_e32 v1, 2, v1
	s_waitcnt lgkmcnt(0)
	v_add_f32_e32 v10, v5, v18
	v_add_f32_e32 v6, v6, v17
	ds_bpermute_b32 v18, v1, v10
	ds_bpermute_b32 v17, v1, v6
	v_xor_b32_e32 v3, 16, v7
	v_cmp_lt_i32_e32 vcc, v3, v8
	v_cndmask_b32_e32 v3, v7, v3, vcc
	v_lshlrev_b32_e32 v3, 2, v3
	s_waitcnt lgkmcnt(1)
	v_add_f32_e32 v10, v10, v18
	s_waitcnt lgkmcnt(0)
	v_add_f32_e32 v6, v6, v17
	ds_bpermute_b32 v18, v3, v10
	ds_bpermute_b32 v17, v3, v6
	v_xor_b32_e32 v4, 8, v7
	v_cmp_lt_i32_e32 vcc, v4, v8
	v_cndmask_b32_e32 v4, v7, v4, vcc
	v_lshlrev_b32_e32 v4, 2, v4
	s_waitcnt lgkmcnt(1)
	v_add_f32_e32 v10, v10, v18
	s_waitcnt lgkmcnt(0)
	;; [unrolled: 10-line block ×3, first 2 shown]
	v_add_f32_e32 v17, v17, v19
	ds_bpermute_b32 v18, v5, v10
	ds_bpermute_b32 v19, v5, v17
	v_xor_b32_e32 v9, 2, v7
	v_cmp_lt_i32_e32 vcc, v9, v8
	v_cndmask_b32_e32 v9, v7, v9, vcc
	v_lshlrev_b32_e32 v6, 2, v9
	v_xor_b32_e32 v9, 1, v7
	v_cmp_lt_i32_e32 vcc, v9, v8
	s_waitcnt lgkmcnt(1)
	v_add_f32_e32 v8, v10, v18
	s_waitcnt lgkmcnt(0)
	v_add_f32_e32 v17, v17, v19
	ds_bpermute_b32 v10, v6, v8
	ds_bpermute_b32 v18, v6, v17
	s_load_dwordx2 s[0:1], s[4:5], 0x38
	v_cndmask_b32_e32 v7, v7, v9, vcc
	s_mul_i32 s3, s54, s7
	v_lshlrev_b32_e32 v9, 2, v7
	s_waitcnt lgkmcnt(0)
	v_add_f32_e32 v7, v8, v10
	v_add_f32_e32 v10, v17, v18
	s_mul_i32 s2, s58, s8
	s_add_i32 s3, s3, s6
	ds_bpermute_b32 v8, v9, v7
	ds_bpermute_b32 v17, v9, v10
	s_add_i32 s2, s3, s2
	s_mov_b32 s3, 0
	s_lshl_b64 s[2:3], s[2:3], 2
	s_add_u32 s2, s0, s2
	v_add_u32_e32 v18, s6, v0
	s_addc_u32 s3, s1, s3
	v_cmp_gt_u32_e32 vcc, 2, v0
	v_cmp_gt_u32_e64 s[0:1], s50, v18
	s_and_b64 s[0:1], vcc, s[0:1]
	s_waitcnt lgkmcnt(1)
	v_add_f32_e32 v7, v7, v8
	s_waitcnt lgkmcnt(0)
	v_add_f32_e32 v8, v10, v17
	s_and_saveexec_b64 s[4:5], s[0:1]
	s_cbranch_execz .LBB7_9
; %bb.8:
	v_cmp_eq_u32_e32 vcc, 1, v0
	v_cndmask_b32_e32 v10, v7, v8, vcc
	v_cmp_eq_u32_e32 vcc, 2, v0
	v_cndmask_b32_e32 v10, v10, v16, vcc
	;; [unrolled: 2-line block ×7, first 2 shown]
	global_store_dword v2, v10, s[2:3]
.LBB7_9:
	s_or_b64 exec, exec, s[4:5]
	ds_read2st64_b32 v[17:18], v2 offset0:2 offset1:3
	s_waitcnt lgkmcnt(0)
	v_add_f32_e32 v10, v17, v16
	v_add_f32_e32 v15, v18, v15
	ds_bpermute_b32 v16, v1, v10
	ds_bpermute_b32 v17, v1, v15
	s_waitcnt lgkmcnt(1)
	v_add_f32_e32 v10, v10, v16
	s_waitcnt lgkmcnt(0)
	v_add_f32_e32 v15, v15, v17
	ds_bpermute_b32 v16, v3, v10
	ds_bpermute_b32 v17, v3, v15
	s_waitcnt lgkmcnt(1)
	v_add_f32_e32 v10, v10, v16
	s_waitcnt lgkmcnt(0)
	;; [unrolled: 6-line block ×6, first 2 shown]
	v_add_f32_e32 v10, v16, v17
	s_and_saveexec_b64 s[4:5], s[0:1]
	s_cbranch_execz .LBB7_11
; %bb.10:
	v_add_u32_e32 v16, 2, v0
	v_cmp_eq_u32_e32 vcc, 1, v16
	v_cndmask_b32_e32 v17, v7, v8, vcc
	v_cmp_eq_u32_e32 vcc, 2, v16
	v_cndmask_b32_e32 v17, v17, v15, vcc
	;; [unrolled: 2-line block ×7, first 2 shown]
	v_add_u32_e32 v16, s50, v0
	v_mov_b32_e32 v17, 0
	v_lshlrev_b64 v[16:17], 2, v[16:17]
	v_mov_b32_e32 v19, s3
	v_add_co_u32_e32 v16, vcc, s2, v16
	v_addc_co_u32_e32 v17, vcc, v19, v17, vcc
	global_store_dword v[16:17], v18, off
.LBB7_11:
	s_or_b64 exec, exec, s[4:5]
	ds_read2st64_b32 v[16:17], v2 offset0:4 offset1:5
	s_waitcnt lgkmcnt(0)
	v_add_f32_e32 v14, v16, v14
	v_add_f32_e32 v13, v17, v13
	ds_bpermute_b32 v16, v1, v14
	ds_bpermute_b32 v17, v1, v13
	s_waitcnt lgkmcnt(1)
	v_add_f32_e32 v14, v14, v16
	s_waitcnt lgkmcnt(0)
	v_add_f32_e32 v13, v13, v17
	ds_bpermute_b32 v16, v3, v14
	ds_bpermute_b32 v17, v3, v13
	s_waitcnt lgkmcnt(1)
	v_add_f32_e32 v14, v14, v16
	s_waitcnt lgkmcnt(0)
	;; [unrolled: 6-line block ×6, first 2 shown]
	v_add_f32_e32 v13, v13, v17
	s_and_saveexec_b64 s[4:5], s[0:1]
	s_cbranch_execz .LBB7_13
; %bb.12:
	v_add_u32_e32 v16, 4, v0
	v_cmp_eq_u32_e32 vcc, 1, v16
	v_cndmask_b32_e32 v17, v7, v8, vcc
	v_cmp_eq_u32_e32 vcc, 2, v16
	v_cndmask_b32_e32 v17, v17, v15, vcc
	;; [unrolled: 2-line block ×7, first 2 shown]
	v_lshl_or_b32 v16, s50, 1, v0
	v_mov_b32_e32 v17, 0
	v_lshlrev_b64 v[16:17], 2, v[16:17]
	v_mov_b32_e32 v19, s3
	v_add_co_u32_e32 v16, vcc, s2, v16
	v_addc_co_u32_e32 v17, vcc, v19, v17, vcc
	global_store_dword v[16:17], v18, off
.LBB7_13:
	s_or_b64 exec, exec, s[4:5]
	ds_read2st64_b32 v[16:17], v2 offset0:6 offset1:7
	s_waitcnt lgkmcnt(0)
	v_add_f32_e32 v2, v16, v12
	v_add_f32_e32 v11, v17, v11
	ds_bpermute_b32 v12, v1, v2
	ds_bpermute_b32 v1, v1, v11
	s_waitcnt lgkmcnt(1)
	v_add_f32_e32 v2, v2, v12
	s_waitcnt lgkmcnt(0)
	v_add_f32_e32 v1, v11, v1
	ds_bpermute_b32 v11, v3, v2
	ds_bpermute_b32 v3, v3, v1
	s_waitcnt lgkmcnt(1)
	v_add_f32_e32 v2, v2, v11
	s_waitcnt lgkmcnt(0)
	;; [unrolled: 6-line block ×5, first 2 shown]
	v_add_f32_e32 v2, v3, v4
	ds_bpermute_b32 v3, v9, v1
	ds_bpermute_b32 v4, v9, v2
	s_and_b64 exec, exec, s[0:1]
	s_cbranch_execz .LBB7_15
; %bb.14:
	s_waitcnt lgkmcnt(1)
	v_add_f32_e32 v1, v1, v3
	v_add_u32_e32 v3, 6, v0
	v_cmp_eq_u32_e32 vcc, 1, v3
	s_waitcnt lgkmcnt(0)
	v_add_f32_e32 v2, v2, v4
	v_cndmask_b32_e32 v4, v7, v8, vcc
	v_cmp_eq_u32_e32 vcc, 2, v3
	v_cndmask_b32_e32 v4, v4, v15, vcc
	v_cmp_eq_u32_e32 vcc, 3, v3
	;; [unrolled: 2-line block ×5, first 2 shown]
	v_cndmask_b32_e32 v4, v4, v1, vcc
	v_mad_u64_u32 v[0:1], s[0:1], s50, 3, v[0:1]
	v_mov_b32_e32 v1, 0
	v_cmp_eq_u32_e32 vcc, 7, v3
	v_lshlrev_b64 v[0:1], 2, v[0:1]
	v_cndmask_b32_e32 v2, v4, v2, vcc
	v_mov_b32_e32 v3, s3
	v_add_co_u32_e32 v0, vcc, s2, v0
	v_addc_co_u32_e32 v1, vcc, v3, v1, vcc
	global_store_dword v[0:1], v2, off
.LBB7_15:
	s_endpgm
	.section	.rodata,"a",@progbits
	.p2align	6, 0x0
	.amdhsa_kernel _ZL13mul_mat_vec_qIL9ggml_type41ELi4ELb0ELb0EEvPKvS2_PKi31ggml_cuda_mm_fusion_args_devicePfj15HIP_vector_typeIjLj3EEjjjS8_jjjS8_jjjj
		.amdhsa_group_segment_fixed_size 2048
		.amdhsa_private_segment_fixed_size 0
		.amdhsa_kernarg_size 144
		.amdhsa_user_sgpr_count 6
		.amdhsa_user_sgpr_private_segment_buffer 1
		.amdhsa_user_sgpr_dispatch_ptr 0
		.amdhsa_user_sgpr_queue_ptr 0
		.amdhsa_user_sgpr_kernarg_segment_ptr 1
		.amdhsa_user_sgpr_dispatch_id 0
		.amdhsa_user_sgpr_flat_scratch_init 0
		.amdhsa_user_sgpr_private_segment_size 0
		.amdhsa_uses_dynamic_stack 0
		.amdhsa_system_sgpr_private_segment_wavefront_offset 0
		.amdhsa_system_sgpr_workgroup_id_x 1
		.amdhsa_system_sgpr_workgroup_id_y 1
		.amdhsa_system_sgpr_workgroup_id_z 1
		.amdhsa_system_sgpr_workgroup_info 0
		.amdhsa_system_vgpr_workitem_id 1
		.amdhsa_next_free_vgpr 63
		.amdhsa_next_free_sgpr 66
		.amdhsa_reserve_vcc 1
		.amdhsa_reserve_flat_scratch 0
		.amdhsa_float_round_mode_32 0
		.amdhsa_float_round_mode_16_64 0
		.amdhsa_float_denorm_mode_32 3
		.amdhsa_float_denorm_mode_16_64 3
		.amdhsa_dx10_clamp 1
		.amdhsa_ieee_mode 1
		.amdhsa_fp16_overflow 0
		.amdhsa_exception_fp_ieee_invalid_op 0
		.amdhsa_exception_fp_denorm_src 0
		.amdhsa_exception_fp_ieee_div_zero 0
		.amdhsa_exception_fp_ieee_overflow 0
		.amdhsa_exception_fp_ieee_underflow 0
		.amdhsa_exception_fp_ieee_inexact 0
		.amdhsa_exception_int_div_zero 0
	.end_amdhsa_kernel
	.section	.text._ZL13mul_mat_vec_qIL9ggml_type41ELi4ELb0ELb0EEvPKvS2_PKi31ggml_cuda_mm_fusion_args_devicePfj15HIP_vector_typeIjLj3EEjjjS8_jjjS8_jjjj,"axG",@progbits,_ZL13mul_mat_vec_qIL9ggml_type41ELi4ELb0ELb0EEvPKvS2_PKi31ggml_cuda_mm_fusion_args_devicePfj15HIP_vector_typeIjLj3EEjjjS8_jjjS8_jjjj,comdat
.Lfunc_end7:
	.size	_ZL13mul_mat_vec_qIL9ggml_type41ELi4ELb0ELb0EEvPKvS2_PKi31ggml_cuda_mm_fusion_args_devicePfj15HIP_vector_typeIjLj3EEjjjS8_jjjS8_jjjj, .Lfunc_end7-_ZL13mul_mat_vec_qIL9ggml_type41ELi4ELb0ELb0EEvPKvS2_PKi31ggml_cuda_mm_fusion_args_devicePfj15HIP_vector_typeIjLj3EEjjjS8_jjjS8_jjjj
                                        ; -- End function
	.set _ZL13mul_mat_vec_qIL9ggml_type41ELi4ELb0ELb0EEvPKvS2_PKi31ggml_cuda_mm_fusion_args_devicePfj15HIP_vector_typeIjLj3EEjjjS8_jjjS8_jjjj.num_vgpr, 63
	.set _ZL13mul_mat_vec_qIL9ggml_type41ELi4ELb0ELb0EEvPKvS2_PKi31ggml_cuda_mm_fusion_args_devicePfj15HIP_vector_typeIjLj3EEjjjS8_jjjS8_jjjj.num_agpr, 0
	.set _ZL13mul_mat_vec_qIL9ggml_type41ELi4ELb0ELb0EEvPKvS2_PKi31ggml_cuda_mm_fusion_args_devicePfj15HIP_vector_typeIjLj3EEjjjS8_jjjS8_jjjj.numbered_sgpr, 66
	.set _ZL13mul_mat_vec_qIL9ggml_type41ELi4ELb0ELb0EEvPKvS2_PKi31ggml_cuda_mm_fusion_args_devicePfj15HIP_vector_typeIjLj3EEjjjS8_jjjS8_jjjj.num_named_barrier, 0
	.set _ZL13mul_mat_vec_qIL9ggml_type41ELi4ELb0ELb0EEvPKvS2_PKi31ggml_cuda_mm_fusion_args_devicePfj15HIP_vector_typeIjLj3EEjjjS8_jjjS8_jjjj.private_seg_size, 0
	.set _ZL13mul_mat_vec_qIL9ggml_type41ELi4ELb0ELb0EEvPKvS2_PKi31ggml_cuda_mm_fusion_args_devicePfj15HIP_vector_typeIjLj3EEjjjS8_jjjS8_jjjj.uses_vcc, 1
	.set _ZL13mul_mat_vec_qIL9ggml_type41ELi4ELb0ELb0EEvPKvS2_PKi31ggml_cuda_mm_fusion_args_devicePfj15HIP_vector_typeIjLj3EEjjjS8_jjjS8_jjjj.uses_flat_scratch, 0
	.set _ZL13mul_mat_vec_qIL9ggml_type41ELi4ELb0ELb0EEvPKvS2_PKi31ggml_cuda_mm_fusion_args_devicePfj15HIP_vector_typeIjLj3EEjjjS8_jjjS8_jjjj.has_dyn_sized_stack, 0
	.set _ZL13mul_mat_vec_qIL9ggml_type41ELi4ELb0ELb0EEvPKvS2_PKi31ggml_cuda_mm_fusion_args_devicePfj15HIP_vector_typeIjLj3EEjjjS8_jjjS8_jjjj.has_recursion, 0
	.set _ZL13mul_mat_vec_qIL9ggml_type41ELi4ELb0ELb0EEvPKvS2_PKi31ggml_cuda_mm_fusion_args_devicePfj15HIP_vector_typeIjLj3EEjjjS8_jjjS8_jjjj.has_indirect_call, 0
	.section	.AMDGPU.csdata,"",@progbits
; Kernel info:
; codeLenInByte = 4340
; TotalNumSgprs: 70
; NumVgprs: 63
; ScratchSize: 0
; MemoryBound: 0
; FloatMode: 240
; IeeeMode: 1
; LDSByteSize: 2048 bytes/workgroup (compile time only)
; SGPRBlocks: 8
; VGPRBlocks: 15
; NumSGPRsForWavesPerEU: 70
; NumVGPRsForWavesPerEU: 63
; Occupancy: 4
; WaveLimiterHint : 0
; COMPUTE_PGM_RSRC2:SCRATCH_EN: 0
; COMPUTE_PGM_RSRC2:USER_SGPR: 6
; COMPUTE_PGM_RSRC2:TRAP_HANDLER: 0
; COMPUTE_PGM_RSRC2:TGID_X_EN: 1
; COMPUTE_PGM_RSRC2:TGID_Y_EN: 1
; COMPUTE_PGM_RSRC2:TGID_Z_EN: 1
; COMPUTE_PGM_RSRC2:TIDIG_COMP_CNT: 1
	.section	.text._ZL13mul_mat_vec_qIL9ggml_type41ELi5ELb0ELb0EEvPKvS2_PKi31ggml_cuda_mm_fusion_args_devicePfj15HIP_vector_typeIjLj3EEjjjS8_jjjS8_jjjj,"axG",@progbits,_ZL13mul_mat_vec_qIL9ggml_type41ELi5ELb0ELb0EEvPKvS2_PKi31ggml_cuda_mm_fusion_args_devicePfj15HIP_vector_typeIjLj3EEjjjS8_jjjS8_jjjj,comdat
	.globl	_ZL13mul_mat_vec_qIL9ggml_type41ELi5ELb0ELb0EEvPKvS2_PKi31ggml_cuda_mm_fusion_args_devicePfj15HIP_vector_typeIjLj3EEjjjS8_jjjS8_jjjj ; -- Begin function _ZL13mul_mat_vec_qIL9ggml_type41ELi5ELb0ELb0EEvPKvS2_PKi31ggml_cuda_mm_fusion_args_devicePfj15HIP_vector_typeIjLj3EEjjjS8_jjjS8_jjjj
	.p2align	8
	.type	_ZL13mul_mat_vec_qIL9ggml_type41ELi5ELb0ELb0EEvPKvS2_PKi31ggml_cuda_mm_fusion_args_devicePfj15HIP_vector_typeIjLj3EEjjjS8_jjjS8_jjjj,@function
_ZL13mul_mat_vec_qIL9ggml_type41ELi5ELb0ELb0EEvPKvS2_PKi31ggml_cuda_mm_fusion_args_devicePfj15HIP_vector_typeIjLj3EEjjjS8_jjjS8_jjjj: ; @_ZL13mul_mat_vec_qIL9ggml_type41ELi5ELb0ELb0EEvPKvS2_PKi31ggml_cuda_mm_fusion_args_devicePfj15HIP_vector_typeIjLj3EEjjjS8_jjjS8_jjjj
; %bb.0:
	s_load_dword s9, s[4:5], 0x40
	s_load_dwordx4 s[0:3], s[4:5], 0x50
	s_load_dword s25, s[4:5], 0x60
	s_load_dwordx4 s[12:15], s[4:5], 0x68
	;; [unrolled: 2-line block ×3, first 2 shown]
	v_lshl_or_b32 v2, v1, 6, v0
	s_waitcnt lgkmcnt(0)
	s_lshr_b32 s9, s9, 7
	v_lshrrev_b32_e32 v24, 2, v2
	v_mov_b32_e32 v14, 0
	s_lshl_b32 s6, s6, 1
	v_cmp_gt_u32_e32 vcc, s9, v24
	v_mov_b32_e32 v15, v14
	v_mov_b32_e32 v16, v14
	;; [unrolled: 1-line block ×9, first 2 shown]
	s_and_saveexec_b64 s[10:11], vcc
	s_cbranch_execz .LBB8_4
; %bb.1:
	s_mul_hi_u32 s3, s3, s7
	s_add_i32 s3, s7, s3
	s_load_dwordx4 s[20:23], s[4:5], 0x0
	s_lshr_b32 s3, s3, s25
	s_mul_i32 s3, s3, s12
	s_mul_hi_u32 s12, s15, s8
	s_add_i32 s12, s8, s12
	s_lshr_b32 s12, s12, s24
	s_mul_i32 s19, s17, s8
	s_mul_i32 s15, s12, s16
	;; [unrolled: 1-line block ×3, first 2 shown]
	s_mul_hi_u32 s12, s19, 36
	s_waitcnt lgkmcnt(0)
	s_add_u32 s16, s22, s16
	s_addc_u32 s17, s23, s12
	s_mul_i32 s12, s13, s7
	s_mul_hi_u32 s13, s12, 36
	s_mul_i32 s12, s12, 36
	s_add_u32 s16, s16, s12
	s_addc_u32 s17, s17, s13
	v_and_b32_e32 v4, 3, v0
	v_mad_u64_u32 v[10:11], s[16:17], v4, 36, s[16:17]
	s_add_i32 s16, s6, 1
	v_mov_b32_e32 v2, s12
	s_add_i32 s15, s15, s3
	s_mul_i32 s3, s6, s0
	s_mul_i32 s0, s0, s16
	s_movk_i32 s16, 0x90
	v_mov_b32_e32 v3, s13
	v_mad_u64_u32 v[2:3], s[12:13], v24, s16, v[2:3]
	v_lshlrev_b32_e32 v25, 2, v4
	v_mov_b32_e32 v14, 0
	v_mad_u64_u32 v[2:3], s[12:13], s19, 36, v[2:3]
	s_add_i32 s3, s15, s3
	s_add_i32 s0, s15, s0
	v_mad_u64_u32 v[2:3], s[12:13], v4, 36, v[2:3]
	v_mov_b32_e32 v4, s23
	v_lshlrev_b32_e32 v26, 2, v24
	v_add_co_u32_e32 v2, vcc, s22, v2
	v_addc_co_u32_e32 v3, vcc, v4, v3, vcc
	v_add_co_u32_e32 v12, vcc, 16, v2
	s_lshl_b32 s15, s1, 2
	s_mul_i32 s16, s1, 3
	s_lshl_b32 s17, s1, 1
	v_addc_co_u32_e32 v13, vcc, 0, v3, vcc
	s_mov_b64 s[12:13], 0
	s_movk_i32 s19, 0x200
	v_mov_b32_e32 v27, 0xff
	v_mov_b32_e32 v28, 0x10000
	;; [unrolled: 1-line block ×14, first 2 shown]
.LBB8_2:                                ; =>This Inner Loop Header: Depth=1
	v_add_u32_e32 v32, s3, v24
	v_mad_i64_i32 v[32:33], s[22:23], v32, 18, s[20:21]
	global_load_dword v48, v[12:13], off offset:16
	global_load_dwordx4 v[2:5], v[12:13], off
	global_load_dwordx4 v[6:9], v[12:13], off offset:-16
	global_load_ushort v39, v[32:33], off
	v_add_co_u32_e32 v32, vcc, v32, v25
	v_addc_co_u32_e32 v33, vcc, 0, v33, vcc
	global_load_dword v38, v[32:33], off offset:2
	s_waitcnt vmcnt(2)
	v_cvt_f32_f16_e32 v49, v6
	s_waitcnt vmcnt(1)
	v_cvt_f32_f16_e32 v39, v39
	s_waitcnt vmcnt(0)
	v_and_b32_e32 v6, 1, v38
	v_cmp_eq_u32_e32 vcc, 0, v6
	v_and_b32_e32 v32, 4, v38
	v_cndmask_b32_e32 v6, 1, v27, vcc
	v_cmp_eq_u32_e32 vcc, 0, v32
	v_and_b32_e32 v33, 8, v38
	v_lshlrev_b32_e32 v34, 8, v38
	v_cndmask_b32_e32 v32, v28, v29, vcc
	v_cmp_eq_u32_e32 vcc, 0, v33
	v_and_or_b32 v6, v34, s19, v6
	v_cndmask_b32_e32 v33, v30, v31, vcc
	v_add_u32_e32 v6, 0xff00, v6
	v_or3_b32 v6, v33, v32, v6
	v_and_b32_e32 v32, 16, v38
	v_cmp_eq_u32_e32 vcc, 0, v32
	v_and_b32_e32 v33, 64, v38
	v_cndmask_b32_e32 v32, 1, v27, vcc
	v_cmp_eq_u32_e32 vcc, 0, v33
	v_and_b32_e32 v34, 0x80, v38
	v_lshlrev_b32_e32 v35, 4, v38
	v_cndmask_b32_e32 v33, v28, v29, vcc
	v_cmp_eq_u32_e32 vcc, 0, v34
	v_and_or_b32 v32, v35, s19, v32
	v_cndmask_b32_e32 v34, v30, v31, vcc
	v_add_u32_e32 v32, 0xff00, v32
	v_or3_b32 v32, v34, v33, v32
	v_and_b32_e32 v33, 0x100, v38
	v_cmp_eq_u32_e32 vcc, 0, v33
	v_and_b32_e32 v34, 0x400, v38
	v_cndmask_b32_e32 v33, 1, v27, vcc
	v_cmp_eq_u32_e32 vcc, 0, v34
	v_and_b32_e32 v35, 0x800, v38
	v_cndmask_b32_e32 v34, v28, v29, vcc
	v_cmp_eq_u32_e32 vcc, 0, v35
	v_and_or_b32 v33, v38, s19, v33
	v_cndmask_b32_e32 v35, v30, v31, vcc
	v_add_u32_e32 v33, 0xff00, v33
	v_or3_b32 v33, v35, v34, v33
	v_and_b32_e32 v34, 0x1000, v38
	v_cmp_eq_u32_e32 vcc, 0, v34
	v_and_b32_e32 v35, 0x4000, v38
	v_cndmask_b32_e32 v34, 1, v27, vcc
	v_cmp_eq_u32_e32 vcc, 0, v35
	v_and_b32_e32 v36, 0x8000, v38
	v_lshrrev_b32_e32 v37, 4, v38
	v_cndmask_b32_e32 v35, v28, v29, vcc
	v_cmp_eq_u32_e32 vcc, 0, v36
	v_and_or_b32 v34, v37, s19, v34
	v_cndmask_b32_e32 v36, v30, v31, vcc
	v_add_u32_e32 v34, 0xff00, v34
	v_or3_b32 v34, v36, v35, v34
	v_and_b32_e32 v35, 0x10000, v38
	v_cmp_eq_u32_e32 vcc, 0, v35
	v_and_b32_e32 v36, 0x40000, v38
	v_cndmask_b32_e32 v35, 1, v27, vcc
	v_cmp_eq_u32_e32 vcc, 0, v36
	v_and_b32_e32 v37, 0x80000, v38
	v_lshrrev_b32_e32 v40, 8, v38
	;; [unrolled: 13-line block ×4, first 2 shown]
	v_cndmask_b32_e32 v40, v28, v29, vcc
	v_cmp_eq_u32_e32 vcc, 0, v41
	v_and_or_b32 v37, v42, s19, v37
	v_cndmask_b32_e32 v41, v30, v31, vcc
	v_add_u32_e32 v37, 0xff00, v37
	v_or3_b32 v37, v41, v40, v37
	v_and_b32_e32 v41, 0x10000000, v38
	v_ashrrev_i32_e32 v40, 28, v38
	v_cmp_eq_u32_e32 vcc, 0, v41
	v_and_b32_e32 v38, 2.0, v38
	v_cndmask_b32_e32 v41, 1, v27, vcc
	v_cmp_eq_u32_e32 vcc, 0, v38
	v_and_b32_e32 v42, 8, v40
	v_lshlrev_b32_e32 v40, 8, v40
	v_cndmask_b32_e32 v38, v28, v29, vcc
	v_cmp_eq_u32_e32 vcc, 0, v42
	v_and_or_b32 v40, v40, s19, v41
	v_cndmask_b32_e32 v42, v30, v31, vcc
	v_add_u32_e32 v40, 0xff00, v40
	v_or3_b32 v38, v42, v38, v40
	v_dot4_i32_i8 v40, v6, v7, 0
	v_dot4_i32_i8 v40, v32, v8, v40
	;; [unrolled: 1-line block ×8, first 2 shown]
	v_cvt_f32_i32_e32 v40, v40
	v_mul_f32_e32 v41, v39, v49
	v_fmac_f32_e32 v23, v41, v40
	v_add_u32_e32 v40, s0, v24
	v_mad_i64_i32 v[40:41], s[22:23], v40, 18, s[20:21]
	v_add_u32_e32 v24, 16, v24
	global_load_ushort v50, v[40:41], off
	v_add_co_u32_e32 v40, vcc, v40, v25
	v_addc_co_u32_e32 v41, vcc, 0, v41, vcc
	global_load_dword v47, v[40:41], off offset:2
	s_waitcnt vmcnt(0)
	v_and_b32_e32 v40, 1, v47
	v_cmp_eq_u32_e32 vcc, 0, v40
	v_and_b32_e32 v41, 4, v47
	v_cndmask_b32_e32 v40, 1, v27, vcc
	v_cmp_eq_u32_e32 vcc, 0, v41
	v_and_b32_e32 v42, 8, v47
	v_lshlrev_b32_e32 v43, 8, v47
	v_cndmask_b32_e32 v41, v28, v29, vcc
	v_cmp_eq_u32_e32 vcc, 0, v42
	v_and_or_b32 v40, v43, s19, v40
	v_cndmask_b32_e32 v42, v30, v31, vcc
	v_add_u32_e32 v40, 0xff00, v40
	v_or3_b32 v40, v42, v41, v40
	v_and_b32_e32 v41, 16, v47
	v_cmp_eq_u32_e32 vcc, 0, v41
	v_and_b32_e32 v42, 64, v47
	v_cndmask_b32_e32 v41, 1, v27, vcc
	v_cmp_eq_u32_e32 vcc, 0, v42
	v_and_b32_e32 v43, 0x80, v47
	v_lshlrev_b32_e32 v44, 4, v47
	v_cndmask_b32_e32 v42, v28, v29, vcc
	v_cmp_eq_u32_e32 vcc, 0, v43
	v_and_or_b32 v41, v44, s19, v41
	v_cndmask_b32_e32 v43, v30, v31, vcc
	v_add_u32_e32 v41, 0xff00, v41
	v_or3_b32 v41, v43, v42, v41
	v_and_b32_e32 v42, 0x100, v47
	v_cmp_eq_u32_e32 vcc, 0, v42
	v_and_b32_e32 v43, 0x400, v47
	v_cndmask_b32_e32 v42, 1, v27, vcc
	v_cmp_eq_u32_e32 vcc, 0, v43
	v_and_b32_e32 v44, 0x800, v47
	v_cndmask_b32_e32 v43, v28, v29, vcc
	v_cmp_eq_u32_e32 vcc, 0, v44
	v_and_or_b32 v42, v47, s19, v42
	v_cndmask_b32_e32 v44, v30, v31, vcc
	v_add_u32_e32 v42, 0xff00, v42
	v_or3_b32 v42, v44, v43, v42
	v_and_b32_e32 v43, 0x1000, v47
	v_cmp_eq_u32_e32 vcc, 0, v43
	v_and_b32_e32 v44, 0x4000, v47
	v_cndmask_b32_e32 v43, 1, v27, vcc
	v_cmp_eq_u32_e32 vcc, 0, v44
	v_and_b32_e32 v45, 0x8000, v47
	v_lshrrev_b32_e32 v46, 4, v47
	v_cndmask_b32_e32 v44, v28, v29, vcc
	v_cmp_eq_u32_e32 vcc, 0, v45
	v_and_or_b32 v43, v46, s19, v43
	v_cndmask_b32_e32 v45, v30, v31, vcc
	v_add_u32_e32 v43, 0xff00, v43
	v_or3_b32 v43, v45, v44, v43
	v_and_b32_e32 v44, 0x10000, v47
	v_cmp_eq_u32_e32 vcc, 0, v44
	v_and_b32_e32 v45, 0x40000, v47
	v_cndmask_b32_e32 v44, 1, v27, vcc
	v_cmp_eq_u32_e32 vcc, 0, v45
	v_and_b32_e32 v46, 0x80000, v47
	v_lshrrev_b32_e32 v51, 8, v47
	;; [unrolled: 13-line block ×4, first 2 shown]
	v_cndmask_b32_e32 v51, v28, v29, vcc
	v_cmp_eq_u32_e32 vcc, 0, v52
	v_and_or_b32 v46, v53, s19, v46
	v_cndmask_b32_e32 v52, v30, v31, vcc
	v_add_u32_e32 v46, 0xff00, v46
	v_dot4_i32_i8 v7, v40, v7, 0
	v_or3_b32 v46, v52, v51, v46
	v_and_b32_e32 v52, 0x10000000, v47
	v_dot4_i32_i8 v7, v41, v8, v7
	v_ashrrev_i32_e32 v51, 28, v47
	v_cmp_eq_u32_e32 vcc, 0, v52
	v_and_b32_e32 v47, 2.0, v47
	v_dot4_i32_i8 v7, v42, v9, v7
	v_cndmask_b32_e32 v52, 1, v27, vcc
	v_cmp_eq_u32_e32 vcc, 0, v47
	v_and_b32_e32 v53, 8, v51
	v_lshlrev_b32_e32 v51, 8, v51
	v_dot4_i32_i8 v2, v43, v2, v7
	v_cndmask_b32_e32 v47, v28, v29, vcc
	v_cmp_eq_u32_e32 vcc, 0, v53
	v_and_or_b32 v51, v51, s19, v52
	v_dot4_i32_i8 v2, v44, v3, v2
	v_cndmask_b32_e32 v53, v30, v31, vcc
	v_add_u32_e32 v51, 0xff00, v51
	v_dot4_i32_i8 v2, v45, v4, v2
	v_or3_b32 v47, v53, v47, v51
	v_dot4_i32_i8 v2, v46, v5, v2
	v_dot4_i32_i8 v3, v47, v48, v2
	v_cvt_f32_f16_e32 v2, v50
	v_cvt_f32_i32_e32 v3, v3
	v_add_co_u32_e32 v12, vcc, 0x900, v12
	v_mul_f32_e32 v4, v2, v49
	v_fmac_f32_e32 v22, v4, v3
	v_add_u32_e32 v3, s1, v26
	v_mad_u64_u32 v[3:4], s[22:23], v3, 36, v[10:11]
	global_load_dword v5, v[3:4], off offset:32
	global_load_dwordx4 v[48:51], v[3:4], off offset:16
	global_load_dwordx4 v[52:55], v[3:4], off
	v_addc_co_u32_e32 v13, vcc, 0, v13, vcc
	s_add_i32 s1, s1, 64
	v_cmp_le_u32_e32 vcc, s9, v24
	s_waitcnt vmcnt(0)
	v_dot4_i32_i8 v4, v6, v53, 0
	v_dot4_i32_i8 v4, v32, v54, v4
	v_dot4_i32_i8 v4, v33, v55, v4
	v_dot4_i32_i8 v4, v34, v48, v4
	v_dot4_i32_i8 v4, v35, v49, v4
	v_dot4_i32_i8 v4, v36, v50, v4
	v_dot4_i32_i8 v4, v37, v51, v4
	v_cvt_f32_f16_e32 v3, v52
	v_dot4_i32_i8 v4, v38, v5, v4
	v_cvt_f32_i32_e32 v4, v4
	v_mul_f32_e32 v7, v39, v3
	v_mul_f32_e32 v3, v2, v3
	v_fmac_f32_e32 v21, v7, v4
	v_dot4_i32_i8 v4, v40, v53, 0
	v_dot4_i32_i8 v4, v41, v54, v4
	v_dot4_i32_i8 v4, v42, v55, v4
	v_dot4_i32_i8 v4, v43, v48, v4
	v_dot4_i32_i8 v4, v44, v49, v4
	v_dot4_i32_i8 v4, v45, v50, v4
	v_dot4_i32_i8 v4, v46, v51, v4
	v_dot4_i32_i8 v4, v47, v5, v4
	v_cvt_f32_i32_e32 v4, v4
	v_fmac_f32_e32 v20, v3, v4
	v_add_u32_e32 v3, s17, v26
	v_mad_u64_u32 v[3:4], s[22:23], v3, 36, v[10:11]
	global_load_dword v5, v[3:4], off offset:32
	global_load_dwordx4 v[48:51], v[3:4], off offset:16
	global_load_dwordx4 v[52:55], v[3:4], off
	s_add_i32 s17, s17, 64
	s_waitcnt vmcnt(0)
	v_dot4_i32_i8 v4, v6, v53, 0
	v_dot4_i32_i8 v4, v32, v54, v4
	v_dot4_i32_i8 v4, v33, v55, v4
	v_dot4_i32_i8 v4, v34, v48, v4
	v_dot4_i32_i8 v4, v35, v49, v4
	v_dot4_i32_i8 v4, v36, v50, v4
	v_dot4_i32_i8 v4, v37, v51, v4
	v_cvt_f32_f16_e32 v3, v52
	v_dot4_i32_i8 v4, v38, v5, v4
	v_cvt_f32_i32_e32 v4, v4
	v_mul_f32_e32 v7, v39, v3
	v_mul_f32_e32 v3, v2, v3
	v_fmac_f32_e32 v19, v7, v4
	v_dot4_i32_i8 v4, v40, v53, 0
	v_dot4_i32_i8 v4, v41, v54, v4
	v_dot4_i32_i8 v4, v42, v55, v4
	v_dot4_i32_i8 v4, v43, v48, v4
	v_dot4_i32_i8 v4, v44, v49, v4
	v_dot4_i32_i8 v4, v45, v50, v4
	v_dot4_i32_i8 v4, v46, v51, v4
	v_dot4_i32_i8 v4, v47, v5, v4
	v_cvt_f32_i32_e32 v4, v4
	v_fmac_f32_e32 v18, v3, v4
	v_add_u32_e32 v3, s16, v26
	v_mad_u64_u32 v[3:4], s[22:23], v3, 36, v[10:11]
	global_load_dword v5, v[3:4], off offset:32
	global_load_dwordx4 v[48:51], v[3:4], off offset:16
	global_load_dwordx4 v[52:55], v[3:4], off
	s_add_i32 s16, s16, 64
	;; [unrolled: 30-line block ×3, first 2 shown]
	s_or_b64 s[12:13], vcc, s[12:13]
	s_waitcnt vmcnt(0)
	v_dot4_i32_i8 v4, v6, v53, 0
	v_dot4_i32_i8 v4, v32, v54, v4
	;; [unrolled: 1-line block ×7, first 2 shown]
	v_cvt_f32_f16_e32 v3, v52
	v_dot4_i32_i8 v4, v38, v5, v4
	v_cvt_f32_i32_e32 v4, v4
	v_mul_f32_e32 v6, v39, v3
	v_mul_f32_e32 v2, v2, v3
	v_fmac_f32_e32 v15, v6, v4
	v_dot4_i32_i8 v4, v40, v53, 0
	v_dot4_i32_i8 v4, v41, v54, v4
	;; [unrolled: 1-line block ×8, first 2 shown]
	v_cvt_f32_i32_e32 v3, v4
	v_fmac_f32_e32 v14, v2, v3
	s_andn2_b64 exec, exec, s[12:13]
	s_cbranch_execnz .LBB8_2
; %bb.3:
	s_or_b64 exec, exec, s[12:13]
.LBB8_4:
	s_or_b64 exec, exec, s[10:11]
	s_mov_b32 s1, 0
	v_cmp_eq_u32_e32 vcc, 0, v1
	; wave barrier
	s_and_saveexec_b64 s[10:11], vcc
	s_cbranch_execz .LBB8_15
; %bb.5:
	v_mbcnt_lo_u32_b32 v1, -1, 0
	v_mbcnt_hi_u32_b32 v6, -1, v1
	v_and_b32_e32 v1, 64, v6
	v_add_u32_e32 v7, 64, v1
	v_xor_b32_e32 v1, 32, v6
	v_cmp_lt_i32_e32 vcc, v1, v7
	v_cndmask_b32_e32 v1, v6, v1, vcc
	v_lshlrev_b32_e32 v1, 2, v1
	ds_bpermute_b32 v5, v1, v23
	ds_bpermute_b32 v8, v1, v22
	v_xor_b32_e32 v2, 16, v6
	v_cmp_lt_i32_e32 vcc, v2, v7
	v_cndmask_b32_e32 v2, v6, v2, vcc
	v_lshlrev_b32_e32 v2, 2, v2
	s_waitcnt lgkmcnt(1)
	v_add_f32_e32 v5, v23, v5
	s_waitcnt lgkmcnt(0)
	v_add_f32_e32 v8, v22, v8
	ds_bpermute_b32 v10, v2, v5
	ds_bpermute_b32 v11, v2, v8
	v_xor_b32_e32 v3, 8, v6
	v_cmp_lt_i32_e32 vcc, v3, v7
	v_cndmask_b32_e32 v3, v6, v3, vcc
	v_lshlrev_b32_e32 v3, 2, v3
	s_waitcnt lgkmcnt(1)
	v_add_f32_e32 v10, v5, v10
	s_waitcnt lgkmcnt(0)
	v_add_f32_e32 v8, v8, v11
	;; [unrolled: 10-line block ×3, first 2 shown]
	ds_bpermute_b32 v12, v4, v10
	ds_bpermute_b32 v11, v4, v8
	v_xor_b32_e32 v9, 2, v6
	v_cmp_lt_i32_e32 vcc, v9, v7
	v_cndmask_b32_e32 v9, v6, v9, vcc
	v_lshlrev_b32_e32 v5, 2, v9
	v_xor_b32_e32 v9, 1, v6
	v_cmp_lt_i32_e32 vcc, v9, v7
	s_waitcnt lgkmcnt(1)
	v_add_f32_e32 v7, v10, v12
	s_waitcnt lgkmcnt(0)
	v_add_f32_e32 v10, v8, v11
	v_cndmask_b32_e32 v6, v6, v9, vcc
	ds_bpermute_b32 v9, v5, v7
	ds_bpermute_b32 v11, v5, v10
	s_load_dwordx2 s[4:5], s[4:5], 0x38
	s_mul_i32 s3, s14, s7
	v_lshlrev_b32_e32 v8, 2, v6
	s_waitcnt lgkmcnt(0)
	v_add_f32_e32 v6, v7, v9
	v_add_f32_e32 v9, v10, v11
	s_mul_i32 s0, s18, s8
	s_add_i32 s3, s3, s6
	ds_bpermute_b32 v7, v8, v6
	ds_bpermute_b32 v10, v8, v9
	s_add_i32 s0, s3, s0
	s_lshl_b64 s[0:1], s[0:1], 2
	s_add_u32 s4, s4, s0
	v_add_u32_e32 v11, s6, v0
	s_addc_u32 s5, s5, s1
	v_cmp_gt_u32_e32 vcc, 2, v0
	v_cmp_gt_u32_e64 s[0:1], s2, v11
	s_and_b64 s[0:1], vcc, s[0:1]
	s_waitcnt lgkmcnt(1)
	v_add_f32_e32 v6, v6, v7
	s_waitcnt lgkmcnt(0)
	v_add_f32_e32 v7, v9, v10
	s_and_saveexec_b64 s[6:7], s[0:1]
	s_cbranch_execz .LBB8_7
; %bb.6:
	v_cmp_eq_u32_e32 vcc, 1, v0
	v_cndmask_b32_e32 v9, v6, v7, vcc
	v_cmp_eq_u32_e32 vcc, 2, v0
	v_cndmask_b32_e32 v9, v9, v21, vcc
	;; [unrolled: 2-line block ×9, first 2 shown]
	v_lshlrev_b32_e32 v10, 2, v0
	global_store_dword v10, v9, s[4:5]
.LBB8_7:
	s_or_b64 exec, exec, s[6:7]
	ds_bpermute_b32 v9, v1, v21
	ds_bpermute_b32 v10, v1, v20
	s_waitcnt lgkmcnt(1)
	v_add_f32_e32 v9, v21, v9
	s_waitcnt lgkmcnt(0)
	v_add_f32_e32 v10, v20, v10
	ds_bpermute_b32 v11, v2, v9
	ds_bpermute_b32 v12, v2, v10
	s_waitcnt lgkmcnt(1)
	v_add_f32_e32 v9, v9, v11
	s_waitcnt lgkmcnt(0)
	v_add_f32_e32 v10, v10, v12
	;; [unrolled: 6-line block ×6, first 2 shown]
	s_and_saveexec_b64 s[6:7], s[0:1]
	s_cbranch_execz .LBB8_9
; %bb.8:
	v_add_u32_e32 v11, 2, v0
	v_cmp_eq_u32_e32 vcc, 1, v11
	v_cndmask_b32_e32 v12, v6, v7, vcc
	v_cmp_eq_u32_e32 vcc, 2, v11
	v_cndmask_b32_e32 v12, v12, v10, vcc
	;; [unrolled: 2-line block ×9, first 2 shown]
	v_add_u32_e32 v11, s2, v0
	v_mov_b32_e32 v12, 0
	v_lshlrev_b64 v[11:12], 2, v[11:12]
	v_mov_b32_e32 v20, s5
	v_add_co_u32_e32 v11, vcc, s4, v11
	v_addc_co_u32_e32 v12, vcc, v20, v12, vcc
	global_store_dword v[11:12], v13, off
.LBB8_9:
	s_or_b64 exec, exec, s[6:7]
	ds_bpermute_b32 v11, v1, v19
	ds_bpermute_b32 v12, v1, v18
	s_waitcnt lgkmcnt(1)
	v_add_f32_e32 v11, v19, v11
	s_waitcnt lgkmcnt(0)
	v_add_f32_e32 v12, v18, v12
	ds_bpermute_b32 v13, v2, v11
	ds_bpermute_b32 v18, v2, v12
	s_waitcnt lgkmcnt(1)
	v_add_f32_e32 v11, v11, v13
	s_waitcnt lgkmcnt(0)
	v_add_f32_e32 v12, v12, v18
	;; [unrolled: 6-line block ×6, first 2 shown]
	s_and_saveexec_b64 s[6:7], s[0:1]
	s_cbranch_execz .LBB8_11
; %bb.10:
	v_add_u32_e32 v13, 4, v0
	v_cmp_eq_u32_e32 vcc, 1, v13
	v_cndmask_b32_e32 v18, v6, v7, vcc
	v_cmp_eq_u32_e32 vcc, 2, v13
	v_cndmask_b32_e32 v18, v18, v10, vcc
	;; [unrolled: 2-line block ×9, first 2 shown]
	v_lshl_or_b32 v18, s2, 1, v0
	v_mov_b32_e32 v19, 0
	v_lshlrev_b64 v[18:19], 2, v[18:19]
	v_mov_b32_e32 v20, s5
	v_add_co_u32_e32 v18, vcc, s4, v18
	v_addc_co_u32_e32 v19, vcc, v20, v19, vcc
	global_store_dword v[18:19], v13, off
.LBB8_11:
	s_or_b64 exec, exec, s[6:7]
	ds_bpermute_b32 v13, v1, v17
	ds_bpermute_b32 v18, v1, v16
	s_waitcnt lgkmcnt(1)
	v_add_f32_e32 v13, v17, v13
	s_waitcnt lgkmcnt(0)
	v_add_f32_e32 v16, v16, v18
	ds_bpermute_b32 v17, v2, v13
	ds_bpermute_b32 v18, v2, v16
	s_waitcnt lgkmcnt(1)
	v_add_f32_e32 v13, v13, v17
	s_waitcnt lgkmcnt(0)
	v_add_f32_e32 v16, v16, v18
	;; [unrolled: 6-line block ×6, first 2 shown]
	s_and_saveexec_b64 s[6:7], s[0:1]
	s_cbranch_execz .LBB8_13
; %bb.12:
	v_add_u32_e32 v19, 6, v0
	v_cmp_eq_u32_e32 vcc, 1, v19
	v_cndmask_b32_e32 v17, v6, v7, vcc
	v_cmp_eq_u32_e32 vcc, 2, v19
	v_cndmask_b32_e32 v17, v17, v10, vcc
	;; [unrolled: 2-line block ×8, first 2 shown]
	v_mad_u64_u32 v[17:18], s[8:9], s2, 3, v[0:1]
	v_mov_b32_e32 v18, 0
	v_cmp_eq_u32_e32 vcc, 9, v19
	v_lshlrev_b64 v[17:18], 2, v[17:18]
	v_cndmask_b32_e32 v19, v20, v14, vcc
	v_mov_b32_e32 v20, s5
	v_add_co_u32_e32 v17, vcc, s4, v17
	v_addc_co_u32_e32 v18, vcc, v20, v18, vcc
	global_store_dword v[17:18], v19, off
.LBB8_13:
	s_or_b64 exec, exec, s[6:7]
	ds_bpermute_b32 v17, v1, v15
	ds_bpermute_b32 v1, v1, v14
	s_waitcnt lgkmcnt(1)
	v_add_f32_e32 v15, v15, v17
	s_waitcnt lgkmcnt(0)
	v_add_f32_e32 v1, v14, v1
	ds_bpermute_b32 v14, v2, v15
	ds_bpermute_b32 v2, v2, v1
	s_waitcnt lgkmcnt(1)
	v_add_f32_e32 v14, v15, v14
	s_waitcnt lgkmcnt(0)
	v_add_f32_e32 v1, v1, v2
	ds_bpermute_b32 v2, v3, v14
	ds_bpermute_b32 v3, v3, v1
	s_waitcnt lgkmcnt(1)
	v_add_f32_e32 v2, v14, v2
	s_waitcnt lgkmcnt(0)
	v_add_f32_e32 v1, v1, v3
	ds_bpermute_b32 v3, v4, v2
	ds_bpermute_b32 v4, v4, v1
	s_waitcnt lgkmcnt(1)
	v_add_f32_e32 v2, v2, v3
	s_waitcnt lgkmcnt(0)
	v_add_f32_e32 v3, v1, v4
	ds_bpermute_b32 v1, v5, v2
	ds_bpermute_b32 v4, v5, v3
	s_waitcnt lgkmcnt(1)
	v_add_f32_e32 v1, v2, v1
	s_waitcnt lgkmcnt(0)
	v_add_f32_e32 v2, v3, v4
	ds_bpermute_b32 v3, v8, v1
	ds_bpermute_b32 v4, v8, v2
	s_and_b64 exec, exec, s[0:1]
	s_cbranch_execz .LBB8_15
; %bb.14:
	s_waitcnt lgkmcnt(1)
	v_add_f32_e32 v1, v1, v3
	v_add_u32_e32 v3, 8, v0
	v_cmp_eq_u32_e32 vcc, 1, v3
	s_waitcnt lgkmcnt(0)
	v_add_f32_e32 v2, v2, v4
	v_cndmask_b32_e32 v4, v6, v7, vcc
	v_cmp_eq_u32_e32 vcc, 2, v3
	v_cndmask_b32_e32 v4, v4, v10, vcc
	v_cmp_eq_u32_e32 vcc, 3, v3
	;; [unrolled: 2-line block ×8, first 2 shown]
	v_cndmask_b32_e32 v2, v1, v2, vcc
	v_lshl_or_b32 v0, s2, 2, v0
	v_mov_b32_e32 v1, 0
	v_lshlrev_b64 v[0:1], 2, v[0:1]
	v_mov_b32_e32 v3, s5
	v_add_co_u32_e32 v0, vcc, s4, v0
	v_addc_co_u32_e32 v1, vcc, v3, v1, vcc
	global_store_dword v[0:1], v2, off
.LBB8_15:
	s_endpgm
	.section	.rodata,"a",@progbits
	.p2align	6, 0x0
	.amdhsa_kernel _ZL13mul_mat_vec_qIL9ggml_type41ELi5ELb0ELb0EEvPKvS2_PKi31ggml_cuda_mm_fusion_args_devicePfj15HIP_vector_typeIjLj3EEjjjS8_jjjS8_jjjj
		.amdhsa_group_segment_fixed_size 0
		.amdhsa_private_segment_fixed_size 0
		.amdhsa_kernarg_size 144
		.amdhsa_user_sgpr_count 6
		.amdhsa_user_sgpr_private_segment_buffer 1
		.amdhsa_user_sgpr_dispatch_ptr 0
		.amdhsa_user_sgpr_queue_ptr 0
		.amdhsa_user_sgpr_kernarg_segment_ptr 1
		.amdhsa_user_sgpr_dispatch_id 0
		.amdhsa_user_sgpr_flat_scratch_init 0
		.amdhsa_user_sgpr_private_segment_size 0
		.amdhsa_uses_dynamic_stack 0
		.amdhsa_system_sgpr_private_segment_wavefront_offset 0
		.amdhsa_system_sgpr_workgroup_id_x 1
		.amdhsa_system_sgpr_workgroup_id_y 1
		.amdhsa_system_sgpr_workgroup_id_z 1
		.amdhsa_system_sgpr_workgroup_info 0
		.amdhsa_system_vgpr_workitem_id 1
		.amdhsa_next_free_vgpr 56
		.amdhsa_next_free_sgpr 26
		.amdhsa_reserve_vcc 1
		.amdhsa_reserve_flat_scratch 0
		.amdhsa_float_round_mode_32 0
		.amdhsa_float_round_mode_16_64 0
		.amdhsa_float_denorm_mode_32 3
		.amdhsa_float_denorm_mode_16_64 3
		.amdhsa_dx10_clamp 1
		.amdhsa_ieee_mode 1
		.amdhsa_fp16_overflow 0
		.amdhsa_exception_fp_ieee_invalid_op 0
		.amdhsa_exception_fp_denorm_src 0
		.amdhsa_exception_fp_ieee_div_zero 0
		.amdhsa_exception_fp_ieee_overflow 0
		.amdhsa_exception_fp_ieee_underflow 0
		.amdhsa_exception_fp_ieee_inexact 0
		.amdhsa_exception_int_div_zero 0
	.end_amdhsa_kernel
	.section	.text._ZL13mul_mat_vec_qIL9ggml_type41ELi5ELb0ELb0EEvPKvS2_PKi31ggml_cuda_mm_fusion_args_devicePfj15HIP_vector_typeIjLj3EEjjjS8_jjjS8_jjjj,"axG",@progbits,_ZL13mul_mat_vec_qIL9ggml_type41ELi5ELb0ELb0EEvPKvS2_PKi31ggml_cuda_mm_fusion_args_devicePfj15HIP_vector_typeIjLj3EEjjjS8_jjjS8_jjjj,comdat
.Lfunc_end8:
	.size	_ZL13mul_mat_vec_qIL9ggml_type41ELi5ELb0ELb0EEvPKvS2_PKi31ggml_cuda_mm_fusion_args_devicePfj15HIP_vector_typeIjLj3EEjjjS8_jjjS8_jjjj, .Lfunc_end8-_ZL13mul_mat_vec_qIL9ggml_type41ELi5ELb0ELb0EEvPKvS2_PKi31ggml_cuda_mm_fusion_args_devicePfj15HIP_vector_typeIjLj3EEjjjS8_jjjS8_jjjj
                                        ; -- End function
	.set _ZL13mul_mat_vec_qIL9ggml_type41ELi5ELb0ELb0EEvPKvS2_PKi31ggml_cuda_mm_fusion_args_devicePfj15HIP_vector_typeIjLj3EEjjjS8_jjjS8_jjjj.num_vgpr, 56
	.set _ZL13mul_mat_vec_qIL9ggml_type41ELi5ELb0ELb0EEvPKvS2_PKi31ggml_cuda_mm_fusion_args_devicePfj15HIP_vector_typeIjLj3EEjjjS8_jjjS8_jjjj.num_agpr, 0
	.set _ZL13mul_mat_vec_qIL9ggml_type41ELi5ELb0ELb0EEvPKvS2_PKi31ggml_cuda_mm_fusion_args_devicePfj15HIP_vector_typeIjLj3EEjjjS8_jjjS8_jjjj.numbered_sgpr, 26
	.set _ZL13mul_mat_vec_qIL9ggml_type41ELi5ELb0ELb0EEvPKvS2_PKi31ggml_cuda_mm_fusion_args_devicePfj15HIP_vector_typeIjLj3EEjjjS8_jjjS8_jjjj.num_named_barrier, 0
	.set _ZL13mul_mat_vec_qIL9ggml_type41ELi5ELb0ELb0EEvPKvS2_PKi31ggml_cuda_mm_fusion_args_devicePfj15HIP_vector_typeIjLj3EEjjjS8_jjjS8_jjjj.private_seg_size, 0
	.set _ZL13mul_mat_vec_qIL9ggml_type41ELi5ELb0ELb0EEvPKvS2_PKi31ggml_cuda_mm_fusion_args_devicePfj15HIP_vector_typeIjLj3EEjjjS8_jjjS8_jjjj.uses_vcc, 1
	.set _ZL13mul_mat_vec_qIL9ggml_type41ELi5ELb0ELb0EEvPKvS2_PKi31ggml_cuda_mm_fusion_args_devicePfj15HIP_vector_typeIjLj3EEjjjS8_jjjS8_jjjj.uses_flat_scratch, 0
	.set _ZL13mul_mat_vec_qIL9ggml_type41ELi5ELb0ELb0EEvPKvS2_PKi31ggml_cuda_mm_fusion_args_devicePfj15HIP_vector_typeIjLj3EEjjjS8_jjjS8_jjjj.has_dyn_sized_stack, 0
	.set _ZL13mul_mat_vec_qIL9ggml_type41ELi5ELb0ELb0EEvPKvS2_PKi31ggml_cuda_mm_fusion_args_devicePfj15HIP_vector_typeIjLj3EEjjjS8_jjjS8_jjjj.has_recursion, 0
	.set _ZL13mul_mat_vec_qIL9ggml_type41ELi5ELb0ELb0EEvPKvS2_PKi31ggml_cuda_mm_fusion_args_devicePfj15HIP_vector_typeIjLj3EEjjjS8_jjjS8_jjjj.has_indirect_call, 0
	.section	.AMDGPU.csdata,"",@progbits
; Kernel info:
; codeLenInByte = 4436
; TotalNumSgprs: 30
; NumVgprs: 56
; ScratchSize: 0
; MemoryBound: 0
; FloatMode: 240
; IeeeMode: 1
; LDSByteSize: 0 bytes/workgroup (compile time only)
; SGPRBlocks: 3
; VGPRBlocks: 13
; NumSGPRsForWavesPerEU: 30
; NumVGPRsForWavesPerEU: 56
; Occupancy: 4
; WaveLimiterHint : 0
; COMPUTE_PGM_RSRC2:SCRATCH_EN: 0
; COMPUTE_PGM_RSRC2:USER_SGPR: 6
; COMPUTE_PGM_RSRC2:TRAP_HANDLER: 0
; COMPUTE_PGM_RSRC2:TGID_X_EN: 1
; COMPUTE_PGM_RSRC2:TGID_Y_EN: 1
; COMPUTE_PGM_RSRC2:TGID_Z_EN: 1
; COMPUTE_PGM_RSRC2:TIDIG_COMP_CNT: 1
	.section	.text._ZL13mul_mat_vec_qIL9ggml_type41ELi6ELb0ELb0EEvPKvS2_PKi31ggml_cuda_mm_fusion_args_devicePfj15HIP_vector_typeIjLj3EEjjjS8_jjjS8_jjjj,"axG",@progbits,_ZL13mul_mat_vec_qIL9ggml_type41ELi6ELb0ELb0EEvPKvS2_PKi31ggml_cuda_mm_fusion_args_devicePfj15HIP_vector_typeIjLj3EEjjjS8_jjjS8_jjjj,comdat
	.globl	_ZL13mul_mat_vec_qIL9ggml_type41ELi6ELb0ELb0EEvPKvS2_PKi31ggml_cuda_mm_fusion_args_devicePfj15HIP_vector_typeIjLj3EEjjjS8_jjjS8_jjjj ; -- Begin function _ZL13mul_mat_vec_qIL9ggml_type41ELi6ELb0ELb0EEvPKvS2_PKi31ggml_cuda_mm_fusion_args_devicePfj15HIP_vector_typeIjLj3EEjjjS8_jjjS8_jjjj
	.p2align	8
	.type	_ZL13mul_mat_vec_qIL9ggml_type41ELi6ELb0ELb0EEvPKvS2_PKi31ggml_cuda_mm_fusion_args_devicePfj15HIP_vector_typeIjLj3EEjjjS8_jjjS8_jjjj,@function
_ZL13mul_mat_vec_qIL9ggml_type41ELi6ELb0ELb0EEvPKvS2_PKi31ggml_cuda_mm_fusion_args_devicePfj15HIP_vector_typeIjLj3EEjjjS8_jjjS8_jjjj: ; @_ZL13mul_mat_vec_qIL9ggml_type41ELi6ELb0ELb0EEvPKvS2_PKi31ggml_cuda_mm_fusion_args_devicePfj15HIP_vector_typeIjLj3EEjjjS8_jjjS8_jjjj
; %bb.0:
	s_load_dword s9, s[4:5], 0x40
	s_load_dwordx4 s[0:3], s[4:5], 0x50
	s_load_dword s25, s[4:5], 0x60
	s_load_dwordx4 s[12:15], s[4:5], 0x68
	;; [unrolled: 2-line block ×3, first 2 shown]
	v_lshl_or_b32 v2, v1, 6, v0
	s_waitcnt lgkmcnt(0)
	s_lshr_b32 s9, s9, 7
	v_lshrrev_b32_e32 v26, 2, v2
	v_mov_b32_e32 v14, 0
	s_lshl_b32 s6, s6, 1
	v_cmp_gt_u32_e32 vcc, s9, v26
	v_mov_b32_e32 v15, v14
	v_mov_b32_e32 v16, v14
	;; [unrolled: 1-line block ×11, first 2 shown]
	s_and_saveexec_b64 s[10:11], vcc
	s_cbranch_execz .LBB9_4
; %bb.1:
	s_mul_hi_u32 s3, s3, s7
	s_add_i32 s3, s7, s3
	s_load_dwordx4 s[20:23], s[4:5], 0x0
	s_lshr_b32 s3, s3, s25
	s_mul_i32 s3, s3, s12
	s_mul_hi_u32 s12, s15, s8
	s_add_i32 s12, s8, s12
	s_lshr_b32 s12, s12, s24
	s_mul_i32 s19, s17, s8
	s_mul_i32 s15, s12, s16
	;; [unrolled: 1-line block ×3, first 2 shown]
	s_mul_hi_u32 s12, s19, 36
	s_waitcnt lgkmcnt(0)
	s_add_u32 s16, s22, s16
	s_addc_u32 s17, s23, s12
	s_mul_i32 s12, s13, s7
	s_mul_hi_u32 s13, s12, 36
	s_mul_i32 s12, s12, 36
	s_add_u32 s16, s16, s12
	s_addc_u32 s17, s17, s13
	v_and_b32_e32 v4, 3, v0
	v_mad_u64_u32 v[10:11], s[16:17], v4, 36, s[16:17]
	s_add_i32 s16, s6, 1
	v_mov_b32_e32 v2, s12
	s_add_i32 s24, s15, s3
	s_mul_i32 s15, s6, s0
	s_mul_i32 s0, s0, s16
	s_movk_i32 s16, 0x90
	v_mov_b32_e32 v3, s13
	v_mad_u64_u32 v[2:3], s[12:13], v26, s16, v[2:3]
	v_lshlrev_b32_e32 v27, 2, v4
	v_mov_b32_e32 v14, 0
	v_mad_u64_u32 v[2:3], s[12:13], s19, 36, v[2:3]
	s_mul_i32 s3, s1, 5
	s_add_i32 s15, s24, s15
	v_mad_u64_u32 v[2:3], s[12:13], v4, 36, v[2:3]
	v_mov_b32_e32 v4, s23
	s_add_i32 s0, s24, s0
	v_add_co_u32_e32 v2, vcc, s22, v2
	v_addc_co_u32_e32 v3, vcc, v4, v3, vcc
	v_add_co_u32_e32 v12, vcc, 16, v2
	v_lshlrev_b32_e32 v28, 2, v26
	s_lshl_b32 s16, s1, 2
	s_mul_i32 s17, s1, 3
	s_lshl_b32 s19, s1, 1
	v_addc_co_u32_e32 v13, vcc, 0, v3, vcc
	s_mov_b64 s[12:13], 0
	s_movk_i32 s22, 0x200
	v_mov_b32_e32 v29, 0xff
	v_mov_b32_e32 v30, 0x10000
	;; [unrolled: 1-line block ×16, first 2 shown]
.LBB9_2:                                ; =>This Inner Loop Header: Depth=1
	v_add_u32_e32 v34, s15, v26
	v_mad_i64_i32 v[34:35], s[24:25], v34, 18, s[20:21]
	global_load_dword v50, v[12:13], off offset:16
	global_load_dwordx4 v[2:5], v[12:13], off
	global_load_dwordx4 v[6:9], v[12:13], off offset:-16
	global_load_ushort v41, v[34:35], off
	v_add_co_u32_e32 v34, vcc, v34, v27
	v_addc_co_u32_e32 v35, vcc, 0, v35, vcc
	global_load_dword v40, v[34:35], off offset:2
	s_waitcnt vmcnt(2)
	v_cvt_f32_f16_e32 v51, v6
	s_waitcnt vmcnt(1)
	v_cvt_f32_f16_e32 v41, v41
	s_waitcnt vmcnt(0)
	v_and_b32_e32 v6, 1, v40
	v_cmp_eq_u32_e32 vcc, 0, v6
	v_and_b32_e32 v34, 4, v40
	v_cndmask_b32_e32 v6, 1, v29, vcc
	v_cmp_eq_u32_e32 vcc, 0, v34
	v_and_b32_e32 v35, 8, v40
	v_lshlrev_b32_e32 v36, 8, v40
	v_cndmask_b32_e32 v34, v30, v31, vcc
	v_cmp_eq_u32_e32 vcc, 0, v35
	v_and_or_b32 v6, v36, s22, v6
	v_cndmask_b32_e32 v35, v32, v33, vcc
	v_add_u32_e32 v6, 0xff00, v6
	v_or3_b32 v6, v35, v34, v6
	v_and_b32_e32 v34, 16, v40
	v_cmp_eq_u32_e32 vcc, 0, v34
	v_and_b32_e32 v35, 64, v40
	v_cndmask_b32_e32 v34, 1, v29, vcc
	v_cmp_eq_u32_e32 vcc, 0, v35
	v_and_b32_e32 v36, 0x80, v40
	v_lshlrev_b32_e32 v37, 4, v40
	v_cndmask_b32_e32 v35, v30, v31, vcc
	v_cmp_eq_u32_e32 vcc, 0, v36
	v_and_or_b32 v34, v37, s22, v34
	v_cndmask_b32_e32 v36, v32, v33, vcc
	v_add_u32_e32 v34, 0xff00, v34
	v_or3_b32 v34, v36, v35, v34
	v_and_b32_e32 v35, 0x100, v40
	v_cmp_eq_u32_e32 vcc, 0, v35
	v_and_b32_e32 v36, 0x400, v40
	v_cndmask_b32_e32 v35, 1, v29, vcc
	v_cmp_eq_u32_e32 vcc, 0, v36
	v_and_b32_e32 v37, 0x800, v40
	v_cndmask_b32_e32 v36, v30, v31, vcc
	v_cmp_eq_u32_e32 vcc, 0, v37
	v_and_or_b32 v35, v40, s22, v35
	v_cndmask_b32_e32 v37, v32, v33, vcc
	v_add_u32_e32 v35, 0xff00, v35
	v_or3_b32 v35, v37, v36, v35
	v_and_b32_e32 v36, 0x1000, v40
	v_cmp_eq_u32_e32 vcc, 0, v36
	v_and_b32_e32 v37, 0x4000, v40
	v_cndmask_b32_e32 v36, 1, v29, vcc
	v_cmp_eq_u32_e32 vcc, 0, v37
	v_and_b32_e32 v38, 0x8000, v40
	v_lshrrev_b32_e32 v39, 4, v40
	v_cndmask_b32_e32 v37, v30, v31, vcc
	v_cmp_eq_u32_e32 vcc, 0, v38
	v_and_or_b32 v36, v39, s22, v36
	v_cndmask_b32_e32 v38, v32, v33, vcc
	v_add_u32_e32 v36, 0xff00, v36
	v_or3_b32 v36, v38, v37, v36
	v_and_b32_e32 v37, 0x10000, v40
	v_cmp_eq_u32_e32 vcc, 0, v37
	v_and_b32_e32 v38, 0x40000, v40
	v_cndmask_b32_e32 v37, 1, v29, vcc
	v_cmp_eq_u32_e32 vcc, 0, v38
	v_and_b32_e32 v39, 0x80000, v40
	v_lshrrev_b32_e32 v42, 8, v40
	;; [unrolled: 13-line block ×4, first 2 shown]
	v_cndmask_b32_e32 v42, v30, v31, vcc
	v_cmp_eq_u32_e32 vcc, 0, v43
	v_and_or_b32 v39, v44, s22, v39
	v_cndmask_b32_e32 v43, v32, v33, vcc
	v_add_u32_e32 v39, 0xff00, v39
	v_or3_b32 v39, v43, v42, v39
	v_and_b32_e32 v43, 0x10000000, v40
	v_ashrrev_i32_e32 v42, 28, v40
	v_cmp_eq_u32_e32 vcc, 0, v43
	v_and_b32_e32 v40, 2.0, v40
	v_cndmask_b32_e32 v43, 1, v29, vcc
	v_cmp_eq_u32_e32 vcc, 0, v40
	v_and_b32_e32 v44, 8, v42
	v_lshlrev_b32_e32 v42, 8, v42
	v_cndmask_b32_e32 v40, v30, v31, vcc
	v_cmp_eq_u32_e32 vcc, 0, v44
	v_and_or_b32 v42, v42, s22, v43
	v_cndmask_b32_e32 v44, v32, v33, vcc
	v_add_u32_e32 v42, 0xff00, v42
	v_or3_b32 v40, v44, v40, v42
	v_dot4_i32_i8 v42, v6, v7, 0
	v_dot4_i32_i8 v42, v34, v8, v42
	v_dot4_i32_i8 v42, v35, v9, v42
	v_dot4_i32_i8 v42, v36, v2, v42
	v_dot4_i32_i8 v42, v37, v3, v42
	v_dot4_i32_i8 v42, v38, v4, v42
	v_dot4_i32_i8 v42, v39, v5, v42
	v_dot4_i32_i8 v42, v40, v50, v42
	v_cvt_f32_i32_e32 v42, v42
	v_mul_f32_e32 v43, v41, v51
	v_fmac_f32_e32 v25, v43, v42
	v_add_u32_e32 v42, s0, v26
	v_mad_i64_i32 v[42:43], s[24:25], v42, 18, s[20:21]
	v_add_u32_e32 v26, 16, v26
	global_load_ushort v52, v[42:43], off
	v_add_co_u32_e32 v42, vcc, v42, v27
	v_addc_co_u32_e32 v43, vcc, 0, v43, vcc
	global_load_dword v49, v[42:43], off offset:2
	s_waitcnt vmcnt(0)
	v_and_b32_e32 v42, 1, v49
	v_cmp_eq_u32_e32 vcc, 0, v42
	v_and_b32_e32 v43, 4, v49
	v_cndmask_b32_e32 v42, 1, v29, vcc
	v_cmp_eq_u32_e32 vcc, 0, v43
	v_and_b32_e32 v44, 8, v49
	v_lshlrev_b32_e32 v45, 8, v49
	v_cndmask_b32_e32 v43, v30, v31, vcc
	v_cmp_eq_u32_e32 vcc, 0, v44
	v_and_or_b32 v42, v45, s22, v42
	v_cndmask_b32_e32 v44, v32, v33, vcc
	v_add_u32_e32 v42, 0xff00, v42
	v_or3_b32 v42, v44, v43, v42
	v_and_b32_e32 v43, 16, v49
	v_cmp_eq_u32_e32 vcc, 0, v43
	v_and_b32_e32 v44, 64, v49
	v_cndmask_b32_e32 v43, 1, v29, vcc
	v_cmp_eq_u32_e32 vcc, 0, v44
	v_and_b32_e32 v45, 0x80, v49
	v_lshlrev_b32_e32 v46, 4, v49
	v_cndmask_b32_e32 v44, v30, v31, vcc
	v_cmp_eq_u32_e32 vcc, 0, v45
	v_and_or_b32 v43, v46, s22, v43
	v_cndmask_b32_e32 v45, v32, v33, vcc
	v_add_u32_e32 v43, 0xff00, v43
	v_or3_b32 v43, v45, v44, v43
	v_and_b32_e32 v44, 0x100, v49
	v_cmp_eq_u32_e32 vcc, 0, v44
	v_and_b32_e32 v45, 0x400, v49
	v_cndmask_b32_e32 v44, 1, v29, vcc
	v_cmp_eq_u32_e32 vcc, 0, v45
	v_and_b32_e32 v46, 0x800, v49
	v_cndmask_b32_e32 v45, v30, v31, vcc
	v_cmp_eq_u32_e32 vcc, 0, v46
	v_and_or_b32 v44, v49, s22, v44
	v_cndmask_b32_e32 v46, v32, v33, vcc
	v_add_u32_e32 v44, 0xff00, v44
	v_or3_b32 v45, v46, v45, v44
	v_and_b32_e32 v44, 0x1000, v49
	v_cmp_eq_u32_e32 vcc, 0, v44
	v_and_b32_e32 v46, 0x4000, v49
	v_cndmask_b32_e32 v44, 1, v29, vcc
	v_cmp_eq_u32_e32 vcc, 0, v46
	v_and_b32_e32 v47, 0x8000, v49
	v_lshrrev_b32_e32 v48, 4, v49
	v_cndmask_b32_e32 v46, v30, v31, vcc
	v_cmp_eq_u32_e32 vcc, 0, v47
	v_and_or_b32 v44, v48, s22, v44
	v_cndmask_b32_e32 v47, v32, v33, vcc
	v_add_u32_e32 v44, 0xff00, v44
	v_or3_b32 v44, v47, v46, v44
	v_and_b32_e32 v46, 0x10000, v49
	v_cmp_eq_u32_e32 vcc, 0, v46
	v_and_b32_e32 v47, 0x40000, v49
	v_cndmask_b32_e32 v46, 1, v29, vcc
	v_cmp_eq_u32_e32 vcc, 0, v47
	v_and_b32_e32 v48, 0x80000, v49
	v_lshrrev_b32_e32 v53, 8, v49
	v_cndmask_b32_e32 v47, v30, v31, vcc
	v_cmp_eq_u32_e32 vcc, 0, v48
	v_and_or_b32 v46, v53, s22, v46
	v_cndmask_b32_e32 v48, v32, v33, vcc
	v_add_u32_e32 v46, 0xff00, v46
	v_or3_b32 v46, v48, v47, v46
	v_and_b32_e32 v47, 0x100000, v49
	v_cmp_eq_u32_e32 vcc, 0, v47
	v_and_b32_e32 v48, 0x400000, v49
	v_cndmask_b32_e32 v47, 1, v29, vcc
	v_cmp_eq_u32_e32 vcc, 0, v48
	v_and_b32_e32 v53, 0x800000, v49
	v_lshrrev_b32_e32 v54, 12, v49
	v_cndmask_b32_e32 v48, v30, v31, vcc
	v_cmp_eq_u32_e32 vcc, 0, v53
	v_and_or_b32 v47, v54, s22, v47
	v_cndmask_b32_e32 v53, v32, v33, vcc
	v_add_u32_e32 v47, 0xff00, v47
	v_or3_b32 v47, v53, v48, v47
	v_and_b32_e32 v48, 0x1000000, v49
	v_cmp_eq_u32_e32 vcc, 0, v48
	v_and_b32_e32 v53, 0x4000000, v49
	v_cndmask_b32_e32 v48, 1, v29, vcc
	v_cmp_eq_u32_e32 vcc, 0, v53
	v_and_b32_e32 v54, 0x8000000, v49
	v_lshrrev_b32_e32 v55, 16, v49
	v_cndmask_b32_e32 v53, v30, v31, vcc
	v_cmp_eq_u32_e32 vcc, 0, v54
	v_and_or_b32 v48, v55, s22, v48
	v_cndmask_b32_e32 v54, v32, v33, vcc
	v_add_u32_e32 v48, 0xff00, v48
	v_dot4_i32_i8 v7, v42, v7, 0
	v_or3_b32 v48, v54, v53, v48
	v_and_b32_e32 v54, 0x10000000, v49
	v_dot4_i32_i8 v7, v43, v8, v7
	v_ashrrev_i32_e32 v53, 28, v49
	v_cmp_eq_u32_e32 vcc, 0, v54
	v_and_b32_e32 v49, 2.0, v49
	v_dot4_i32_i8 v7, v45, v9, v7
	v_cndmask_b32_e32 v54, 1, v29, vcc
	v_cmp_eq_u32_e32 vcc, 0, v49
	v_and_b32_e32 v55, 8, v53
	v_lshlrev_b32_e32 v53, 8, v53
	v_dot4_i32_i8 v2, v44, v2, v7
	v_cndmask_b32_e32 v49, v30, v31, vcc
	v_cmp_eq_u32_e32 vcc, 0, v55
	v_and_or_b32 v53, v53, s22, v54
	v_dot4_i32_i8 v2, v46, v3, v2
	v_cndmask_b32_e32 v55, v32, v33, vcc
	v_add_u32_e32 v53, 0xff00, v53
	v_dot4_i32_i8 v2, v47, v4, v2
	v_or3_b32 v49, v55, v49, v53
	v_dot4_i32_i8 v2, v48, v5, v2
	v_dot4_i32_i8 v3, v49, v50, v2
	v_cvt_f32_f16_e32 v2, v52
	v_cvt_f32_i32_e32 v3, v3
	v_add_co_u32_e32 v12, vcc, 0x900, v12
	v_mul_f32_e32 v4, v2, v51
	v_fmac_f32_e32 v24, v4, v3
	v_add_u32_e32 v3, s1, v28
	v_mad_u64_u32 v[3:4], s[24:25], v3, 36, v[10:11]
	global_load_dword v5, v[3:4], off offset:32
	global_load_dwordx4 v[50:53], v[3:4], off offset:16
	global_load_dwordx4 v[54:57], v[3:4], off
	v_addc_co_u32_e32 v13, vcc, 0, v13, vcc
	s_add_i32 s1, s1, 64
	v_cmp_le_u32_e32 vcc, s9, v26
	s_waitcnt vmcnt(0)
	v_dot4_i32_i8 v4, v6, v55, 0
	v_dot4_i32_i8 v4, v34, v56, v4
	v_dot4_i32_i8 v4, v35, v57, v4
	v_dot4_i32_i8 v4, v36, v50, v4
	v_dot4_i32_i8 v4, v37, v51, v4
	v_dot4_i32_i8 v4, v38, v52, v4
	v_dot4_i32_i8 v4, v39, v53, v4
	v_cvt_f32_f16_e32 v3, v54
	v_dot4_i32_i8 v4, v40, v5, v4
	v_cvt_f32_i32_e32 v4, v4
	v_mul_f32_e32 v7, v41, v3
	v_mul_f32_e32 v3, v2, v3
	v_fmac_f32_e32 v23, v7, v4
	v_dot4_i32_i8 v4, v42, v55, 0
	v_dot4_i32_i8 v4, v43, v56, v4
	v_dot4_i32_i8 v4, v45, v57, v4
	v_dot4_i32_i8 v4, v44, v50, v4
	v_dot4_i32_i8 v4, v46, v51, v4
	v_dot4_i32_i8 v4, v47, v52, v4
	v_dot4_i32_i8 v4, v48, v53, v4
	v_dot4_i32_i8 v4, v49, v5, v4
	v_cvt_f32_i32_e32 v4, v4
	v_fmac_f32_e32 v22, v3, v4
	v_add_u32_e32 v3, s19, v28
	v_mad_u64_u32 v[3:4], s[24:25], v3, 36, v[10:11]
	global_load_dword v5, v[3:4], off offset:32
	global_load_dwordx4 v[50:53], v[3:4], off offset:16
	global_load_dwordx4 v[54:57], v[3:4], off
	s_add_i32 s19, s19, 64
	s_waitcnt vmcnt(0)
	v_dot4_i32_i8 v4, v6, v55, 0
	v_dot4_i32_i8 v4, v34, v56, v4
	v_dot4_i32_i8 v4, v35, v57, v4
	v_dot4_i32_i8 v4, v36, v50, v4
	v_dot4_i32_i8 v4, v37, v51, v4
	v_dot4_i32_i8 v4, v38, v52, v4
	v_dot4_i32_i8 v4, v39, v53, v4
	v_cvt_f32_f16_e32 v3, v54
	v_dot4_i32_i8 v4, v40, v5, v4
	v_cvt_f32_i32_e32 v4, v4
	v_mul_f32_e32 v7, v41, v3
	v_mul_f32_e32 v3, v2, v3
	v_fmac_f32_e32 v21, v7, v4
	v_dot4_i32_i8 v4, v42, v55, 0
	v_dot4_i32_i8 v4, v43, v56, v4
	v_dot4_i32_i8 v4, v45, v57, v4
	v_dot4_i32_i8 v4, v44, v50, v4
	v_dot4_i32_i8 v4, v46, v51, v4
	v_dot4_i32_i8 v4, v47, v52, v4
	v_dot4_i32_i8 v4, v48, v53, v4
	v_dot4_i32_i8 v4, v49, v5, v4
	v_cvt_f32_i32_e32 v4, v4
	v_fmac_f32_e32 v20, v3, v4
	v_add_u32_e32 v3, s17, v28
	v_mad_u64_u32 v[3:4], s[24:25], v3, 36, v[10:11]
	global_load_dword v5, v[3:4], off offset:32
	global_load_dwordx4 v[50:53], v[3:4], off offset:16
	global_load_dwordx4 v[54:57], v[3:4], off
	s_add_i32 s17, s17, 64
	;; [unrolled: 30-line block ×4, first 2 shown]
	s_or_b64 s[12:13], vcc, s[12:13]
	s_waitcnt vmcnt(0)
	v_dot4_i32_i8 v4, v6, v55, 0
	v_dot4_i32_i8 v4, v34, v56, v4
	;; [unrolled: 1-line block ×7, first 2 shown]
	v_cvt_f32_f16_e32 v3, v54
	v_dot4_i32_i8 v4, v40, v5, v4
	v_cvt_f32_i32_e32 v4, v4
	v_mul_f32_e32 v6, v41, v3
	v_mul_f32_e32 v2, v2, v3
	v_fmac_f32_e32 v15, v6, v4
	v_dot4_i32_i8 v4, v42, v55, 0
	v_dot4_i32_i8 v4, v43, v56, v4
	;; [unrolled: 1-line block ×8, first 2 shown]
	v_cvt_f32_i32_e32 v3, v4
	v_fmac_f32_e32 v14, v2, v3
	s_andn2_b64 exec, exec, s[12:13]
	s_cbranch_execnz .LBB9_2
; %bb.3:
	s_or_b64 exec, exec, s[12:13]
.LBB9_4:
	s_or_b64 exec, exec, s[10:11]
	s_mov_b32 s1, 0
	v_cmp_eq_u32_e32 vcc, 0, v1
	; wave barrier
	s_and_saveexec_b64 s[10:11], vcc
	s_cbranch_execz .LBB9_17
; %bb.5:
	v_mbcnt_lo_u32_b32 v1, -1, 0
	v_mbcnt_hi_u32_b32 v6, -1, v1
	v_and_b32_e32 v1, 64, v6
	v_add_u32_e32 v7, 64, v1
	v_xor_b32_e32 v1, 32, v6
	v_cmp_lt_i32_e32 vcc, v1, v7
	v_cndmask_b32_e32 v1, v6, v1, vcc
	v_lshlrev_b32_e32 v1, 2, v1
	ds_bpermute_b32 v5, v1, v25
	ds_bpermute_b32 v8, v1, v24
	v_xor_b32_e32 v2, 16, v6
	v_cmp_lt_i32_e32 vcc, v2, v7
	v_cndmask_b32_e32 v2, v6, v2, vcc
	v_lshlrev_b32_e32 v2, 2, v2
	s_waitcnt lgkmcnt(1)
	v_add_f32_e32 v5, v25, v5
	s_waitcnt lgkmcnt(0)
	v_add_f32_e32 v8, v24, v8
	ds_bpermute_b32 v10, v2, v5
	ds_bpermute_b32 v11, v2, v8
	v_xor_b32_e32 v3, 8, v6
	v_cmp_lt_i32_e32 vcc, v3, v7
	v_cndmask_b32_e32 v3, v6, v3, vcc
	v_lshlrev_b32_e32 v3, 2, v3
	s_waitcnt lgkmcnt(1)
	v_add_f32_e32 v10, v5, v10
	s_waitcnt lgkmcnt(0)
	v_add_f32_e32 v8, v8, v11
	;; [unrolled: 10-line block ×3, first 2 shown]
	ds_bpermute_b32 v12, v4, v10
	ds_bpermute_b32 v11, v4, v8
	v_xor_b32_e32 v9, 2, v6
	v_cmp_lt_i32_e32 vcc, v9, v7
	v_cndmask_b32_e32 v9, v6, v9, vcc
	v_lshlrev_b32_e32 v5, 2, v9
	v_xor_b32_e32 v9, 1, v6
	v_cmp_lt_i32_e32 vcc, v9, v7
	s_waitcnt lgkmcnt(1)
	v_add_f32_e32 v7, v10, v12
	s_waitcnt lgkmcnt(0)
	v_add_f32_e32 v10, v8, v11
	v_cndmask_b32_e32 v6, v6, v9, vcc
	ds_bpermute_b32 v9, v5, v7
	ds_bpermute_b32 v11, v5, v10
	s_load_dwordx2 s[4:5], s[4:5], 0x38
	s_mul_i32 s3, s14, s7
	v_lshlrev_b32_e32 v8, 2, v6
	s_waitcnt lgkmcnt(0)
	v_add_f32_e32 v6, v7, v9
	v_add_f32_e32 v9, v10, v11
	s_mul_i32 s0, s18, s8
	s_add_i32 s3, s3, s6
	ds_bpermute_b32 v7, v8, v6
	ds_bpermute_b32 v10, v8, v9
	s_add_i32 s0, s3, s0
	s_lshl_b64 s[0:1], s[0:1], 2
	s_add_u32 s4, s4, s0
	v_add_u32_e32 v11, s6, v0
	s_addc_u32 s5, s5, s1
	v_cmp_gt_u32_e32 vcc, 2, v0
	v_cmp_gt_u32_e64 s[0:1], s2, v11
	s_and_b64 s[0:1], vcc, s[0:1]
	s_waitcnt lgkmcnt(1)
	v_add_f32_e32 v6, v6, v7
	s_waitcnt lgkmcnt(0)
	v_add_f32_e32 v7, v9, v10
	s_and_saveexec_b64 s[6:7], s[0:1]
	s_cbranch_execz .LBB9_7
; %bb.6:
	v_cmp_eq_u32_e32 vcc, 1, v0
	v_cndmask_b32_e32 v9, v6, v7, vcc
	v_cmp_eq_u32_e32 vcc, 2, v0
	v_cndmask_b32_e32 v9, v9, v23, vcc
	;; [unrolled: 2-line block ×11, first 2 shown]
	v_lshlrev_b32_e32 v10, 2, v0
	global_store_dword v10, v9, s[4:5]
.LBB9_7:
	s_or_b64 exec, exec, s[6:7]
	ds_bpermute_b32 v9, v1, v23
	ds_bpermute_b32 v10, v1, v22
	s_waitcnt lgkmcnt(1)
	v_add_f32_e32 v9, v23, v9
	s_waitcnt lgkmcnt(0)
	v_add_f32_e32 v10, v22, v10
	ds_bpermute_b32 v11, v2, v9
	ds_bpermute_b32 v12, v2, v10
	s_waitcnt lgkmcnt(1)
	v_add_f32_e32 v9, v9, v11
	s_waitcnt lgkmcnt(0)
	v_add_f32_e32 v10, v10, v12
	;; [unrolled: 6-line block ×6, first 2 shown]
	s_and_saveexec_b64 s[6:7], s[0:1]
	s_cbranch_execz .LBB9_9
; %bb.8:
	v_add_u32_e32 v11, 2, v0
	v_cmp_eq_u32_e32 vcc, 1, v11
	v_cndmask_b32_e32 v12, v6, v7, vcc
	v_cmp_eq_u32_e32 vcc, 2, v11
	v_cndmask_b32_e32 v12, v12, v10, vcc
	;; [unrolled: 2-line block ×11, first 2 shown]
	v_add_u32_e32 v11, s2, v0
	v_mov_b32_e32 v12, 0
	v_lshlrev_b64 v[11:12], 2, v[11:12]
	v_mov_b32_e32 v22, s5
	v_add_co_u32_e32 v11, vcc, s4, v11
	v_addc_co_u32_e32 v12, vcc, v22, v12, vcc
	global_store_dword v[11:12], v13, off
.LBB9_9:
	s_or_b64 exec, exec, s[6:7]
	ds_bpermute_b32 v11, v1, v21
	ds_bpermute_b32 v12, v1, v20
	s_waitcnt lgkmcnt(1)
	v_add_f32_e32 v11, v21, v11
	s_waitcnt lgkmcnt(0)
	v_add_f32_e32 v12, v20, v12
	ds_bpermute_b32 v13, v2, v11
	ds_bpermute_b32 v20, v2, v12
	s_waitcnt lgkmcnt(1)
	v_add_f32_e32 v11, v11, v13
	s_waitcnt lgkmcnt(0)
	v_add_f32_e32 v12, v12, v20
	;; [unrolled: 6-line block ×6, first 2 shown]
	s_and_saveexec_b64 s[6:7], s[0:1]
	s_cbranch_execz .LBB9_11
; %bb.10:
	v_add_u32_e32 v13, 4, v0
	v_cmp_eq_u32_e32 vcc, 1, v13
	v_cndmask_b32_e32 v20, v6, v7, vcc
	v_cmp_eq_u32_e32 vcc, 2, v13
	v_cndmask_b32_e32 v20, v20, v10, vcc
	v_cmp_eq_u32_e32 vcc, 3, v13
	v_cndmask_b32_e32 v20, v20, v9, vcc
	v_cmp_eq_u32_e32 vcc, 4, v13
	v_cndmask_b32_e32 v20, v20, v12, vcc
	v_cmp_eq_u32_e32 vcc, 5, v13
	v_cndmask_b32_e32 v20, v20, v11, vcc
	v_cmp_eq_u32_e32 vcc, 6, v13
	v_cndmask_b32_e32 v20, v20, v19, vcc
	v_cmp_eq_u32_e32 vcc, 7, v13
	v_cndmask_b32_e32 v20, v20, v18, vcc
	v_cmp_eq_u32_e32 vcc, 8, v13
	v_cndmask_b32_e32 v20, v20, v17, vcc
	v_cmp_eq_u32_e32 vcc, 9, v13
	v_cndmask_b32_e32 v20, v20, v16, vcc
	v_cmp_eq_u32_e32 vcc, 10, v13
	v_cndmask_b32_e32 v20, v20, v15, vcc
	v_cmp_eq_u32_e32 vcc, 11, v13
	v_cndmask_b32_e32 v13, v20, v14, vcc
	v_lshl_or_b32 v20, s2, 1, v0
	v_mov_b32_e32 v21, 0
	v_lshlrev_b64 v[20:21], 2, v[20:21]
	v_mov_b32_e32 v22, s5
	v_add_co_u32_e32 v20, vcc, s4, v20
	v_addc_co_u32_e32 v21, vcc, v22, v21, vcc
	global_store_dword v[20:21], v13, off
.LBB9_11:
	s_or_b64 exec, exec, s[6:7]
	ds_bpermute_b32 v13, v1, v19
	ds_bpermute_b32 v20, v1, v18
	s_waitcnt lgkmcnt(1)
	v_add_f32_e32 v13, v19, v13
	s_waitcnt lgkmcnt(0)
	v_add_f32_e32 v18, v18, v20
	ds_bpermute_b32 v19, v2, v13
	ds_bpermute_b32 v20, v2, v18
	s_waitcnt lgkmcnt(1)
	v_add_f32_e32 v13, v13, v19
	s_waitcnt lgkmcnt(0)
	v_add_f32_e32 v18, v18, v20
	;; [unrolled: 6-line block ×6, first 2 shown]
	s_and_saveexec_b64 s[6:7], s[0:1]
	s_cbranch_execz .LBB9_13
; %bb.12:
	v_add_u32_e32 v21, 6, v0
	v_cmp_eq_u32_e32 vcc, 1, v21
	v_cndmask_b32_e32 v19, v6, v7, vcc
	v_cmp_eq_u32_e32 vcc, 2, v21
	v_cndmask_b32_e32 v19, v19, v10, vcc
	;; [unrolled: 2-line block ×10, first 2 shown]
	v_mad_u64_u32 v[19:20], s[8:9], s2, 3, v[0:1]
	v_mov_b32_e32 v20, 0
	v_cmp_eq_u32_e32 vcc, 11, v21
	v_lshlrev_b64 v[19:20], 2, v[19:20]
	v_cndmask_b32_e32 v21, v22, v14, vcc
	v_mov_b32_e32 v22, s5
	v_add_co_u32_e32 v19, vcc, s4, v19
	v_addc_co_u32_e32 v20, vcc, v22, v20, vcc
	global_store_dword v[19:20], v21, off
.LBB9_13:
	s_or_b64 exec, exec, s[6:7]
	ds_bpermute_b32 v19, v1, v17
	ds_bpermute_b32 v20, v1, v16
	s_waitcnt lgkmcnt(1)
	v_add_f32_e32 v17, v17, v19
	s_waitcnt lgkmcnt(0)
	v_add_f32_e32 v16, v16, v20
	ds_bpermute_b32 v19, v2, v17
	ds_bpermute_b32 v20, v2, v16
	s_waitcnt lgkmcnt(1)
	v_add_f32_e32 v17, v17, v19
	s_waitcnt lgkmcnt(0)
	v_add_f32_e32 v16, v16, v20
	ds_bpermute_b32 v19, v3, v17
	ds_bpermute_b32 v20, v3, v16
	s_waitcnt lgkmcnt(1)
	v_add_f32_e32 v17, v17, v19
	s_waitcnt lgkmcnt(0)
	v_add_f32_e32 v16, v16, v20
	ds_bpermute_b32 v19, v4, v17
	ds_bpermute_b32 v20, v4, v16
	s_waitcnt lgkmcnt(1)
	v_add_f32_e32 v17, v17, v19
	s_waitcnt lgkmcnt(0)
	v_add_f32_e32 v16, v16, v20
	ds_bpermute_b32 v19, v5, v17
	ds_bpermute_b32 v20, v5, v16
	s_waitcnt lgkmcnt(1)
	v_add_f32_e32 v17, v17, v19
	s_waitcnt lgkmcnt(0)
	v_add_f32_e32 v16, v16, v20
	ds_bpermute_b32 v19, v8, v17
	ds_bpermute_b32 v20, v8, v16
	s_waitcnt lgkmcnt(1)
	v_add_f32_e32 v17, v17, v19
	s_waitcnt lgkmcnt(0)
	v_add_f32_e32 v16, v16, v20
	s_and_saveexec_b64 s[6:7], s[0:1]
	s_cbranch_execz .LBB9_15
; %bb.14:
	v_add_u32_e32 v19, 8, v0
	v_cmp_eq_u32_e32 vcc, 1, v19
	v_cndmask_b32_e32 v20, v6, v7, vcc
	v_cmp_eq_u32_e32 vcc, 2, v19
	v_cndmask_b32_e32 v20, v20, v10, vcc
	;; [unrolled: 2-line block ×11, first 2 shown]
	v_lshl_or_b32 v19, s2, 2, v0
	v_mov_b32_e32 v20, 0
	v_lshlrev_b64 v[19:20], 2, v[19:20]
	v_mov_b32_e32 v22, s5
	v_add_co_u32_e32 v19, vcc, s4, v19
	v_addc_co_u32_e32 v20, vcc, v22, v20, vcc
	global_store_dword v[19:20], v21, off
.LBB9_15:
	s_or_b64 exec, exec, s[6:7]
	ds_bpermute_b32 v19, v1, v15
	ds_bpermute_b32 v1, v1, v14
	s_waitcnt lgkmcnt(1)
	v_add_f32_e32 v15, v15, v19
	s_waitcnt lgkmcnt(0)
	v_add_f32_e32 v1, v14, v1
	ds_bpermute_b32 v14, v2, v15
	ds_bpermute_b32 v2, v2, v1
	s_waitcnt lgkmcnt(1)
	v_add_f32_e32 v14, v15, v14
	s_waitcnt lgkmcnt(0)
	v_add_f32_e32 v1, v1, v2
	;; [unrolled: 6-line block ×5, first 2 shown]
	ds_bpermute_b32 v3, v8, v1
	ds_bpermute_b32 v4, v8, v2
	s_and_b64 exec, exec, s[0:1]
	s_cbranch_execz .LBB9_17
; %bb.16:
	s_waitcnt lgkmcnt(1)
	v_add_f32_e32 v1, v1, v3
	v_add_u32_e32 v3, 10, v0
	v_cmp_eq_u32_e32 vcc, 1, v3
	s_waitcnt lgkmcnt(0)
	v_add_f32_e32 v2, v2, v4
	v_cndmask_b32_e32 v4, v6, v7, vcc
	v_cmp_eq_u32_e32 vcc, 2, v3
	v_cndmask_b32_e32 v4, v4, v10, vcc
	v_cmp_eq_u32_e32 vcc, 3, v3
	;; [unrolled: 2-line block ×9, first 2 shown]
	v_cndmask_b32_e32 v4, v4, v1, vcc
	v_mad_u64_u32 v[0:1], s[0:1], s2, 5, v[0:1]
	v_mov_b32_e32 v1, 0
	v_cmp_eq_u32_e32 vcc, 11, v3
	v_lshlrev_b64 v[0:1], 2, v[0:1]
	v_cndmask_b32_e32 v2, v4, v2, vcc
	v_mov_b32_e32 v3, s5
	v_add_co_u32_e32 v0, vcc, s4, v0
	v_addc_co_u32_e32 v1, vcc, v3, v1, vcc
	global_store_dword v[0:1], v2, off
.LBB9_17:
	s_endpgm
	.section	.rodata,"a",@progbits
	.p2align	6, 0x0
	.amdhsa_kernel _ZL13mul_mat_vec_qIL9ggml_type41ELi6ELb0ELb0EEvPKvS2_PKi31ggml_cuda_mm_fusion_args_devicePfj15HIP_vector_typeIjLj3EEjjjS8_jjjS8_jjjj
		.amdhsa_group_segment_fixed_size 0
		.amdhsa_private_segment_fixed_size 0
		.amdhsa_kernarg_size 144
		.amdhsa_user_sgpr_count 6
		.amdhsa_user_sgpr_private_segment_buffer 1
		.amdhsa_user_sgpr_dispatch_ptr 0
		.amdhsa_user_sgpr_queue_ptr 0
		.amdhsa_user_sgpr_kernarg_segment_ptr 1
		.amdhsa_user_sgpr_dispatch_id 0
		.amdhsa_user_sgpr_flat_scratch_init 0
		.amdhsa_user_sgpr_private_segment_size 0
		.amdhsa_uses_dynamic_stack 0
		.amdhsa_system_sgpr_private_segment_wavefront_offset 0
		.amdhsa_system_sgpr_workgroup_id_x 1
		.amdhsa_system_sgpr_workgroup_id_y 1
		.amdhsa_system_sgpr_workgroup_id_z 1
		.amdhsa_system_sgpr_workgroup_info 0
		.amdhsa_system_vgpr_workitem_id 1
		.amdhsa_next_free_vgpr 58
		.amdhsa_next_free_sgpr 26
		.amdhsa_reserve_vcc 1
		.amdhsa_reserve_flat_scratch 0
		.amdhsa_float_round_mode_32 0
		.amdhsa_float_round_mode_16_64 0
		.amdhsa_float_denorm_mode_32 3
		.amdhsa_float_denorm_mode_16_64 3
		.amdhsa_dx10_clamp 1
		.amdhsa_ieee_mode 1
		.amdhsa_fp16_overflow 0
		.amdhsa_exception_fp_ieee_invalid_op 0
		.amdhsa_exception_fp_denorm_src 0
		.amdhsa_exception_fp_ieee_div_zero 0
		.amdhsa_exception_fp_ieee_overflow 0
		.amdhsa_exception_fp_ieee_underflow 0
		.amdhsa_exception_fp_ieee_inexact 0
		.amdhsa_exception_int_div_zero 0
	.end_amdhsa_kernel
	.section	.text._ZL13mul_mat_vec_qIL9ggml_type41ELi6ELb0ELb0EEvPKvS2_PKi31ggml_cuda_mm_fusion_args_devicePfj15HIP_vector_typeIjLj3EEjjjS8_jjjS8_jjjj,"axG",@progbits,_ZL13mul_mat_vec_qIL9ggml_type41ELi6ELb0ELb0EEvPKvS2_PKi31ggml_cuda_mm_fusion_args_devicePfj15HIP_vector_typeIjLj3EEjjjS8_jjjS8_jjjj,comdat
.Lfunc_end9:
	.size	_ZL13mul_mat_vec_qIL9ggml_type41ELi6ELb0ELb0EEvPKvS2_PKi31ggml_cuda_mm_fusion_args_devicePfj15HIP_vector_typeIjLj3EEjjjS8_jjjS8_jjjj, .Lfunc_end9-_ZL13mul_mat_vec_qIL9ggml_type41ELi6ELb0ELb0EEvPKvS2_PKi31ggml_cuda_mm_fusion_args_devicePfj15HIP_vector_typeIjLj3EEjjjS8_jjjS8_jjjj
                                        ; -- End function
	.set _ZL13mul_mat_vec_qIL9ggml_type41ELi6ELb0ELb0EEvPKvS2_PKi31ggml_cuda_mm_fusion_args_devicePfj15HIP_vector_typeIjLj3EEjjjS8_jjjS8_jjjj.num_vgpr, 58
	.set _ZL13mul_mat_vec_qIL9ggml_type41ELi6ELb0ELb0EEvPKvS2_PKi31ggml_cuda_mm_fusion_args_devicePfj15HIP_vector_typeIjLj3EEjjjS8_jjjS8_jjjj.num_agpr, 0
	.set _ZL13mul_mat_vec_qIL9ggml_type41ELi6ELb0ELb0EEvPKvS2_PKi31ggml_cuda_mm_fusion_args_devicePfj15HIP_vector_typeIjLj3EEjjjS8_jjjS8_jjjj.numbered_sgpr, 26
	.set _ZL13mul_mat_vec_qIL9ggml_type41ELi6ELb0ELb0EEvPKvS2_PKi31ggml_cuda_mm_fusion_args_devicePfj15HIP_vector_typeIjLj3EEjjjS8_jjjS8_jjjj.num_named_barrier, 0
	.set _ZL13mul_mat_vec_qIL9ggml_type41ELi6ELb0ELb0EEvPKvS2_PKi31ggml_cuda_mm_fusion_args_devicePfj15HIP_vector_typeIjLj3EEjjjS8_jjjS8_jjjj.private_seg_size, 0
	.set _ZL13mul_mat_vec_qIL9ggml_type41ELi6ELb0ELb0EEvPKvS2_PKi31ggml_cuda_mm_fusion_args_devicePfj15HIP_vector_typeIjLj3EEjjjS8_jjjS8_jjjj.uses_vcc, 1
	.set _ZL13mul_mat_vec_qIL9ggml_type41ELi6ELb0ELb0EEvPKvS2_PKi31ggml_cuda_mm_fusion_args_devicePfj15HIP_vector_typeIjLj3EEjjjS8_jjjS8_jjjj.uses_flat_scratch, 0
	.set _ZL13mul_mat_vec_qIL9ggml_type41ELi6ELb0ELb0EEvPKvS2_PKi31ggml_cuda_mm_fusion_args_devicePfj15HIP_vector_typeIjLj3EEjjjS8_jjjS8_jjjj.has_dyn_sized_stack, 0
	.set _ZL13mul_mat_vec_qIL9ggml_type41ELi6ELb0ELb0EEvPKvS2_PKi31ggml_cuda_mm_fusion_args_devicePfj15HIP_vector_typeIjLj3EEjjjS8_jjjS8_jjjj.has_recursion, 0
	.set _ZL13mul_mat_vec_qIL9ggml_type41ELi6ELb0ELb0EEvPKvS2_PKi31ggml_cuda_mm_fusion_args_devicePfj15HIP_vector_typeIjLj3EEjjjS8_jjjS8_jjjj.has_indirect_call, 0
	.section	.AMDGPU.csdata,"",@progbits
; Kernel info:
; codeLenInByte = 5072
; TotalNumSgprs: 30
; NumVgprs: 58
; ScratchSize: 0
; MemoryBound: 0
; FloatMode: 240
; IeeeMode: 1
; LDSByteSize: 0 bytes/workgroup (compile time only)
; SGPRBlocks: 3
; VGPRBlocks: 14
; NumSGPRsForWavesPerEU: 30
; NumVGPRsForWavesPerEU: 58
; Occupancy: 4
; WaveLimiterHint : 0
; COMPUTE_PGM_RSRC2:SCRATCH_EN: 0
; COMPUTE_PGM_RSRC2:USER_SGPR: 6
; COMPUTE_PGM_RSRC2:TRAP_HANDLER: 0
; COMPUTE_PGM_RSRC2:TGID_X_EN: 1
; COMPUTE_PGM_RSRC2:TGID_Y_EN: 1
; COMPUTE_PGM_RSRC2:TGID_Z_EN: 1
; COMPUTE_PGM_RSRC2:TIDIG_COMP_CNT: 1
	.section	.text._ZL13mul_mat_vec_qIL9ggml_type41ELi7ELb0ELb0EEvPKvS2_PKi31ggml_cuda_mm_fusion_args_devicePfj15HIP_vector_typeIjLj3EEjjjS8_jjjS8_jjjj,"axG",@progbits,_ZL13mul_mat_vec_qIL9ggml_type41ELi7ELb0ELb0EEvPKvS2_PKi31ggml_cuda_mm_fusion_args_devicePfj15HIP_vector_typeIjLj3EEjjjS8_jjjS8_jjjj,comdat
	.globl	_ZL13mul_mat_vec_qIL9ggml_type41ELi7ELb0ELb0EEvPKvS2_PKi31ggml_cuda_mm_fusion_args_devicePfj15HIP_vector_typeIjLj3EEjjjS8_jjjS8_jjjj ; -- Begin function _ZL13mul_mat_vec_qIL9ggml_type41ELi7ELb0ELb0EEvPKvS2_PKi31ggml_cuda_mm_fusion_args_devicePfj15HIP_vector_typeIjLj3EEjjjS8_jjjS8_jjjj
	.p2align	8
	.type	_ZL13mul_mat_vec_qIL9ggml_type41ELi7ELb0ELb0EEvPKvS2_PKi31ggml_cuda_mm_fusion_args_devicePfj15HIP_vector_typeIjLj3EEjjjS8_jjjS8_jjjj,@function
_ZL13mul_mat_vec_qIL9ggml_type41ELi7ELb0ELb0EEvPKvS2_PKi31ggml_cuda_mm_fusion_args_devicePfj15HIP_vector_typeIjLj3EEjjjS8_jjjS8_jjjj: ; @_ZL13mul_mat_vec_qIL9ggml_type41ELi7ELb0ELb0EEvPKvS2_PKi31ggml_cuda_mm_fusion_args_devicePfj15HIP_vector_typeIjLj3EEjjjS8_jjjS8_jjjj
; %bb.0:
	s_load_dword s9, s[4:5], 0x40
	s_load_dwordx4 s[0:3], s[4:5], 0x50
	s_load_dword s25, s[4:5], 0x60
	s_load_dwordx4 s[12:15], s[4:5], 0x68
	;; [unrolled: 2-line block ×3, first 2 shown]
	v_lshl_or_b32 v2, v1, 6, v0
	s_waitcnt lgkmcnt(0)
	s_lshr_b32 s9, s9, 7
	v_lshrrev_b32_e32 v28, 2, v2
	s_lshl_b32 s6, s6, 1
	v_cmp_gt_u32_e32 vcc, s9, v28
	v_mov_b32_e32 v14, 0
	v_mov_b32_e32 v15, 0
	;; [unrolled: 1-line block ×14, first 2 shown]
	s_and_saveexec_b64 s[10:11], vcc
	s_cbranch_execz .LBB10_4
; %bb.1:
	s_mul_hi_u32 s3, s3, s7
	s_add_i32 s3, s7, s3
	s_load_dwordx4 s[20:23], s[4:5], 0x0
	s_lshr_b32 s3, s3, s25
	s_mul_i32 s3, s3, s12
	s_mul_hi_u32 s12, s15, s8
	s_add_i32 s12, s8, s12
	s_lshr_b32 s12, s12, s24
	s_mul_i32 s19, s17, s8
	s_mul_i32 s15, s12, s16
	;; [unrolled: 1-line block ×3, first 2 shown]
	s_mul_hi_u32 s12, s19, 36
	s_waitcnt lgkmcnt(0)
	s_add_u32 s16, s22, s16
	s_addc_u32 s17, s23, s12
	s_mul_i32 s12, s13, s7
	s_mul_hi_u32 s13, s12, 36
	s_mul_i32 s12, s12, 36
	s_add_u32 s16, s16, s12
	s_addc_u32 s17, s17, s13
	v_and_b32_e32 v4, 3, v0
	v_mad_u64_u32 v[10:11], s[16:17], v4, 36, s[16:17]
	s_add_i32 s16, s6, 1
	v_mov_b32_e32 v2, s12
	s_add_i32 s24, s15, s3
	s_mul_i32 s15, s6, s0
	s_mul_i32 s0, s0, s16
	s_movk_i32 s16, 0x90
	v_mov_b32_e32 v3, s13
	v_mad_u64_u32 v[2:3], s[12:13], v28, s16, v[2:3]
	v_lshlrev_b32_e32 v29, 2, v4
	v_mov_b32_e32 v14, 0
	v_mad_u64_u32 v[2:3], s[12:13], s19, 36, v[2:3]
	s_mul_i32 s3, s1, 5
	s_add_i32 s15, s24, s15
	v_mad_u64_u32 v[2:3], s[12:13], v4, 36, v[2:3]
	v_mov_b32_e32 v4, s23
	s_add_i32 s0, s24, s0
	v_add_co_u32_e32 v2, vcc, s22, v2
	v_addc_co_u32_e32 v3, vcc, v4, v3, vcc
	v_add_co_u32_e32 v12, vcc, 16, v2
	v_lshlrev_b32_e32 v30, 2, v28
	s_lshl_b32 s16, s1, 2
	s_mul_i32 s17, s1, 3
	s_lshl_b32 s19, s1, 1
	s_mul_i32 s24, s1, 6
	v_addc_co_u32_e32 v13, vcc, 0, v3, vcc
	s_mov_b64 s[12:13], 0
	s_movk_i32 s22, 0x200
	v_mov_b32_e32 v31, 0xff
	v_mov_b32_e32 v32, 0x10000
	;; [unrolled: 1-line block ×18, first 2 shown]
.LBB10_2:                               ; =>This Inner Loop Header: Depth=1
	v_add_u32_e32 v36, s15, v28
	v_mad_i64_i32 v[36:37], s[26:27], v36, 18, s[20:21]
	global_load_dword v52, v[12:13], off offset:16
	global_load_dwordx4 v[2:5], v[12:13], off
	global_load_dwordx4 v[6:9], v[12:13], off offset:-16
	global_load_ushort v43, v[36:37], off
	v_add_co_u32_e32 v36, vcc, v36, v29
	v_addc_co_u32_e32 v37, vcc, 0, v37, vcc
	global_load_dword v42, v[36:37], off offset:2
	s_waitcnt vmcnt(2)
	v_cvt_f32_f16_e32 v53, v6
	s_waitcnt vmcnt(1)
	v_cvt_f32_f16_e32 v43, v43
	s_waitcnt vmcnt(0)
	v_and_b32_e32 v6, 1, v42
	v_cmp_eq_u32_e32 vcc, 0, v6
	v_and_b32_e32 v36, 4, v42
	v_cndmask_b32_e32 v6, 1, v31, vcc
	v_cmp_eq_u32_e32 vcc, 0, v36
	v_and_b32_e32 v37, 8, v42
	v_lshlrev_b32_e32 v38, 8, v42
	v_cndmask_b32_e32 v36, v32, v33, vcc
	v_cmp_eq_u32_e32 vcc, 0, v37
	v_and_or_b32 v6, v38, s22, v6
	v_cndmask_b32_e32 v37, v34, v35, vcc
	v_add_u32_e32 v6, 0xff00, v6
	v_or3_b32 v6, v37, v36, v6
	v_and_b32_e32 v36, 16, v42
	v_cmp_eq_u32_e32 vcc, 0, v36
	v_and_b32_e32 v37, 64, v42
	v_cndmask_b32_e32 v36, 1, v31, vcc
	v_cmp_eq_u32_e32 vcc, 0, v37
	v_and_b32_e32 v38, 0x80, v42
	v_lshlrev_b32_e32 v39, 4, v42
	v_cndmask_b32_e32 v37, v32, v33, vcc
	v_cmp_eq_u32_e32 vcc, 0, v38
	v_and_or_b32 v36, v39, s22, v36
	v_cndmask_b32_e32 v38, v34, v35, vcc
	v_add_u32_e32 v36, 0xff00, v36
	v_or3_b32 v36, v38, v37, v36
	v_and_b32_e32 v37, 0x100, v42
	v_cmp_eq_u32_e32 vcc, 0, v37
	v_and_b32_e32 v38, 0x400, v42
	v_cndmask_b32_e32 v37, 1, v31, vcc
	v_cmp_eq_u32_e32 vcc, 0, v38
	v_and_b32_e32 v39, 0x800, v42
	v_cndmask_b32_e32 v38, v32, v33, vcc
	v_cmp_eq_u32_e32 vcc, 0, v39
	v_and_or_b32 v37, v42, s22, v37
	v_cndmask_b32_e32 v39, v34, v35, vcc
	v_add_u32_e32 v37, 0xff00, v37
	v_or3_b32 v37, v39, v38, v37
	v_and_b32_e32 v38, 0x1000, v42
	v_cmp_eq_u32_e32 vcc, 0, v38
	v_and_b32_e32 v39, 0x4000, v42
	v_cndmask_b32_e32 v38, 1, v31, vcc
	v_cmp_eq_u32_e32 vcc, 0, v39
	v_and_b32_e32 v40, 0x8000, v42
	v_lshrrev_b32_e32 v41, 4, v42
	v_cndmask_b32_e32 v39, v32, v33, vcc
	v_cmp_eq_u32_e32 vcc, 0, v40
	v_and_or_b32 v38, v41, s22, v38
	v_cndmask_b32_e32 v40, v34, v35, vcc
	v_add_u32_e32 v38, 0xff00, v38
	v_or3_b32 v38, v40, v39, v38
	v_and_b32_e32 v39, 0x10000, v42
	v_cmp_eq_u32_e32 vcc, 0, v39
	v_and_b32_e32 v40, 0x40000, v42
	v_cndmask_b32_e32 v39, 1, v31, vcc
	v_cmp_eq_u32_e32 vcc, 0, v40
	v_and_b32_e32 v41, 0x80000, v42
	v_lshrrev_b32_e32 v44, 8, v42
	;; [unrolled: 13-line block ×4, first 2 shown]
	v_cndmask_b32_e32 v44, v32, v33, vcc
	v_cmp_eq_u32_e32 vcc, 0, v45
	v_and_or_b32 v41, v46, s22, v41
	v_cndmask_b32_e32 v45, v34, v35, vcc
	v_add_u32_e32 v41, 0xff00, v41
	v_or3_b32 v41, v45, v44, v41
	v_and_b32_e32 v45, 0x10000000, v42
	v_ashrrev_i32_e32 v44, 28, v42
	v_cmp_eq_u32_e32 vcc, 0, v45
	v_and_b32_e32 v42, 2.0, v42
	v_cndmask_b32_e32 v45, 1, v31, vcc
	v_cmp_eq_u32_e32 vcc, 0, v42
	v_and_b32_e32 v46, 8, v44
	v_lshlrev_b32_e32 v44, 8, v44
	v_cndmask_b32_e32 v42, v32, v33, vcc
	v_cmp_eq_u32_e32 vcc, 0, v46
	v_and_or_b32 v44, v44, s22, v45
	v_cndmask_b32_e32 v46, v34, v35, vcc
	v_add_u32_e32 v44, 0xff00, v44
	v_or3_b32 v42, v46, v42, v44
	v_dot4_i32_i8 v44, v6, v7, 0
	v_dot4_i32_i8 v44, v36, v8, v44
	;; [unrolled: 1-line block ×8, first 2 shown]
	v_cvt_f32_i32_e32 v44, v44
	v_mul_f32_e32 v45, v43, v53
	v_fmac_f32_e32 v27, v45, v44
	v_add_u32_e32 v44, s0, v28
	v_mad_i64_i32 v[44:45], s[26:27], v44, 18, s[20:21]
	v_add_u32_e32 v28, 16, v28
	global_load_ushort v54, v[44:45], off
	v_add_co_u32_e32 v44, vcc, v44, v29
	v_addc_co_u32_e32 v45, vcc, 0, v45, vcc
	global_load_dword v51, v[44:45], off offset:2
	s_waitcnt vmcnt(0)
	v_and_b32_e32 v44, 1, v51
	v_cmp_eq_u32_e32 vcc, 0, v44
	v_and_b32_e32 v45, 4, v51
	v_cndmask_b32_e32 v44, 1, v31, vcc
	v_cmp_eq_u32_e32 vcc, 0, v45
	v_and_b32_e32 v46, 8, v51
	v_lshlrev_b32_e32 v47, 8, v51
	v_cndmask_b32_e32 v45, v32, v33, vcc
	v_cmp_eq_u32_e32 vcc, 0, v46
	v_and_or_b32 v44, v47, s22, v44
	v_cndmask_b32_e32 v46, v34, v35, vcc
	v_add_u32_e32 v44, 0xff00, v44
	v_or3_b32 v44, v46, v45, v44
	v_and_b32_e32 v45, 16, v51
	v_cmp_eq_u32_e32 vcc, 0, v45
	v_and_b32_e32 v46, 64, v51
	v_cndmask_b32_e32 v45, 1, v31, vcc
	v_cmp_eq_u32_e32 vcc, 0, v46
	v_and_b32_e32 v47, 0x80, v51
	v_lshlrev_b32_e32 v48, 4, v51
	v_cndmask_b32_e32 v46, v32, v33, vcc
	v_cmp_eq_u32_e32 vcc, 0, v47
	v_and_or_b32 v45, v48, s22, v45
	v_cndmask_b32_e32 v47, v34, v35, vcc
	v_add_u32_e32 v45, 0xff00, v45
	v_or3_b32 v45, v47, v46, v45
	v_and_b32_e32 v46, 0x100, v51
	v_cmp_eq_u32_e32 vcc, 0, v46
	v_and_b32_e32 v47, 0x400, v51
	v_cndmask_b32_e32 v46, 1, v31, vcc
	v_cmp_eq_u32_e32 vcc, 0, v47
	v_and_b32_e32 v48, 0x800, v51
	v_cndmask_b32_e32 v47, v32, v33, vcc
	v_cmp_eq_u32_e32 vcc, 0, v48
	v_and_or_b32 v46, v51, s22, v46
	v_cndmask_b32_e32 v48, v34, v35, vcc
	v_add_u32_e32 v46, 0xff00, v46
	v_or3_b32 v46, v48, v47, v46
	v_and_b32_e32 v47, 0x1000, v51
	v_cmp_eq_u32_e32 vcc, 0, v47
	v_and_b32_e32 v48, 0x4000, v51
	v_cndmask_b32_e32 v47, 1, v31, vcc
	v_cmp_eq_u32_e32 vcc, 0, v48
	v_and_b32_e32 v49, 0x8000, v51
	v_lshrrev_b32_e32 v50, 4, v51
	v_cndmask_b32_e32 v48, v32, v33, vcc
	v_cmp_eq_u32_e32 vcc, 0, v49
	v_and_or_b32 v47, v50, s22, v47
	v_cndmask_b32_e32 v49, v34, v35, vcc
	v_add_u32_e32 v47, 0xff00, v47
	v_or3_b32 v47, v49, v48, v47
	v_and_b32_e32 v48, 0x10000, v51
	v_cmp_eq_u32_e32 vcc, 0, v48
	v_and_b32_e32 v49, 0x40000, v51
	v_cndmask_b32_e32 v48, 1, v31, vcc
	v_cmp_eq_u32_e32 vcc, 0, v49
	v_and_b32_e32 v50, 0x80000, v51
	v_lshrrev_b32_e32 v55, 8, v51
	;; [unrolled: 13-line block ×4, first 2 shown]
	v_cndmask_b32_e32 v55, v32, v33, vcc
	v_cmp_eq_u32_e32 vcc, 0, v56
	v_and_or_b32 v50, v57, s22, v50
	v_cndmask_b32_e32 v56, v34, v35, vcc
	v_add_u32_e32 v50, 0xff00, v50
	v_dot4_i32_i8 v7, v44, v7, 0
	v_or3_b32 v50, v56, v55, v50
	v_and_b32_e32 v56, 0x10000000, v51
	v_dot4_i32_i8 v7, v45, v8, v7
	v_ashrrev_i32_e32 v55, 28, v51
	v_cmp_eq_u32_e32 vcc, 0, v56
	v_and_b32_e32 v51, 2.0, v51
	v_dot4_i32_i8 v7, v46, v9, v7
	v_cndmask_b32_e32 v56, 1, v31, vcc
	v_cmp_eq_u32_e32 vcc, 0, v51
	v_and_b32_e32 v57, 8, v55
	v_lshlrev_b32_e32 v55, 8, v55
	v_dot4_i32_i8 v2, v47, v2, v7
	v_cndmask_b32_e32 v51, v32, v33, vcc
	v_cmp_eq_u32_e32 vcc, 0, v57
	v_and_or_b32 v55, v55, s22, v56
	v_dot4_i32_i8 v2, v48, v3, v2
	v_cndmask_b32_e32 v57, v34, v35, vcc
	v_add_u32_e32 v55, 0xff00, v55
	v_dot4_i32_i8 v2, v49, v4, v2
	v_or3_b32 v51, v57, v51, v55
	v_dot4_i32_i8 v2, v50, v5, v2
	v_dot4_i32_i8 v3, v51, v52, v2
	v_cvt_f32_f16_e32 v2, v54
	v_cvt_f32_i32_e32 v3, v3
	v_add_co_u32_e32 v12, vcc, 0x900, v12
	v_mul_f32_e32 v4, v2, v53
	v_fmac_f32_e32 v26, v4, v3
	v_add_u32_e32 v3, s1, v30
	v_mad_u64_u32 v[3:4], s[26:27], v3, 36, v[10:11]
	global_load_dword v5, v[3:4], off offset:32
	global_load_dwordx4 v[52:55], v[3:4], off offset:16
	global_load_dwordx4 v[56:59], v[3:4], off
	v_addc_co_u32_e32 v13, vcc, 0, v13, vcc
	s_add_i32 s1, s1, 64
	v_cmp_le_u32_e32 vcc, s9, v28
	s_waitcnt vmcnt(0)
	v_dot4_i32_i8 v4, v6, v57, 0
	v_dot4_i32_i8 v4, v36, v58, v4
	v_dot4_i32_i8 v4, v37, v59, v4
	v_dot4_i32_i8 v4, v38, v52, v4
	v_dot4_i32_i8 v4, v39, v53, v4
	v_dot4_i32_i8 v4, v40, v54, v4
	v_dot4_i32_i8 v4, v41, v55, v4
	v_cvt_f32_f16_e32 v3, v56
	v_dot4_i32_i8 v4, v42, v5, v4
	v_cvt_f32_i32_e32 v4, v4
	v_mul_f32_e32 v7, v43, v3
	v_mul_f32_e32 v3, v2, v3
	v_fmac_f32_e32 v25, v7, v4
	v_dot4_i32_i8 v4, v44, v57, 0
	v_dot4_i32_i8 v4, v45, v58, v4
	v_dot4_i32_i8 v4, v46, v59, v4
	v_dot4_i32_i8 v4, v47, v52, v4
	v_dot4_i32_i8 v4, v48, v53, v4
	v_dot4_i32_i8 v4, v49, v54, v4
	v_dot4_i32_i8 v4, v50, v55, v4
	v_dot4_i32_i8 v4, v51, v5, v4
	v_cvt_f32_i32_e32 v4, v4
	v_fmac_f32_e32 v24, v3, v4
	v_add_u32_e32 v3, s19, v30
	v_mad_u64_u32 v[3:4], s[26:27], v3, 36, v[10:11]
	global_load_dword v5, v[3:4], off offset:32
	global_load_dwordx4 v[52:55], v[3:4], off offset:16
	global_load_dwordx4 v[56:59], v[3:4], off
	s_add_i32 s19, s19, 64
	s_waitcnt vmcnt(0)
	v_dot4_i32_i8 v4, v6, v57, 0
	v_dot4_i32_i8 v4, v36, v58, v4
	v_dot4_i32_i8 v4, v37, v59, v4
	v_dot4_i32_i8 v4, v38, v52, v4
	v_dot4_i32_i8 v4, v39, v53, v4
	v_dot4_i32_i8 v4, v40, v54, v4
	v_dot4_i32_i8 v4, v41, v55, v4
	v_cvt_f32_f16_e32 v3, v56
	v_dot4_i32_i8 v4, v42, v5, v4
	v_cvt_f32_i32_e32 v4, v4
	v_mul_f32_e32 v7, v43, v3
	v_mul_f32_e32 v3, v2, v3
	v_fmac_f32_e32 v23, v7, v4
	v_dot4_i32_i8 v4, v44, v57, 0
	v_dot4_i32_i8 v4, v45, v58, v4
	v_dot4_i32_i8 v4, v46, v59, v4
	v_dot4_i32_i8 v4, v47, v52, v4
	v_dot4_i32_i8 v4, v48, v53, v4
	v_dot4_i32_i8 v4, v49, v54, v4
	v_dot4_i32_i8 v4, v50, v55, v4
	v_dot4_i32_i8 v4, v51, v5, v4
	v_cvt_f32_i32_e32 v4, v4
	v_fmac_f32_e32 v22, v3, v4
	v_add_u32_e32 v3, s17, v30
	v_mad_u64_u32 v[3:4], s[26:27], v3, 36, v[10:11]
	global_load_dword v5, v[3:4], off offset:32
	global_load_dwordx4 v[52:55], v[3:4], off offset:16
	global_load_dwordx4 v[56:59], v[3:4], off
	s_add_i32 s17, s17, 64
	;; [unrolled: 30-line block ×5, first 2 shown]
	s_or_b64 s[12:13], vcc, s[12:13]
	s_waitcnt vmcnt(0)
	v_dot4_i32_i8 v4, v6, v57, 0
	v_dot4_i32_i8 v4, v36, v58, v4
	;; [unrolled: 1-line block ×7, first 2 shown]
	v_cvt_f32_f16_e32 v3, v56
	v_dot4_i32_i8 v4, v42, v5, v4
	v_cvt_f32_i32_e32 v4, v4
	v_mul_f32_e32 v6, v43, v3
	v_mul_f32_e32 v2, v2, v3
	v_fmac_f32_e32 v15, v6, v4
	v_dot4_i32_i8 v4, v44, v57, 0
	v_dot4_i32_i8 v4, v45, v58, v4
	;; [unrolled: 1-line block ×8, first 2 shown]
	v_cvt_f32_i32_e32 v3, v4
	v_fmac_f32_e32 v14, v2, v3
	s_andn2_b64 exec, exec, s[12:13]
	s_cbranch_execnz .LBB10_2
; %bb.3:
	s_or_b64 exec, exec, s[12:13]
.LBB10_4:
	s_or_b64 exec, exec, s[10:11]
	s_mov_b32 s1, 0
	v_cmp_eq_u32_e32 vcc, 0, v1
	; wave barrier
	s_and_saveexec_b64 s[10:11], vcc
	s_cbranch_execz .LBB10_19
; %bb.5:
	v_mbcnt_lo_u32_b32 v1, -1, 0
	v_mbcnt_hi_u32_b32 v6, -1, v1
	v_and_b32_e32 v1, 64, v6
	v_add_u32_e32 v7, 64, v1
	v_xor_b32_e32 v1, 32, v6
	v_cmp_lt_i32_e32 vcc, v1, v7
	v_cndmask_b32_e32 v1, v6, v1, vcc
	v_lshlrev_b32_e32 v1, 2, v1
	ds_bpermute_b32 v5, v1, v27
	ds_bpermute_b32 v8, v1, v26
	v_xor_b32_e32 v2, 16, v6
	v_cmp_lt_i32_e32 vcc, v2, v7
	v_cndmask_b32_e32 v2, v6, v2, vcc
	v_lshlrev_b32_e32 v2, 2, v2
	s_waitcnt lgkmcnt(1)
	v_add_f32_e32 v5, v27, v5
	s_waitcnt lgkmcnt(0)
	v_add_f32_e32 v8, v26, v8
	ds_bpermute_b32 v10, v2, v5
	ds_bpermute_b32 v11, v2, v8
	v_xor_b32_e32 v3, 8, v6
	v_cmp_lt_i32_e32 vcc, v3, v7
	v_cndmask_b32_e32 v3, v6, v3, vcc
	v_lshlrev_b32_e32 v3, 2, v3
	s_waitcnt lgkmcnt(1)
	v_add_f32_e32 v10, v5, v10
	s_waitcnt lgkmcnt(0)
	v_add_f32_e32 v8, v8, v11
	;; [unrolled: 10-line block ×3, first 2 shown]
	ds_bpermute_b32 v12, v4, v10
	ds_bpermute_b32 v11, v4, v8
	v_xor_b32_e32 v9, 2, v6
	v_cmp_lt_i32_e32 vcc, v9, v7
	v_cndmask_b32_e32 v9, v6, v9, vcc
	v_lshlrev_b32_e32 v5, 2, v9
	v_xor_b32_e32 v9, 1, v6
	v_cmp_lt_i32_e32 vcc, v9, v7
	s_waitcnt lgkmcnt(1)
	v_add_f32_e32 v7, v10, v12
	s_waitcnt lgkmcnt(0)
	v_add_f32_e32 v10, v8, v11
	v_cndmask_b32_e32 v6, v6, v9, vcc
	ds_bpermute_b32 v9, v5, v7
	ds_bpermute_b32 v11, v5, v10
	s_load_dwordx2 s[4:5], s[4:5], 0x38
	s_mul_i32 s3, s14, s7
	v_lshlrev_b32_e32 v8, 2, v6
	s_waitcnt lgkmcnt(0)
	v_add_f32_e32 v6, v7, v9
	v_add_f32_e32 v9, v10, v11
	s_mul_i32 s0, s18, s8
	s_add_i32 s3, s3, s6
	ds_bpermute_b32 v7, v8, v6
	ds_bpermute_b32 v10, v8, v9
	s_add_i32 s0, s3, s0
	s_lshl_b64 s[0:1], s[0:1], 2
	s_add_u32 s4, s4, s0
	v_add_u32_e32 v11, s6, v0
	s_addc_u32 s5, s5, s1
	v_cmp_gt_u32_e32 vcc, 2, v0
	v_cmp_gt_u32_e64 s[0:1], s2, v11
	s_and_b64 s[0:1], vcc, s[0:1]
	s_waitcnt lgkmcnt(1)
	v_add_f32_e32 v6, v6, v7
	s_waitcnt lgkmcnt(0)
	v_add_f32_e32 v7, v9, v10
	s_and_saveexec_b64 s[6:7], s[0:1]
	s_cbranch_execz .LBB10_7
; %bb.6:
	v_cmp_eq_u32_e32 vcc, 1, v0
	v_cndmask_b32_e32 v9, v6, v7, vcc
	v_cmp_eq_u32_e32 vcc, 2, v0
	v_cndmask_b32_e32 v9, v9, v25, vcc
	;; [unrolled: 2-line block ×13, first 2 shown]
	v_lshlrev_b32_e32 v10, 2, v0
	global_store_dword v10, v9, s[4:5]
.LBB10_7:
	s_or_b64 exec, exec, s[6:7]
	ds_bpermute_b32 v9, v1, v25
	ds_bpermute_b32 v10, v1, v24
	s_waitcnt lgkmcnt(1)
	v_add_f32_e32 v9, v25, v9
	s_waitcnt lgkmcnt(0)
	v_add_f32_e32 v10, v24, v10
	ds_bpermute_b32 v11, v2, v9
	ds_bpermute_b32 v12, v2, v10
	s_waitcnt lgkmcnt(1)
	v_add_f32_e32 v9, v9, v11
	s_waitcnt lgkmcnt(0)
	v_add_f32_e32 v10, v10, v12
	;; [unrolled: 6-line block ×6, first 2 shown]
	s_and_saveexec_b64 s[6:7], s[0:1]
	s_cbranch_execz .LBB10_9
; %bb.8:
	v_add_u32_e32 v11, 2, v0
	v_cmp_eq_u32_e32 vcc, 1, v11
	v_cndmask_b32_e32 v12, v6, v7, vcc
	v_cmp_eq_u32_e32 vcc, 2, v11
	v_cndmask_b32_e32 v12, v12, v10, vcc
	;; [unrolled: 2-line block ×13, first 2 shown]
	v_add_u32_e32 v11, s2, v0
	v_mov_b32_e32 v12, 0
	v_lshlrev_b64 v[11:12], 2, v[11:12]
	v_mov_b32_e32 v24, s5
	v_add_co_u32_e32 v11, vcc, s4, v11
	v_addc_co_u32_e32 v12, vcc, v24, v12, vcc
	global_store_dword v[11:12], v13, off
.LBB10_9:
	s_or_b64 exec, exec, s[6:7]
	ds_bpermute_b32 v11, v1, v23
	ds_bpermute_b32 v12, v1, v22
	s_waitcnt lgkmcnt(1)
	v_add_f32_e32 v11, v23, v11
	s_waitcnt lgkmcnt(0)
	v_add_f32_e32 v12, v22, v12
	ds_bpermute_b32 v13, v2, v11
	ds_bpermute_b32 v22, v2, v12
	s_waitcnt lgkmcnt(1)
	v_add_f32_e32 v11, v11, v13
	s_waitcnt lgkmcnt(0)
	v_add_f32_e32 v12, v12, v22
	ds_bpermute_b32 v13, v3, v11
	ds_bpermute_b32 v22, v3, v12
	s_waitcnt lgkmcnt(1)
	v_add_f32_e32 v11, v11, v13
	s_waitcnt lgkmcnt(0)
	v_add_f32_e32 v12, v12, v22
	ds_bpermute_b32 v13, v4, v11
	ds_bpermute_b32 v22, v4, v12
	s_waitcnt lgkmcnt(1)
	v_add_f32_e32 v11, v11, v13
	s_waitcnt lgkmcnt(0)
	v_add_f32_e32 v12, v12, v22
	ds_bpermute_b32 v13, v5, v11
	ds_bpermute_b32 v22, v5, v12
	s_waitcnt lgkmcnt(1)
	v_add_f32_e32 v11, v11, v13
	s_waitcnt lgkmcnt(0)
	v_add_f32_e32 v13, v12, v22
	ds_bpermute_b32 v12, v8, v11
	ds_bpermute_b32 v22, v8, v13
	s_waitcnt lgkmcnt(1)
	v_add_f32_e32 v12, v11, v12
	s_waitcnt lgkmcnt(0)
	v_add_f32_e32 v11, v13, v22
	s_and_saveexec_b64 s[6:7], s[0:1]
	s_cbranch_execz .LBB10_11
; %bb.10:
	v_add_u32_e32 v13, 4, v0
	v_cmp_eq_u32_e32 vcc, 1, v13
	v_cndmask_b32_e32 v22, v6, v7, vcc
	v_cmp_eq_u32_e32 vcc, 2, v13
	v_cndmask_b32_e32 v22, v22, v10, vcc
	;; [unrolled: 2-line block ×13, first 2 shown]
	v_lshl_or_b32 v22, s2, 1, v0
	v_mov_b32_e32 v23, 0
	v_lshlrev_b64 v[22:23], 2, v[22:23]
	v_mov_b32_e32 v24, s5
	v_add_co_u32_e32 v22, vcc, s4, v22
	v_addc_co_u32_e32 v23, vcc, v24, v23, vcc
	global_store_dword v[22:23], v13, off
.LBB10_11:
	s_or_b64 exec, exec, s[6:7]
	ds_bpermute_b32 v13, v1, v21
	ds_bpermute_b32 v22, v1, v20
	s_waitcnt lgkmcnt(1)
	v_add_f32_e32 v13, v21, v13
	s_waitcnt lgkmcnt(0)
	v_add_f32_e32 v20, v20, v22
	ds_bpermute_b32 v21, v2, v13
	ds_bpermute_b32 v22, v2, v20
	s_waitcnt lgkmcnt(1)
	v_add_f32_e32 v13, v13, v21
	s_waitcnt lgkmcnt(0)
	v_add_f32_e32 v20, v20, v22
	;; [unrolled: 6-line block ×6, first 2 shown]
	s_and_saveexec_b64 s[6:7], s[0:1]
	s_cbranch_execz .LBB10_13
; %bb.12:
	v_add_u32_e32 v23, 6, v0
	v_cmp_eq_u32_e32 vcc, 1, v23
	v_cndmask_b32_e32 v21, v6, v7, vcc
	v_cmp_eq_u32_e32 vcc, 2, v23
	v_cndmask_b32_e32 v21, v21, v10, vcc
	;; [unrolled: 2-line block ×12, first 2 shown]
	v_mad_u64_u32 v[21:22], s[8:9], s2, 3, v[0:1]
	v_mov_b32_e32 v22, 0
	v_cmp_eq_u32_e32 vcc, 13, v23
	v_lshlrev_b64 v[21:22], 2, v[21:22]
	v_cndmask_b32_e32 v23, v24, v14, vcc
	v_mov_b32_e32 v24, s5
	v_add_co_u32_e32 v21, vcc, s4, v21
	v_addc_co_u32_e32 v22, vcc, v24, v22, vcc
	global_store_dword v[21:22], v23, off
.LBB10_13:
	s_or_b64 exec, exec, s[6:7]
	ds_bpermute_b32 v21, v1, v19
	ds_bpermute_b32 v22, v1, v18
	s_waitcnt lgkmcnt(1)
	v_add_f32_e32 v19, v19, v21
	s_waitcnt lgkmcnt(0)
	v_add_f32_e32 v18, v18, v22
	ds_bpermute_b32 v21, v2, v19
	ds_bpermute_b32 v22, v2, v18
	s_waitcnt lgkmcnt(1)
	v_add_f32_e32 v19, v19, v21
	s_waitcnt lgkmcnt(0)
	v_add_f32_e32 v18, v18, v22
	;; [unrolled: 6-line block ×6, first 2 shown]
	s_and_saveexec_b64 s[6:7], s[0:1]
	s_cbranch_execz .LBB10_15
; %bb.14:
	v_add_u32_e32 v21, 8, v0
	v_cmp_eq_u32_e32 vcc, 1, v21
	v_cndmask_b32_e32 v22, v6, v7, vcc
	v_cmp_eq_u32_e32 vcc, 2, v21
	v_cndmask_b32_e32 v22, v22, v10, vcc
	;; [unrolled: 2-line block ×13, first 2 shown]
	v_lshl_or_b32 v21, s2, 2, v0
	v_mov_b32_e32 v22, 0
	v_lshlrev_b64 v[21:22], 2, v[21:22]
	v_mov_b32_e32 v24, s5
	v_add_co_u32_e32 v21, vcc, s4, v21
	v_addc_co_u32_e32 v22, vcc, v24, v22, vcc
	global_store_dword v[21:22], v23, off
.LBB10_15:
	s_or_b64 exec, exec, s[6:7]
	ds_bpermute_b32 v21, v1, v17
	ds_bpermute_b32 v22, v1, v16
	s_waitcnt lgkmcnt(1)
	v_add_f32_e32 v17, v17, v21
	s_waitcnt lgkmcnt(0)
	v_add_f32_e32 v16, v16, v22
	ds_bpermute_b32 v21, v2, v17
	ds_bpermute_b32 v22, v2, v16
	s_waitcnt lgkmcnt(1)
	v_add_f32_e32 v17, v17, v21
	s_waitcnt lgkmcnt(0)
	v_add_f32_e32 v16, v16, v22
	;; [unrolled: 6-line block ×6, first 2 shown]
	s_and_saveexec_b64 s[6:7], s[0:1]
	s_cbranch_execz .LBB10_17
; %bb.16:
	v_add_u32_e32 v23, 10, v0
	v_cmp_eq_u32_e32 vcc, 1, v23
	v_cndmask_b32_e32 v21, v6, v7, vcc
	v_cmp_eq_u32_e32 vcc, 2, v23
	v_cndmask_b32_e32 v21, v21, v10, vcc
	v_cmp_eq_u32_e32 vcc, 3, v23
	v_cndmask_b32_e32 v21, v21, v9, vcc
	v_cmp_eq_u32_e32 vcc, 4, v23
	v_cndmask_b32_e32 v21, v21, v12, vcc
	v_cmp_eq_u32_e32 vcc, 5, v23
	v_cndmask_b32_e32 v21, v21, v11, vcc
	v_cmp_eq_u32_e32 vcc, 6, v23
	v_cndmask_b32_e32 v21, v21, v20, vcc
	v_cmp_eq_u32_e32 vcc, 7, v23
	v_cndmask_b32_e32 v21, v21, v13, vcc
	v_cmp_eq_u32_e32 vcc, 8, v23
	v_cndmask_b32_e32 v21, v21, v19, vcc
	v_cmp_eq_u32_e32 vcc, 9, v23
	v_cndmask_b32_e32 v21, v21, v18, vcc
	v_cmp_eq_u32_e32 vcc, 10, v23
	v_cndmask_b32_e32 v21, v21, v17, vcc
	v_cmp_eq_u32_e32 vcc, 11, v23
	v_cndmask_b32_e32 v21, v21, v16, vcc
	v_cmp_eq_u32_e32 vcc, 12, v23
	v_cndmask_b32_e32 v24, v21, v15, vcc
	v_mad_u64_u32 v[21:22], s[8:9], s2, 5, v[0:1]
	v_mov_b32_e32 v22, 0
	v_cmp_eq_u32_e32 vcc, 13, v23
	v_lshlrev_b64 v[21:22], 2, v[21:22]
	v_cndmask_b32_e32 v23, v24, v14, vcc
	v_mov_b32_e32 v24, s5
	v_add_co_u32_e32 v21, vcc, s4, v21
	v_addc_co_u32_e32 v22, vcc, v24, v22, vcc
	global_store_dword v[21:22], v23, off
.LBB10_17:
	s_or_b64 exec, exec, s[6:7]
	ds_bpermute_b32 v21, v1, v15
	ds_bpermute_b32 v1, v1, v14
	s_waitcnt lgkmcnt(1)
	v_add_f32_e32 v15, v15, v21
	s_waitcnt lgkmcnt(0)
	v_add_f32_e32 v1, v14, v1
	ds_bpermute_b32 v14, v2, v15
	ds_bpermute_b32 v2, v2, v1
	s_waitcnt lgkmcnt(1)
	v_add_f32_e32 v14, v15, v14
	s_waitcnt lgkmcnt(0)
	v_add_f32_e32 v1, v1, v2
	;; [unrolled: 6-line block ×5, first 2 shown]
	ds_bpermute_b32 v3, v8, v1
	ds_bpermute_b32 v4, v8, v2
	s_and_b64 exec, exec, s[0:1]
	s_cbranch_execz .LBB10_19
; %bb.18:
	s_waitcnt lgkmcnt(1)
	v_add_f32_e32 v1, v1, v3
	v_add_u32_e32 v3, 12, v0
	v_cmp_eq_u32_e32 vcc, 1, v3
	s_waitcnt lgkmcnt(0)
	v_add_f32_e32 v2, v2, v4
	v_cndmask_b32_e32 v4, v6, v7, vcc
	v_cmp_eq_u32_e32 vcc, 2, v3
	v_cndmask_b32_e32 v4, v4, v10, vcc
	v_cmp_eq_u32_e32 vcc, 3, v3
	;; [unrolled: 2-line block ×12, first 2 shown]
	s_mul_i32 s0, s2, 6
	v_cndmask_b32_e32 v2, v1, v2, vcc
	v_or_b32_e32 v0, s0, v0
	v_mov_b32_e32 v1, 0
	v_lshlrev_b64 v[0:1], 2, v[0:1]
	v_mov_b32_e32 v3, s5
	v_add_co_u32_e32 v0, vcc, s4, v0
	v_addc_co_u32_e32 v1, vcc, v3, v1, vcc
	global_store_dword v[0:1], v2, off
.LBB10_19:
	s_endpgm
	.section	.rodata,"a",@progbits
	.p2align	6, 0x0
	.amdhsa_kernel _ZL13mul_mat_vec_qIL9ggml_type41ELi7ELb0ELb0EEvPKvS2_PKi31ggml_cuda_mm_fusion_args_devicePfj15HIP_vector_typeIjLj3EEjjjS8_jjjS8_jjjj
		.amdhsa_group_segment_fixed_size 0
		.amdhsa_private_segment_fixed_size 0
		.amdhsa_kernarg_size 144
		.amdhsa_user_sgpr_count 6
		.amdhsa_user_sgpr_private_segment_buffer 1
		.amdhsa_user_sgpr_dispatch_ptr 0
		.amdhsa_user_sgpr_queue_ptr 0
		.amdhsa_user_sgpr_kernarg_segment_ptr 1
		.amdhsa_user_sgpr_dispatch_id 0
		.amdhsa_user_sgpr_flat_scratch_init 0
		.amdhsa_user_sgpr_private_segment_size 0
		.amdhsa_uses_dynamic_stack 0
		.amdhsa_system_sgpr_private_segment_wavefront_offset 0
		.amdhsa_system_sgpr_workgroup_id_x 1
		.amdhsa_system_sgpr_workgroup_id_y 1
		.amdhsa_system_sgpr_workgroup_id_z 1
		.amdhsa_system_sgpr_workgroup_info 0
		.amdhsa_system_vgpr_workitem_id 1
		.amdhsa_next_free_vgpr 60
		.amdhsa_next_free_sgpr 28
		.amdhsa_reserve_vcc 1
		.amdhsa_reserve_flat_scratch 0
		.amdhsa_float_round_mode_32 0
		.amdhsa_float_round_mode_16_64 0
		.amdhsa_float_denorm_mode_32 3
		.amdhsa_float_denorm_mode_16_64 3
		.amdhsa_dx10_clamp 1
		.amdhsa_ieee_mode 1
		.amdhsa_fp16_overflow 0
		.amdhsa_exception_fp_ieee_invalid_op 0
		.amdhsa_exception_fp_denorm_src 0
		.amdhsa_exception_fp_ieee_div_zero 0
		.amdhsa_exception_fp_ieee_overflow 0
		.amdhsa_exception_fp_ieee_underflow 0
		.amdhsa_exception_fp_ieee_inexact 0
		.amdhsa_exception_int_div_zero 0
	.end_amdhsa_kernel
	.section	.text._ZL13mul_mat_vec_qIL9ggml_type41ELi7ELb0ELb0EEvPKvS2_PKi31ggml_cuda_mm_fusion_args_devicePfj15HIP_vector_typeIjLj3EEjjjS8_jjjS8_jjjj,"axG",@progbits,_ZL13mul_mat_vec_qIL9ggml_type41ELi7ELb0ELb0EEvPKvS2_PKi31ggml_cuda_mm_fusion_args_devicePfj15HIP_vector_typeIjLj3EEjjjS8_jjjS8_jjjj,comdat
.Lfunc_end10:
	.size	_ZL13mul_mat_vec_qIL9ggml_type41ELi7ELb0ELb0EEvPKvS2_PKi31ggml_cuda_mm_fusion_args_devicePfj15HIP_vector_typeIjLj3EEjjjS8_jjjS8_jjjj, .Lfunc_end10-_ZL13mul_mat_vec_qIL9ggml_type41ELi7ELb0ELb0EEvPKvS2_PKi31ggml_cuda_mm_fusion_args_devicePfj15HIP_vector_typeIjLj3EEjjjS8_jjjS8_jjjj
                                        ; -- End function
	.set _ZL13mul_mat_vec_qIL9ggml_type41ELi7ELb0ELb0EEvPKvS2_PKi31ggml_cuda_mm_fusion_args_devicePfj15HIP_vector_typeIjLj3EEjjjS8_jjjS8_jjjj.num_vgpr, 60
	.set _ZL13mul_mat_vec_qIL9ggml_type41ELi7ELb0ELb0EEvPKvS2_PKi31ggml_cuda_mm_fusion_args_devicePfj15HIP_vector_typeIjLj3EEjjjS8_jjjS8_jjjj.num_agpr, 0
	.set _ZL13mul_mat_vec_qIL9ggml_type41ELi7ELb0ELb0EEvPKvS2_PKi31ggml_cuda_mm_fusion_args_devicePfj15HIP_vector_typeIjLj3EEjjjS8_jjjS8_jjjj.numbered_sgpr, 28
	.set _ZL13mul_mat_vec_qIL9ggml_type41ELi7ELb0ELb0EEvPKvS2_PKi31ggml_cuda_mm_fusion_args_devicePfj15HIP_vector_typeIjLj3EEjjjS8_jjjS8_jjjj.num_named_barrier, 0
	.set _ZL13mul_mat_vec_qIL9ggml_type41ELi7ELb0ELb0EEvPKvS2_PKi31ggml_cuda_mm_fusion_args_devicePfj15HIP_vector_typeIjLj3EEjjjS8_jjjS8_jjjj.private_seg_size, 0
	.set _ZL13mul_mat_vec_qIL9ggml_type41ELi7ELb0ELb0EEvPKvS2_PKi31ggml_cuda_mm_fusion_args_devicePfj15HIP_vector_typeIjLj3EEjjjS8_jjjS8_jjjj.uses_vcc, 1
	.set _ZL13mul_mat_vec_qIL9ggml_type41ELi7ELb0ELb0EEvPKvS2_PKi31ggml_cuda_mm_fusion_args_devicePfj15HIP_vector_typeIjLj3EEjjjS8_jjjS8_jjjj.uses_flat_scratch, 0
	.set _ZL13mul_mat_vec_qIL9ggml_type41ELi7ELb0ELb0EEvPKvS2_PKi31ggml_cuda_mm_fusion_args_devicePfj15HIP_vector_typeIjLj3EEjjjS8_jjjS8_jjjj.has_dyn_sized_stack, 0
	.set _ZL13mul_mat_vec_qIL9ggml_type41ELi7ELb0ELb0EEvPKvS2_PKi31ggml_cuda_mm_fusion_args_devicePfj15HIP_vector_typeIjLj3EEjjjS8_jjjS8_jjjj.has_recursion, 0
	.set _ZL13mul_mat_vec_qIL9ggml_type41ELi7ELb0ELb0EEvPKvS2_PKi31ggml_cuda_mm_fusion_args_devicePfj15HIP_vector_typeIjLj3EEjjjS8_jjjS8_jjjj.has_indirect_call, 0
	.section	.AMDGPU.csdata,"",@progbits
; Kernel info:
; codeLenInByte = 5740
; TotalNumSgprs: 32
; NumVgprs: 60
; ScratchSize: 0
; MemoryBound: 0
; FloatMode: 240
; IeeeMode: 1
; LDSByteSize: 0 bytes/workgroup (compile time only)
; SGPRBlocks: 3
; VGPRBlocks: 14
; NumSGPRsForWavesPerEU: 32
; NumVGPRsForWavesPerEU: 60
; Occupancy: 4
; WaveLimiterHint : 0
; COMPUTE_PGM_RSRC2:SCRATCH_EN: 0
; COMPUTE_PGM_RSRC2:USER_SGPR: 6
; COMPUTE_PGM_RSRC2:TRAP_HANDLER: 0
; COMPUTE_PGM_RSRC2:TGID_X_EN: 1
; COMPUTE_PGM_RSRC2:TGID_Y_EN: 1
; COMPUTE_PGM_RSRC2:TGID_Z_EN: 1
; COMPUTE_PGM_RSRC2:TIDIG_COMP_CNT: 1
	.section	.text._ZL13mul_mat_vec_qIL9ggml_type41ELi8ELb0ELb0EEvPKvS2_PKi31ggml_cuda_mm_fusion_args_devicePfj15HIP_vector_typeIjLj3EEjjjS8_jjjS8_jjjj,"axG",@progbits,_ZL13mul_mat_vec_qIL9ggml_type41ELi8ELb0ELb0EEvPKvS2_PKi31ggml_cuda_mm_fusion_args_devicePfj15HIP_vector_typeIjLj3EEjjjS8_jjjS8_jjjj,comdat
	.globl	_ZL13mul_mat_vec_qIL9ggml_type41ELi8ELb0ELb0EEvPKvS2_PKi31ggml_cuda_mm_fusion_args_devicePfj15HIP_vector_typeIjLj3EEjjjS8_jjjS8_jjjj ; -- Begin function _ZL13mul_mat_vec_qIL9ggml_type41ELi8ELb0ELb0EEvPKvS2_PKi31ggml_cuda_mm_fusion_args_devicePfj15HIP_vector_typeIjLj3EEjjjS8_jjjS8_jjjj
	.p2align	8
	.type	_ZL13mul_mat_vec_qIL9ggml_type41ELi8ELb0ELb0EEvPKvS2_PKi31ggml_cuda_mm_fusion_args_devicePfj15HIP_vector_typeIjLj3EEjjjS8_jjjS8_jjjj,@function
_ZL13mul_mat_vec_qIL9ggml_type41ELi8ELb0ELb0EEvPKvS2_PKi31ggml_cuda_mm_fusion_args_devicePfj15HIP_vector_typeIjLj3EEjjjS8_jjjS8_jjjj: ; @_ZL13mul_mat_vec_qIL9ggml_type41ELi8ELb0ELb0EEvPKvS2_PKi31ggml_cuda_mm_fusion_args_devicePfj15HIP_vector_typeIjLj3EEjjjS8_jjjS8_jjjj
; %bb.0:
	s_load_dword s9, s[4:5], 0x40
	s_load_dwordx4 s[0:3], s[4:5], 0x50
	s_load_dword s25, s[4:5], 0x60
	s_load_dwordx4 s[12:15], s[4:5], 0x68
	;; [unrolled: 2-line block ×3, first 2 shown]
	v_lshl_or_b32 v2, v1, 6, v0
	s_waitcnt lgkmcnt(0)
	s_lshr_b32 s9, s9, 7
	v_lshrrev_b32_e32 v29, 2, v2
	v_mov_b32_e32 v14, 0
	s_lshl_b32 s6, s6, 1
	v_cmp_gt_u32_e32 vcc, s9, v29
	v_mov_b32_e32 v15, v14
	v_mov_b32_e32 v16, v14
	;; [unrolled: 1-line block ×15, first 2 shown]
	s_and_saveexec_b64 s[10:11], vcc
	s_cbranch_execz .LBB11_4
; %bb.1:
	s_mul_hi_u32 s3, s3, s7
	s_add_i32 s3, s7, s3
	s_load_dwordx4 s[20:23], s[4:5], 0x0
	s_lshr_b32 s3, s3, s25
	s_mul_i32 s3, s3, s12
	s_mul_hi_u32 s12, s15, s8
	s_add_i32 s12, s8, s12
	s_lshr_b32 s12, s12, s24
	s_mul_i32 s19, s17, s8
	s_mul_i32 s15, s12, s16
	;; [unrolled: 1-line block ×3, first 2 shown]
	s_mul_hi_u32 s12, s19, 36
	s_waitcnt lgkmcnt(0)
	s_add_u32 s16, s22, s16
	s_addc_u32 s17, s23, s12
	s_mul_i32 s12, s13, s7
	s_mul_hi_u32 s13, s12, 36
	s_mul_i32 s12, s12, 36
	s_add_u32 s16, s16, s12
	s_addc_u32 s17, s17, s13
	v_and_b32_e32 v4, 3, v0
	v_mad_u64_u32 v[10:11], s[16:17], v4, 36, s[16:17]
	s_add_i32 s16, s6, 1
	v_mov_b32_e32 v2, s12
	s_add_i32 s24, s15, s3
	s_mul_i32 s15, s6, s0
	s_mul_i32 s0, s0, s16
	s_movk_i32 s16, 0x90
	v_mov_b32_e32 v3, s13
	v_mad_u64_u32 v[2:3], s[12:13], v29, s16, v[2:3]
	v_lshlrev_b32_e32 v31, 2, v4
	v_mov_b32_e32 v14, 0
	v_mad_u64_u32 v[2:3], s[12:13], s19, 36, v[2:3]
	s_mul_i32 s3, s1, 5
	s_add_i32 s15, s24, s15
	v_mad_u64_u32 v[2:3], s[12:13], v4, 36, v[2:3]
	v_mov_b32_e32 v4, s23
	s_add_i32 s0, s24, s0
	v_add_co_u32_e32 v2, vcc, s22, v2
	v_addc_co_u32_e32 v3, vcc, v4, v3, vcc
	v_add_co_u32_e32 v12, vcc, 16, v2
	v_lshlrev_b32_e32 v32, 2, v29
	s_lshl_b32 s16, s1, 2
	s_mul_i32 s17, s1, 3
	s_lshl_b32 s19, s1, 1
	s_mul_i32 s24, s1, 7
	s_mul_i32 s25, s1, 6
	v_addc_co_u32_e32 v13, vcc, 0, v3, vcc
	s_mov_b64 s[12:13], 0
	s_movk_i32 s22, 0x200
	v_mov_b32_e32 v33, 0xff
	v_mov_b32_e32 v34, 0x10000
	;; [unrolled: 1-line block ×20, first 2 shown]
.LBB11_2:                               ; =>This Inner Loop Header: Depth=1
	v_add_u32_e32 v38, s15, v29
	v_mad_i64_i32 v[38:39], s[26:27], v38, 18, s[20:21]
	global_load_dword v54, v[12:13], off offset:16
	global_load_dwordx4 v[2:5], v[12:13], off
	global_load_dwordx4 v[6:9], v[12:13], off offset:-16
	global_load_ushort v45, v[38:39], off
	v_add_co_u32_e32 v38, vcc, v38, v31
	v_addc_co_u32_e32 v39, vcc, 0, v39, vcc
	global_load_dword v44, v[38:39], off offset:2
	s_waitcnt vmcnt(2)
	v_cvt_f32_f16_e32 v55, v6
	s_waitcnt vmcnt(1)
	v_cvt_f32_f16_e32 v45, v45
	s_waitcnt vmcnt(0)
	v_and_b32_e32 v6, 1, v44
	v_cmp_eq_u32_e32 vcc, 0, v6
	v_and_b32_e32 v38, 4, v44
	v_cndmask_b32_e32 v6, 1, v33, vcc
	v_cmp_eq_u32_e32 vcc, 0, v38
	v_and_b32_e32 v39, 8, v44
	v_lshlrev_b32_e32 v40, 8, v44
	v_cndmask_b32_e32 v38, v34, v35, vcc
	v_cmp_eq_u32_e32 vcc, 0, v39
	v_and_or_b32 v6, v40, s22, v6
	v_cndmask_b32_e32 v39, v36, v37, vcc
	v_add_u32_e32 v6, 0xff00, v6
	v_or3_b32 v6, v39, v38, v6
	v_and_b32_e32 v38, 16, v44
	v_cmp_eq_u32_e32 vcc, 0, v38
	v_and_b32_e32 v39, 64, v44
	v_cndmask_b32_e32 v38, 1, v33, vcc
	v_cmp_eq_u32_e32 vcc, 0, v39
	v_and_b32_e32 v40, 0x80, v44
	v_lshlrev_b32_e32 v41, 4, v44
	v_cndmask_b32_e32 v39, v34, v35, vcc
	v_cmp_eq_u32_e32 vcc, 0, v40
	v_and_or_b32 v38, v41, s22, v38
	v_cndmask_b32_e32 v40, v36, v37, vcc
	v_add_u32_e32 v38, 0xff00, v38
	v_or3_b32 v38, v40, v39, v38
	v_and_b32_e32 v39, 0x100, v44
	v_cmp_eq_u32_e32 vcc, 0, v39
	v_and_b32_e32 v40, 0x400, v44
	v_cndmask_b32_e32 v39, 1, v33, vcc
	v_cmp_eq_u32_e32 vcc, 0, v40
	v_and_b32_e32 v41, 0x800, v44
	v_cndmask_b32_e32 v40, v34, v35, vcc
	v_cmp_eq_u32_e32 vcc, 0, v41
	v_and_or_b32 v39, v44, s22, v39
	v_cndmask_b32_e32 v41, v36, v37, vcc
	v_add_u32_e32 v39, 0xff00, v39
	v_or3_b32 v39, v41, v40, v39
	v_and_b32_e32 v40, 0x1000, v44
	v_cmp_eq_u32_e32 vcc, 0, v40
	v_and_b32_e32 v41, 0x4000, v44
	v_cndmask_b32_e32 v40, 1, v33, vcc
	v_cmp_eq_u32_e32 vcc, 0, v41
	v_and_b32_e32 v42, 0x8000, v44
	v_lshrrev_b32_e32 v43, 4, v44
	v_cndmask_b32_e32 v41, v34, v35, vcc
	v_cmp_eq_u32_e32 vcc, 0, v42
	v_and_or_b32 v40, v43, s22, v40
	v_cndmask_b32_e32 v42, v36, v37, vcc
	v_add_u32_e32 v40, 0xff00, v40
	v_or3_b32 v40, v42, v41, v40
	v_and_b32_e32 v41, 0x10000, v44
	v_cmp_eq_u32_e32 vcc, 0, v41
	v_and_b32_e32 v42, 0x40000, v44
	v_cndmask_b32_e32 v41, 1, v33, vcc
	v_cmp_eq_u32_e32 vcc, 0, v42
	v_and_b32_e32 v43, 0x80000, v44
	v_lshrrev_b32_e32 v46, 8, v44
	;; [unrolled: 13-line block ×4, first 2 shown]
	v_cndmask_b32_e32 v46, v34, v35, vcc
	v_cmp_eq_u32_e32 vcc, 0, v47
	v_and_or_b32 v43, v48, s22, v43
	v_cndmask_b32_e32 v47, v36, v37, vcc
	v_add_u32_e32 v43, 0xff00, v43
	v_or3_b32 v43, v47, v46, v43
	v_and_b32_e32 v47, 0x10000000, v44
	v_ashrrev_i32_e32 v46, 28, v44
	v_cmp_eq_u32_e32 vcc, 0, v47
	v_and_b32_e32 v44, 2.0, v44
	v_cndmask_b32_e32 v47, 1, v33, vcc
	v_cmp_eq_u32_e32 vcc, 0, v44
	v_and_b32_e32 v48, 8, v46
	v_lshlrev_b32_e32 v46, 8, v46
	v_cndmask_b32_e32 v44, v34, v35, vcc
	v_cmp_eq_u32_e32 vcc, 0, v48
	v_and_or_b32 v46, v46, s22, v47
	v_cndmask_b32_e32 v48, v36, v37, vcc
	v_add_u32_e32 v46, 0xff00, v46
	v_or3_b32 v44, v48, v44, v46
	v_dot4_i32_i8 v46, v6, v7, 0
	v_dot4_i32_i8 v46, v38, v8, v46
	;; [unrolled: 1-line block ×8, first 2 shown]
	v_cvt_f32_i32_e32 v46, v46
	v_mul_f32_e32 v47, v45, v55
	v_fmac_f32_e32 v30, v47, v46
	v_add_u32_e32 v46, s0, v29
	v_mad_i64_i32 v[46:47], s[26:27], v46, 18, s[20:21]
	v_add_u32_e32 v29, 16, v29
	global_load_ushort v56, v[46:47], off
	v_add_co_u32_e32 v46, vcc, v46, v31
	v_addc_co_u32_e32 v47, vcc, 0, v47, vcc
	global_load_dword v46, v[46:47], off offset:2
	s_waitcnt vmcnt(0)
	v_and_b32_e32 v47, 1, v46
	v_cmp_eq_u32_e32 vcc, 0, v47
	v_and_b32_e32 v48, 4, v46
	v_cndmask_b32_e32 v47, 1, v33, vcc
	v_cmp_eq_u32_e32 vcc, 0, v48
	v_and_b32_e32 v49, 8, v46
	v_lshlrev_b32_e32 v50, 8, v46
	v_cndmask_b32_e32 v48, v34, v35, vcc
	v_cmp_eq_u32_e32 vcc, 0, v49
	v_and_or_b32 v47, v50, s22, v47
	v_cndmask_b32_e32 v49, v36, v37, vcc
	v_add_u32_e32 v47, 0xff00, v47
	v_or3_b32 v47, v49, v48, v47
	v_and_b32_e32 v48, 16, v46
	v_cmp_eq_u32_e32 vcc, 0, v48
	v_and_b32_e32 v49, 64, v46
	v_cndmask_b32_e32 v48, 1, v33, vcc
	v_cmp_eq_u32_e32 vcc, 0, v49
	v_and_b32_e32 v50, 0x80, v46
	v_lshlrev_b32_e32 v51, 4, v46
	v_cndmask_b32_e32 v49, v34, v35, vcc
	v_cmp_eq_u32_e32 vcc, 0, v50
	v_and_or_b32 v48, v51, s22, v48
	v_cndmask_b32_e32 v50, v36, v37, vcc
	v_add_u32_e32 v48, 0xff00, v48
	v_or3_b32 v48, v50, v49, v48
	v_and_b32_e32 v49, 0x100, v46
	v_cmp_eq_u32_e32 vcc, 0, v49
	v_and_b32_e32 v50, 0x400, v46
	v_cndmask_b32_e32 v49, 1, v33, vcc
	v_cmp_eq_u32_e32 vcc, 0, v50
	v_and_b32_e32 v51, 0x800, v46
	v_cndmask_b32_e32 v50, v34, v35, vcc
	v_cmp_eq_u32_e32 vcc, 0, v51
	v_and_or_b32 v49, v46, s22, v49
	v_cndmask_b32_e32 v51, v36, v37, vcc
	v_add_u32_e32 v49, 0xff00, v49
	v_or3_b32 v49, v51, v50, v49
	v_and_b32_e32 v50, 0x1000, v46
	v_cmp_eq_u32_e32 vcc, 0, v50
	v_and_b32_e32 v51, 0x4000, v46
	v_cndmask_b32_e32 v50, 1, v33, vcc
	v_cmp_eq_u32_e32 vcc, 0, v51
	v_and_b32_e32 v52, 0x8000, v46
	v_lshrrev_b32_e32 v53, 4, v46
	v_cndmask_b32_e32 v51, v34, v35, vcc
	v_cmp_eq_u32_e32 vcc, 0, v52
	v_and_or_b32 v50, v53, s22, v50
	v_cndmask_b32_e32 v52, v36, v37, vcc
	v_add_u32_e32 v50, 0xff00, v50
	v_or3_b32 v50, v52, v51, v50
	v_and_b32_e32 v51, 0x10000, v46
	v_cmp_eq_u32_e32 vcc, 0, v51
	v_and_b32_e32 v52, 0x40000, v46
	v_cndmask_b32_e32 v51, 1, v33, vcc
	v_cmp_eq_u32_e32 vcc, 0, v52
	v_and_b32_e32 v53, 0x80000, v46
	v_lshrrev_b32_e32 v57, 8, v46
	;; [unrolled: 13-line block ×4, first 2 shown]
	v_cndmask_b32_e32 v57, v34, v35, vcc
	v_cmp_eq_u32_e32 vcc, 0, v58
	v_and_or_b32 v53, v59, s22, v53
	v_cndmask_b32_e32 v58, v36, v37, vcc
	v_add_u32_e32 v53, 0xff00, v53
	v_dot4_i32_i8 v7, v47, v7, 0
	v_or3_b32 v53, v58, v57, v53
	v_and_b32_e32 v58, 0x10000000, v46
	v_dot4_i32_i8 v7, v48, v8, v7
	v_ashrrev_i32_e32 v57, 28, v46
	v_cmp_eq_u32_e32 vcc, 0, v58
	v_and_b32_e32 v46, 2.0, v46
	v_dot4_i32_i8 v7, v49, v9, v7
	v_cndmask_b32_e32 v58, 1, v33, vcc
	v_cmp_eq_u32_e32 vcc, 0, v46
	v_and_b32_e32 v59, 8, v57
	v_lshlrev_b32_e32 v57, 8, v57
	v_dot4_i32_i8 v2, v50, v2, v7
	v_cndmask_b32_e32 v46, v34, v35, vcc
	v_cmp_eq_u32_e32 vcc, 0, v59
	v_and_or_b32 v57, v57, s22, v58
	v_dot4_i32_i8 v2, v51, v3, v2
	v_cndmask_b32_e32 v59, v36, v37, vcc
	v_add_u32_e32 v57, 0xff00, v57
	v_dot4_i32_i8 v2, v52, v4, v2
	v_or3_b32 v46, v59, v46, v57
	v_dot4_i32_i8 v2, v53, v5, v2
	v_dot4_i32_i8 v3, v46, v54, v2
	v_cvt_f32_f16_e32 v2, v56
	v_cvt_f32_i32_e32 v3, v3
	v_add_co_u32_e32 v12, vcc, 0x900, v12
	v_mul_f32_e32 v4, v2, v55
	v_fmac_f32_e32 v28, v4, v3
	v_add_u32_e32 v3, s1, v32
	v_mad_u64_u32 v[3:4], s[26:27], v3, 36, v[10:11]
	global_load_dword v5, v[3:4], off offset:32
	global_load_dwordx4 v[54:57], v[3:4], off offset:16
	global_load_dwordx4 v[58:61], v[3:4], off
	v_addc_co_u32_e32 v13, vcc, 0, v13, vcc
	s_add_i32 s1, s1, 64
	v_cmp_le_u32_e32 vcc, s9, v29
	s_waitcnt vmcnt(0)
	v_dot4_i32_i8 v4, v6, v59, 0
	v_dot4_i32_i8 v4, v38, v60, v4
	v_dot4_i32_i8 v4, v39, v61, v4
	v_dot4_i32_i8 v4, v40, v54, v4
	v_dot4_i32_i8 v4, v41, v55, v4
	v_dot4_i32_i8 v4, v42, v56, v4
	v_dot4_i32_i8 v4, v43, v57, v4
	v_cvt_f32_f16_e32 v3, v58
	v_dot4_i32_i8 v4, v44, v5, v4
	v_cvt_f32_i32_e32 v4, v4
	v_mul_f32_e32 v7, v45, v3
	v_mul_f32_e32 v3, v2, v3
	v_fmac_f32_e32 v27, v7, v4
	v_dot4_i32_i8 v4, v47, v59, 0
	v_dot4_i32_i8 v4, v48, v60, v4
	v_dot4_i32_i8 v4, v49, v61, v4
	v_dot4_i32_i8 v4, v50, v54, v4
	v_dot4_i32_i8 v4, v51, v55, v4
	v_dot4_i32_i8 v4, v52, v56, v4
	v_dot4_i32_i8 v4, v53, v57, v4
	v_dot4_i32_i8 v4, v46, v5, v4
	v_cvt_f32_i32_e32 v4, v4
	v_fmac_f32_e32 v26, v3, v4
	v_add_u32_e32 v3, s19, v32
	v_mad_u64_u32 v[3:4], s[26:27], v3, 36, v[10:11]
	global_load_dword v5, v[3:4], off offset:32
	global_load_dwordx4 v[54:57], v[3:4], off offset:16
	global_load_dwordx4 v[58:61], v[3:4], off
	s_add_i32 s19, s19, 64
	s_waitcnt vmcnt(0)
	v_dot4_i32_i8 v4, v6, v59, 0
	v_dot4_i32_i8 v4, v38, v60, v4
	v_dot4_i32_i8 v4, v39, v61, v4
	v_dot4_i32_i8 v4, v40, v54, v4
	v_dot4_i32_i8 v4, v41, v55, v4
	v_dot4_i32_i8 v4, v42, v56, v4
	v_dot4_i32_i8 v4, v43, v57, v4
	v_cvt_f32_f16_e32 v3, v58
	v_dot4_i32_i8 v4, v44, v5, v4
	v_cvt_f32_i32_e32 v4, v4
	v_mul_f32_e32 v7, v45, v3
	v_mul_f32_e32 v3, v2, v3
	v_fmac_f32_e32 v25, v7, v4
	v_dot4_i32_i8 v4, v47, v59, 0
	v_dot4_i32_i8 v4, v48, v60, v4
	v_dot4_i32_i8 v4, v49, v61, v4
	v_dot4_i32_i8 v4, v50, v54, v4
	v_dot4_i32_i8 v4, v51, v55, v4
	v_dot4_i32_i8 v4, v52, v56, v4
	v_dot4_i32_i8 v4, v53, v57, v4
	v_dot4_i32_i8 v4, v46, v5, v4
	v_cvt_f32_i32_e32 v4, v4
	v_fmac_f32_e32 v24, v3, v4
	v_add_u32_e32 v3, s17, v32
	v_mad_u64_u32 v[3:4], s[26:27], v3, 36, v[10:11]
	global_load_dword v5, v[3:4], off offset:32
	global_load_dwordx4 v[54:57], v[3:4], off offset:16
	global_load_dwordx4 v[58:61], v[3:4], off
	s_add_i32 s17, s17, 64
	;; [unrolled: 30-line block ×6, first 2 shown]
	s_or_b64 s[12:13], vcc, s[12:13]
	s_waitcnt vmcnt(0)
	v_dot4_i32_i8 v4, v6, v59, 0
	v_dot4_i32_i8 v4, v38, v60, v4
	;; [unrolled: 1-line block ×7, first 2 shown]
	v_cvt_f32_f16_e32 v3, v58
	v_dot4_i32_i8 v4, v44, v5, v4
	v_cvt_f32_i32_e32 v4, v4
	v_mul_f32_e32 v6, v45, v3
	v_mul_f32_e32 v2, v2, v3
	v_fmac_f32_e32 v15, v6, v4
	v_dot4_i32_i8 v4, v47, v59, 0
	v_dot4_i32_i8 v4, v48, v60, v4
	;; [unrolled: 1-line block ×8, first 2 shown]
	v_cvt_f32_i32_e32 v3, v4
	v_fmac_f32_e32 v14, v2, v3
	s_andn2_b64 exec, exec, s[12:13]
	s_cbranch_execnz .LBB11_2
; %bb.3:
	s_or_b64 exec, exec, s[12:13]
.LBB11_4:
	s_or_b64 exec, exec, s[10:11]
	s_mov_b32 s1, 0
	v_cmp_eq_u32_e32 vcc, 0, v1
	; wave barrier
	s_and_saveexec_b64 s[10:11], vcc
	s_cbranch_execz .LBB11_21
; %bb.5:
	v_mbcnt_lo_u32_b32 v1, -1, 0
	v_mbcnt_hi_u32_b32 v6, -1, v1
	v_and_b32_e32 v1, 64, v6
	v_add_u32_e32 v7, 64, v1
	v_xor_b32_e32 v1, 32, v6
	v_cmp_lt_i32_e32 vcc, v1, v7
	v_cndmask_b32_e32 v1, v6, v1, vcc
	v_lshlrev_b32_e32 v1, 2, v1
	ds_bpermute_b32 v5, v1, v30
	ds_bpermute_b32 v8, v1, v28
	v_xor_b32_e32 v2, 16, v6
	v_cmp_lt_i32_e32 vcc, v2, v7
	v_cndmask_b32_e32 v2, v6, v2, vcc
	v_lshlrev_b32_e32 v2, 2, v2
	s_waitcnt lgkmcnt(1)
	v_add_f32_e32 v5, v30, v5
	s_waitcnt lgkmcnt(0)
	v_add_f32_e32 v8, v28, v8
	ds_bpermute_b32 v10, v2, v5
	ds_bpermute_b32 v11, v2, v8
	v_xor_b32_e32 v3, 8, v6
	v_cmp_lt_i32_e32 vcc, v3, v7
	v_cndmask_b32_e32 v3, v6, v3, vcc
	v_lshlrev_b32_e32 v3, 2, v3
	s_waitcnt lgkmcnt(1)
	v_add_f32_e32 v10, v5, v10
	s_waitcnt lgkmcnt(0)
	v_add_f32_e32 v8, v8, v11
	ds_bpermute_b32 v12, v3, v10
	ds_bpermute_b32 v11, v3, v8
	v_xor_b32_e32 v4, 4, v6
	v_cmp_lt_i32_e32 vcc, v4, v7
	v_cndmask_b32_e32 v4, v6, v4, vcc
	v_lshlrev_b32_e32 v4, 2, v4
	s_waitcnt lgkmcnt(1)
	v_add_f32_e32 v10, v10, v12
	s_waitcnt lgkmcnt(0)
	v_add_f32_e32 v8, v8, v11
	ds_bpermute_b32 v12, v4, v10
	ds_bpermute_b32 v11, v4, v8
	v_xor_b32_e32 v9, 2, v6
	v_cmp_lt_i32_e32 vcc, v9, v7
	v_cndmask_b32_e32 v9, v6, v9, vcc
	v_lshlrev_b32_e32 v5, 2, v9
	v_xor_b32_e32 v9, 1, v6
	v_cmp_lt_i32_e32 vcc, v9, v7
	s_waitcnt lgkmcnt(1)
	v_add_f32_e32 v7, v10, v12
	s_waitcnt lgkmcnt(0)
	v_add_f32_e32 v10, v8, v11
	v_cndmask_b32_e32 v6, v6, v9, vcc
	ds_bpermute_b32 v9, v5, v7
	ds_bpermute_b32 v11, v5, v10
	s_load_dwordx2 s[4:5], s[4:5], 0x38
	s_mul_i32 s3, s14, s7
	v_lshlrev_b32_e32 v8, 2, v6
	s_waitcnt lgkmcnt(0)
	v_add_f32_e32 v6, v7, v9
	v_add_f32_e32 v9, v10, v11
	s_mul_i32 s0, s18, s8
	s_add_i32 s3, s3, s6
	ds_bpermute_b32 v7, v8, v6
	ds_bpermute_b32 v10, v8, v9
	s_add_i32 s0, s3, s0
	s_lshl_b64 s[0:1], s[0:1], 2
	s_add_u32 s4, s4, s0
	v_add_u32_e32 v11, s6, v0
	s_addc_u32 s5, s5, s1
	v_cmp_gt_u32_e32 vcc, 2, v0
	v_cmp_gt_u32_e64 s[0:1], s2, v11
	s_and_b64 s[0:1], vcc, s[0:1]
	s_waitcnt lgkmcnt(1)
	v_add_f32_e32 v6, v6, v7
	s_waitcnt lgkmcnt(0)
	v_add_f32_e32 v7, v9, v10
	s_and_saveexec_b64 s[6:7], s[0:1]
	s_cbranch_execz .LBB11_7
; %bb.6:
	v_cmp_eq_u32_e32 vcc, 1, v0
	v_cndmask_b32_e32 v9, v6, v7, vcc
	v_cmp_eq_u32_e32 vcc, 2, v0
	v_cndmask_b32_e32 v9, v9, v27, vcc
	;; [unrolled: 2-line block ×15, first 2 shown]
	v_lshlrev_b32_e32 v10, 2, v0
	global_store_dword v10, v9, s[4:5]
.LBB11_7:
	s_or_b64 exec, exec, s[6:7]
	ds_bpermute_b32 v9, v1, v27
	ds_bpermute_b32 v10, v1, v26
	s_waitcnt lgkmcnt(1)
	v_add_f32_e32 v9, v27, v9
	s_waitcnt lgkmcnt(0)
	v_add_f32_e32 v10, v26, v10
	ds_bpermute_b32 v11, v2, v9
	ds_bpermute_b32 v12, v2, v10
	s_waitcnt lgkmcnt(1)
	v_add_f32_e32 v9, v9, v11
	s_waitcnt lgkmcnt(0)
	v_add_f32_e32 v10, v10, v12
	;; [unrolled: 6-line block ×6, first 2 shown]
	s_and_saveexec_b64 s[6:7], s[0:1]
	s_cbranch_execz .LBB11_9
; %bb.8:
	v_add_u32_e32 v11, 2, v0
	v_cmp_eq_u32_e32 vcc, 1, v11
	v_cndmask_b32_e32 v12, v6, v7, vcc
	v_cmp_eq_u32_e32 vcc, 2, v11
	v_cndmask_b32_e32 v12, v12, v10, vcc
	;; [unrolled: 2-line block ×15, first 2 shown]
	v_add_u32_e32 v11, s2, v0
	v_mov_b32_e32 v12, 0
	v_lshlrev_b64 v[11:12], 2, v[11:12]
	v_mov_b32_e32 v26, s5
	v_add_co_u32_e32 v11, vcc, s4, v11
	v_addc_co_u32_e32 v12, vcc, v26, v12, vcc
	global_store_dword v[11:12], v13, off
.LBB11_9:
	s_or_b64 exec, exec, s[6:7]
	ds_bpermute_b32 v11, v1, v25
	ds_bpermute_b32 v12, v1, v24
	s_waitcnt lgkmcnt(1)
	v_add_f32_e32 v11, v25, v11
	s_waitcnt lgkmcnt(0)
	v_add_f32_e32 v12, v24, v12
	ds_bpermute_b32 v13, v2, v11
	ds_bpermute_b32 v24, v2, v12
	s_waitcnt lgkmcnt(1)
	v_add_f32_e32 v11, v11, v13
	s_waitcnt lgkmcnt(0)
	v_add_f32_e32 v12, v12, v24
	;; [unrolled: 6-line block ×6, first 2 shown]
	s_and_saveexec_b64 s[6:7], s[0:1]
	s_cbranch_execz .LBB11_11
; %bb.10:
	v_add_u32_e32 v13, 4, v0
	v_cmp_eq_u32_e32 vcc, 1, v13
	v_cndmask_b32_e32 v24, v6, v7, vcc
	v_cmp_eq_u32_e32 vcc, 2, v13
	v_cndmask_b32_e32 v24, v24, v10, vcc
	;; [unrolled: 2-line block ×15, first 2 shown]
	v_lshl_or_b32 v24, s2, 1, v0
	v_mov_b32_e32 v25, 0
	v_lshlrev_b64 v[24:25], 2, v[24:25]
	v_mov_b32_e32 v26, s5
	v_add_co_u32_e32 v24, vcc, s4, v24
	v_addc_co_u32_e32 v25, vcc, v26, v25, vcc
	global_store_dword v[24:25], v13, off
.LBB11_11:
	s_or_b64 exec, exec, s[6:7]
	ds_bpermute_b32 v13, v1, v23
	ds_bpermute_b32 v24, v1, v22
	s_waitcnt lgkmcnt(1)
	v_add_f32_e32 v13, v23, v13
	s_waitcnt lgkmcnt(0)
	v_add_f32_e32 v22, v22, v24
	ds_bpermute_b32 v23, v2, v13
	ds_bpermute_b32 v24, v2, v22
	s_waitcnt lgkmcnt(1)
	v_add_f32_e32 v13, v13, v23
	s_waitcnt lgkmcnt(0)
	v_add_f32_e32 v22, v22, v24
	;; [unrolled: 6-line block ×6, first 2 shown]
	s_and_saveexec_b64 s[6:7], s[0:1]
	s_cbranch_execz .LBB11_13
; %bb.12:
	v_add_u32_e32 v25, 6, v0
	v_cmp_eq_u32_e32 vcc, 1, v25
	v_cndmask_b32_e32 v23, v6, v7, vcc
	v_cmp_eq_u32_e32 vcc, 2, v25
	v_cndmask_b32_e32 v23, v23, v10, vcc
	;; [unrolled: 2-line block ×14, first 2 shown]
	v_mad_u64_u32 v[23:24], s[8:9], s2, 3, v[0:1]
	v_mov_b32_e32 v24, 0
	v_cmp_eq_u32_e32 vcc, 15, v25
	v_lshlrev_b64 v[23:24], 2, v[23:24]
	v_cndmask_b32_e32 v25, v26, v14, vcc
	v_mov_b32_e32 v26, s5
	v_add_co_u32_e32 v23, vcc, s4, v23
	v_addc_co_u32_e32 v24, vcc, v26, v24, vcc
	global_store_dword v[23:24], v25, off
.LBB11_13:
	s_or_b64 exec, exec, s[6:7]
	ds_bpermute_b32 v23, v1, v21
	ds_bpermute_b32 v24, v1, v20
	s_waitcnt lgkmcnt(1)
	v_add_f32_e32 v21, v21, v23
	s_waitcnt lgkmcnt(0)
	v_add_f32_e32 v20, v20, v24
	ds_bpermute_b32 v23, v2, v21
	ds_bpermute_b32 v24, v2, v20
	s_waitcnt lgkmcnt(1)
	v_add_f32_e32 v21, v21, v23
	s_waitcnt lgkmcnt(0)
	v_add_f32_e32 v20, v20, v24
	;; [unrolled: 6-line block ×6, first 2 shown]
	s_and_saveexec_b64 s[6:7], s[0:1]
	s_cbranch_execz .LBB11_15
; %bb.14:
	v_add_u32_e32 v23, 8, v0
	v_cmp_eq_u32_e32 vcc, 1, v23
	v_cndmask_b32_e32 v24, v6, v7, vcc
	v_cmp_eq_u32_e32 vcc, 2, v23
	v_cndmask_b32_e32 v24, v24, v10, vcc
	;; [unrolled: 2-line block ×15, first 2 shown]
	v_lshl_or_b32 v23, s2, 2, v0
	v_mov_b32_e32 v24, 0
	v_lshlrev_b64 v[23:24], 2, v[23:24]
	v_mov_b32_e32 v26, s5
	v_add_co_u32_e32 v23, vcc, s4, v23
	v_addc_co_u32_e32 v24, vcc, v26, v24, vcc
	global_store_dword v[23:24], v25, off
.LBB11_15:
	s_or_b64 exec, exec, s[6:7]
	ds_bpermute_b32 v23, v1, v19
	ds_bpermute_b32 v24, v1, v18
	s_waitcnt lgkmcnt(1)
	v_add_f32_e32 v19, v19, v23
	s_waitcnt lgkmcnt(0)
	v_add_f32_e32 v18, v18, v24
	ds_bpermute_b32 v23, v2, v19
	ds_bpermute_b32 v24, v2, v18
	s_waitcnt lgkmcnt(1)
	v_add_f32_e32 v19, v19, v23
	s_waitcnt lgkmcnt(0)
	v_add_f32_e32 v18, v18, v24
	;; [unrolled: 6-line block ×6, first 2 shown]
	s_and_saveexec_b64 s[6:7], s[0:1]
	s_cbranch_execz .LBB11_17
; %bb.16:
	v_add_u32_e32 v25, 10, v0
	v_cmp_eq_u32_e32 vcc, 1, v25
	v_cndmask_b32_e32 v23, v6, v7, vcc
	v_cmp_eq_u32_e32 vcc, 2, v25
	v_cndmask_b32_e32 v23, v23, v10, vcc
	;; [unrolled: 2-line block ×14, first 2 shown]
	v_mad_u64_u32 v[23:24], s[8:9], s2, 5, v[0:1]
	v_mov_b32_e32 v24, 0
	v_cmp_eq_u32_e32 vcc, 15, v25
	v_lshlrev_b64 v[23:24], 2, v[23:24]
	v_cndmask_b32_e32 v25, v26, v14, vcc
	v_mov_b32_e32 v26, s5
	v_add_co_u32_e32 v23, vcc, s4, v23
	v_addc_co_u32_e32 v24, vcc, v26, v24, vcc
	global_store_dword v[23:24], v25, off
.LBB11_17:
	s_or_b64 exec, exec, s[6:7]
	ds_bpermute_b32 v23, v1, v17
	ds_bpermute_b32 v24, v1, v16
	s_waitcnt lgkmcnt(1)
	v_add_f32_e32 v17, v17, v23
	s_waitcnt lgkmcnt(0)
	v_add_f32_e32 v16, v16, v24
	ds_bpermute_b32 v23, v2, v17
	ds_bpermute_b32 v24, v2, v16
	s_waitcnt lgkmcnt(1)
	v_add_f32_e32 v17, v17, v23
	s_waitcnt lgkmcnt(0)
	v_add_f32_e32 v16, v16, v24
	;; [unrolled: 6-line block ×6, first 2 shown]
	s_and_saveexec_b64 s[6:7], s[0:1]
	s_cbranch_execz .LBB11_19
; %bb.18:
	v_add_u32_e32 v23, 12, v0
	v_cmp_eq_u32_e32 vcc, 1, v23
	v_cndmask_b32_e32 v24, v6, v7, vcc
	v_cmp_eq_u32_e32 vcc, 2, v23
	v_cndmask_b32_e32 v24, v24, v10, vcc
	;; [unrolled: 2-line block ×14, first 2 shown]
	v_cmp_eq_u32_e32 vcc, 15, v23
	s_mul_i32 s3, s2, 6
	v_cndmask_b32_e32 v25, v24, v14, vcc
	v_or_b32_e32 v23, s3, v0
	v_mov_b32_e32 v24, 0
	v_lshlrev_b64 v[23:24], 2, v[23:24]
	v_mov_b32_e32 v26, s5
	v_add_co_u32_e32 v23, vcc, s4, v23
	v_addc_co_u32_e32 v24, vcc, v26, v24, vcc
	global_store_dword v[23:24], v25, off
.LBB11_19:
	s_or_b64 exec, exec, s[6:7]
	ds_bpermute_b32 v23, v1, v15
	ds_bpermute_b32 v1, v1, v14
	s_waitcnt lgkmcnt(1)
	v_add_f32_e32 v15, v15, v23
	s_waitcnt lgkmcnt(0)
	v_add_f32_e32 v1, v14, v1
	ds_bpermute_b32 v14, v2, v15
	ds_bpermute_b32 v2, v2, v1
	s_waitcnt lgkmcnt(1)
	v_add_f32_e32 v14, v15, v14
	s_waitcnt lgkmcnt(0)
	v_add_f32_e32 v1, v1, v2
	;; [unrolled: 6-line block ×5, first 2 shown]
	ds_bpermute_b32 v3, v8, v1
	ds_bpermute_b32 v4, v8, v2
	s_and_b64 exec, exec, s[0:1]
	s_cbranch_execz .LBB11_21
; %bb.20:
	s_waitcnt lgkmcnt(1)
	v_add_f32_e32 v1, v1, v3
	v_add_u32_e32 v3, 14, v0
	v_cmp_eq_u32_e32 vcc, 1, v3
	s_waitcnt lgkmcnt(0)
	v_add_f32_e32 v2, v2, v4
	v_cndmask_b32_e32 v4, v6, v7, vcc
	v_cmp_eq_u32_e32 vcc, 2, v3
	v_cndmask_b32_e32 v4, v4, v10, vcc
	v_cmp_eq_u32_e32 vcc, 3, v3
	;; [unrolled: 2-line block ×13, first 2 shown]
	v_cndmask_b32_e32 v4, v4, v1, vcc
	v_mad_u64_u32 v[0:1], s[0:1], s2, 7, v[0:1]
	v_mov_b32_e32 v1, 0
	v_cmp_eq_u32_e32 vcc, 15, v3
	v_lshlrev_b64 v[0:1], 2, v[0:1]
	v_cndmask_b32_e32 v2, v4, v2, vcc
	v_mov_b32_e32 v3, s5
	v_add_co_u32_e32 v0, vcc, s4, v0
	v_addc_co_u32_e32 v1, vcc, v3, v1, vcc
	global_store_dword v[0:1], v2, off
.LBB11_21:
	s_endpgm
	.section	.rodata,"a",@progbits
	.p2align	6, 0x0
	.amdhsa_kernel _ZL13mul_mat_vec_qIL9ggml_type41ELi8ELb0ELb0EEvPKvS2_PKi31ggml_cuda_mm_fusion_args_devicePfj15HIP_vector_typeIjLj3EEjjjS8_jjjS8_jjjj
		.amdhsa_group_segment_fixed_size 0
		.amdhsa_private_segment_fixed_size 0
		.amdhsa_kernarg_size 144
		.amdhsa_user_sgpr_count 6
		.amdhsa_user_sgpr_private_segment_buffer 1
		.amdhsa_user_sgpr_dispatch_ptr 0
		.amdhsa_user_sgpr_queue_ptr 0
		.amdhsa_user_sgpr_kernarg_segment_ptr 1
		.amdhsa_user_sgpr_dispatch_id 0
		.amdhsa_user_sgpr_flat_scratch_init 0
		.amdhsa_user_sgpr_private_segment_size 0
		.amdhsa_uses_dynamic_stack 0
		.amdhsa_system_sgpr_private_segment_wavefront_offset 0
		.amdhsa_system_sgpr_workgroup_id_x 1
		.amdhsa_system_sgpr_workgroup_id_y 1
		.amdhsa_system_sgpr_workgroup_id_z 1
		.amdhsa_system_sgpr_workgroup_info 0
		.amdhsa_system_vgpr_workitem_id 1
		.amdhsa_next_free_vgpr 62
		.amdhsa_next_free_sgpr 28
		.amdhsa_reserve_vcc 1
		.amdhsa_reserve_flat_scratch 0
		.amdhsa_float_round_mode_32 0
		.amdhsa_float_round_mode_16_64 0
		.amdhsa_float_denorm_mode_32 3
		.amdhsa_float_denorm_mode_16_64 3
		.amdhsa_dx10_clamp 1
		.amdhsa_ieee_mode 1
		.amdhsa_fp16_overflow 0
		.amdhsa_exception_fp_ieee_invalid_op 0
		.amdhsa_exception_fp_denorm_src 0
		.amdhsa_exception_fp_ieee_div_zero 0
		.amdhsa_exception_fp_ieee_overflow 0
		.amdhsa_exception_fp_ieee_underflow 0
		.amdhsa_exception_fp_ieee_inexact 0
		.amdhsa_exception_int_div_zero 0
	.end_amdhsa_kernel
	.section	.text._ZL13mul_mat_vec_qIL9ggml_type41ELi8ELb0ELb0EEvPKvS2_PKi31ggml_cuda_mm_fusion_args_devicePfj15HIP_vector_typeIjLj3EEjjjS8_jjjS8_jjjj,"axG",@progbits,_ZL13mul_mat_vec_qIL9ggml_type41ELi8ELb0ELb0EEvPKvS2_PKi31ggml_cuda_mm_fusion_args_devicePfj15HIP_vector_typeIjLj3EEjjjS8_jjjS8_jjjj,comdat
.Lfunc_end11:
	.size	_ZL13mul_mat_vec_qIL9ggml_type41ELi8ELb0ELb0EEvPKvS2_PKi31ggml_cuda_mm_fusion_args_devicePfj15HIP_vector_typeIjLj3EEjjjS8_jjjS8_jjjj, .Lfunc_end11-_ZL13mul_mat_vec_qIL9ggml_type41ELi8ELb0ELb0EEvPKvS2_PKi31ggml_cuda_mm_fusion_args_devicePfj15HIP_vector_typeIjLj3EEjjjS8_jjjS8_jjjj
                                        ; -- End function
	.set _ZL13mul_mat_vec_qIL9ggml_type41ELi8ELb0ELb0EEvPKvS2_PKi31ggml_cuda_mm_fusion_args_devicePfj15HIP_vector_typeIjLj3EEjjjS8_jjjS8_jjjj.num_vgpr, 62
	.set _ZL13mul_mat_vec_qIL9ggml_type41ELi8ELb0ELb0EEvPKvS2_PKi31ggml_cuda_mm_fusion_args_devicePfj15HIP_vector_typeIjLj3EEjjjS8_jjjS8_jjjj.num_agpr, 0
	.set _ZL13mul_mat_vec_qIL9ggml_type41ELi8ELb0ELb0EEvPKvS2_PKi31ggml_cuda_mm_fusion_args_devicePfj15HIP_vector_typeIjLj3EEjjjS8_jjjS8_jjjj.numbered_sgpr, 28
	.set _ZL13mul_mat_vec_qIL9ggml_type41ELi8ELb0ELb0EEvPKvS2_PKi31ggml_cuda_mm_fusion_args_devicePfj15HIP_vector_typeIjLj3EEjjjS8_jjjS8_jjjj.num_named_barrier, 0
	.set _ZL13mul_mat_vec_qIL9ggml_type41ELi8ELb0ELb0EEvPKvS2_PKi31ggml_cuda_mm_fusion_args_devicePfj15HIP_vector_typeIjLj3EEjjjS8_jjjS8_jjjj.private_seg_size, 0
	.set _ZL13mul_mat_vec_qIL9ggml_type41ELi8ELb0ELb0EEvPKvS2_PKi31ggml_cuda_mm_fusion_args_devicePfj15HIP_vector_typeIjLj3EEjjjS8_jjjS8_jjjj.uses_vcc, 1
	.set _ZL13mul_mat_vec_qIL9ggml_type41ELi8ELb0ELb0EEvPKvS2_PKi31ggml_cuda_mm_fusion_args_devicePfj15HIP_vector_typeIjLj3EEjjjS8_jjjS8_jjjj.uses_flat_scratch, 0
	.set _ZL13mul_mat_vec_qIL9ggml_type41ELi8ELb0ELb0EEvPKvS2_PKi31ggml_cuda_mm_fusion_args_devicePfj15HIP_vector_typeIjLj3EEjjjS8_jjjS8_jjjj.has_dyn_sized_stack, 0
	.set _ZL13mul_mat_vec_qIL9ggml_type41ELi8ELb0ELb0EEvPKvS2_PKi31ggml_cuda_mm_fusion_args_devicePfj15HIP_vector_typeIjLj3EEjjjS8_jjjS8_jjjj.has_recursion, 0
	.set _ZL13mul_mat_vec_qIL9ggml_type41ELi8ELb0ELb0EEvPKvS2_PKi31ggml_cuda_mm_fusion_args_devicePfj15HIP_vector_typeIjLj3EEjjjS8_jjjS8_jjjj.has_indirect_call, 0
	.section	.AMDGPU.csdata,"",@progbits
; Kernel info:
; codeLenInByte = 6440
; TotalNumSgprs: 32
; NumVgprs: 62
; ScratchSize: 0
; MemoryBound: 0
; FloatMode: 240
; IeeeMode: 1
; LDSByteSize: 0 bytes/workgroup (compile time only)
; SGPRBlocks: 3
; VGPRBlocks: 15
; NumSGPRsForWavesPerEU: 32
; NumVGPRsForWavesPerEU: 62
; Occupancy: 4
; WaveLimiterHint : 0
; COMPUTE_PGM_RSRC2:SCRATCH_EN: 0
; COMPUTE_PGM_RSRC2:USER_SGPR: 6
; COMPUTE_PGM_RSRC2:TRAP_HANDLER: 0
; COMPUTE_PGM_RSRC2:TGID_X_EN: 1
; COMPUTE_PGM_RSRC2:TGID_Y_EN: 1
; COMPUTE_PGM_RSRC2:TGID_Z_EN: 1
; COMPUTE_PGM_RSRC2:TIDIG_COMP_CNT: 1
	.section	.text._ZL17mul_mat_vec_q_moeIL9ggml_type2ELi2EEvPKvS2_PKiPfj15HIP_vector_typeIjLj3EEjjjjjjjjj,"axG",@progbits,_ZL17mul_mat_vec_q_moeIL9ggml_type2ELi2EEvPKvS2_PKiPfj15HIP_vector_typeIjLj3EEjjjjjjjjj,comdat
	.globl	_ZL17mul_mat_vec_q_moeIL9ggml_type2ELi2EEvPKvS2_PKiPfj15HIP_vector_typeIjLj3EEjjjjjjjjj ; -- Begin function _ZL17mul_mat_vec_q_moeIL9ggml_type2ELi2EEvPKvS2_PKiPfj15HIP_vector_typeIjLj3EEjjjjjjjjj
	.p2align	8
	.type	_ZL17mul_mat_vec_q_moeIL9ggml_type2ELi2EEvPKvS2_PKiPfj15HIP_vector_typeIjLj3EEjjjjjjjjj,@function
_ZL17mul_mat_vec_q_moeIL9ggml_type2ELi2EEvPKvS2_PKiPfj15HIP_vector_typeIjLj3EEjjjjjjjjj: ; @_ZL17mul_mat_vec_q_moeIL9ggml_type2ELi2EEvPKvS2_PKiPfj15HIP_vector_typeIjLj3EEjjjjjjjjj
; %bb.0:
	s_load_dwordx8 s[8:15], s[4:5], 0x30
	s_waitcnt lgkmcnt(0)
	v_cmp_gt_u32_e32 vcc, s15, v1
	s_and_saveexec_b64 s[0:1], vcc
	s_cbranch_execz .LBB12_7
; %bb.1:
	s_load_dword s0, s[4:5], 0x20
	s_load_dword s2, s[4:5], 0x50
	s_load_dwordx8 s[16:23], s[4:5], 0x0
	v_lshrrev_b32_e32 v6, 1, v0
	s_lshl_b32 s6, s6, 1
	s_waitcnt lgkmcnt(0)
	s_lshr_b32 s15, s0, 5
	v_cmp_gt_u32_e32 vcc, s15, v6
	v_mov_b32_e32 v2, 0
	v_mov_b32_e32 v3, 0
	s_and_saveexec_b64 s[0:1], vcc
	s_cbranch_execz .LBB12_5
; %bb.2:
	v_mul_lo_u32 v2, s2, v1
	v_mov_b32_e32 v3, 0
	v_mov_b32_e32 v7, s21
	s_load_dwordx4 s[24:27], s[4:5], 0x24
	v_add_u32_e32 v2, s7, v2
	v_lshlrev_b64 v[4:5], 2, v[2:3]
	s_add_i32 s4, s6, 1
	v_add_co_u32_e32 v4, vcc, s20, v4
	v_addc_co_u32_e32 v5, vcc, v7, v5, vcc
	global_load_dword v2, v[4:5], off
	v_mul_lo_u32 v4, s10, v1
	v_lshlrev_b32_e32 v5, 2, v0
	v_and_b32_e32 v5, 4, v5
	s_mul_i32 s10, s6, s9
	s_mul_i32 s9, s9, s4
	v_lshlrev_b32_e32 v8, 1, v5
	v_mad_u64_u32 v[4:5], s[4:5], v4, 36, 0
	s_waitcnt lgkmcnt(0)
	s_mul_hi_u32 s4, s24, s7
	s_add_i32 s4, s7, s4
	v_lshrrev_b32_e32 v9, 1, v0
	s_lshr_b32 s4, s4, s25
	s_mul_i32 s20, s4, s26
	v_mad_u64_u32 v[4:5], s[4:5], v9, 36, v[4:5]
	s_sub_i32 s4, s7, s20
	s_mul_i32 s4, s4, s13
	s_mul_hi_u32 s5, s4, 36
	s_mul_i32 s4, s4, 36
	s_add_u32 s4, s18, s4
	s_addc_u32 s5, s19, s5
	v_and_b32_e32 v7, 1, v0
	v_mov_b32_e32 v9, s5
	v_add_co_u32_e32 v4, vcc, s4, v4
	s_mov_b64 s[2:3], 0
	v_lshlrev_b32_e32 v7, 3, v7
	v_addc_co_u32_e32 v5, vcc, v9, v5, vcc
	s_waitcnt vmcnt(0)
	v_mul_lo_u32 v2, v2, s12
	v_add_u32_e32 v9, s10, v2
	v_add_u32_e32 v10, s9, v2
	v_mov_b32_e32 v2, v3
.LBB12_3:                               ; =>This Inner Loop Header: Depth=1
	v_add_u32_e32 v13, v9, v6
	v_add_u32_e32 v15, v10, v6
	v_mad_i64_i32 v[13:14], s[4:5], v13, 18, s[16:17]
	v_mad_i64_i32 v[15:16], s[4:5], v15, 18, s[16:17]
	v_add_co_u32_e32 v11, vcc, v4, v7
	v_addc_co_u32_e32 v12, vcc, 0, v5, vcc
	v_add_co_u32_e32 v17, vcc, v13, v8
	v_addc_co_u32_e32 v18, vcc, 0, v14, vcc
	global_load_ushort v27, v[15:16], off
	global_load_ushort v28, v[13:14], off
	global_load_dwordx2 v[21:22], v[11:12], off offset:4
	global_load_dwordx2 v[23:24], v[11:12], off offset:20
	;; [unrolled: 1-line block ×3, first 2 shown]
	v_add_co_u32_e32 v19, vcc, v15, v8
	v_addc_co_u32_e32 v20, vcc, 0, v16, vcc
	global_load_dword v15, v[4:5], off
	v_add_co_u32_e32 v4, vcc, 0x480, v4
	v_add_u32_e32 v6, 32, v6
	v_addc_co_u32_e32 v5, vcc, 0, v5, vcc
	v_cmp_le_u32_e32 vcc, s15, v6
	s_or_b64 s[2:3], vcc, s[2:3]
	s_waitcnt vmcnt(1)
	v_lshrrev_b32_e32 v11, 4, v25
	v_and_b32_e32 v12, 0xf0f0f0f, v25
	v_and_b32_e32 v11, 0xf0f0f0f, v11
	v_dot4_i32_i8 v12, v12, v21, 0
	v_dot4_i32_i8 v13, v11, v23, v12
	global_load_dwordx2 v[11:12], v[19:20], off offset:2
	s_waitcnt vmcnt(1)
	v_cvt_f32_f16_sdwa v16, v15 dst_sel:DWORD dst_unused:UNUSED_PAD src0_sel:WORD_1
	s_waitcnt vmcnt(0)
	v_lshrrev_b32_e32 v14, 4, v11
	v_and_b32_e32 v11, 0xf0f0f0f, v11
	v_and_b32_e32 v14, 0xf0f0f0f, v14
	v_dot4_i32_i8 v11, v11, v21, 0
	v_dot4_i32_i8 v11, v14, v23, v11
	v_and_b32_e32 v14, 0xf0f0f0f, v26
	v_dot4_i32_i8 v13, v14, v22, v13
	v_and_b32_e32 v14, 0xf0f0f0f, v12
	v_dot4_i32_i8 v11, v14, v22, v11
	v_lshrrev_b32_e32 v14, 4, v26
	v_lshrrev_b32_e32 v12, 4, v12
	v_and_b32_e32 v14, 0xf0f0f0f, v14
	v_and_b32_e32 v12, 0xf0f0f0f, v12
	v_dot4_i32_i8 v13, v14, v24, v13
	v_dot4_i32_i8 v11, v12, v24, v11
	v_cvt_f32_i32_e32 v12, v13
	v_cvt_f32_i32_e32 v11, v11
	v_mul_f32_e32 v13, -4.0, v16
	v_fma_mix_f32 v12, v12, v15, v13 op_sel_hi:[0,1,0]
	v_fma_mix_f32 v11, v11, v15, v13 op_sel_hi:[0,1,0]
	;; [unrolled: 1-line block ×4, first 2 shown]
	s_andn2_b64 exec, exec, s[2:3]
	s_cbranch_execnz .LBB12_3
; %bb.4:
	s_or_b64 exec, exec, s[2:3]
.LBB12_5:
	s_or_b64 exec, exec, s[0:1]
	v_mbcnt_lo_u32_b32 v4, -1, 0
	v_mbcnt_hi_u32_b32 v4, -1, v4
	v_and_b32_e32 v5, 64, v4
	v_add_u32_e32 v5, 64, v5
	v_xor_b32_e32 v6, 32, v4
	v_cmp_lt_i32_e32 vcc, v6, v5
	v_cndmask_b32_e32 v6, v4, v6, vcc
	v_lshlrev_b32_e32 v6, 2, v6
	ds_bpermute_b32 v9, v6, v3
	ds_bpermute_b32 v6, v6, v2
	v_xor_b32_e32 v7, 16, v4
	v_cmp_lt_i32_e32 vcc, v7, v5
	v_cndmask_b32_e32 v7, v4, v7, vcc
	v_lshlrev_b32_e32 v7, 2, v7
	s_waitcnt lgkmcnt(1)
	v_add_f32_e32 v3, v3, v9
	s_waitcnt lgkmcnt(0)
	v_add_f32_e32 v2, v2, v6
	ds_bpermute_b32 v9, v7, v3
	ds_bpermute_b32 v6, v7, v2
	v_xor_b32_e32 v8, 8, v4
	v_cmp_lt_i32_e32 vcc, v8, v5
	v_cndmask_b32_e32 v8, v4, v8, vcc
	v_lshlrev_b32_e32 v8, 2, v8
	s_waitcnt lgkmcnt(1)
	v_add_f32_e32 v3, v3, v9
	s_waitcnt lgkmcnt(0)
	v_add_f32_e32 v2, v2, v6
	;; [unrolled: 10-line block ×5, first 2 shown]
	ds_bpermute_b32 v3, v5, v2
	ds_bpermute_b32 v5, v5, v4
	v_add_u32_e32 v6, s6, v0
	v_cmp_gt_u32_e32 vcc, 2, v0
	v_cmp_gt_u32_e64 s[0:1], s8, v6
	s_and_b64 s[0:1], vcc, s[0:1]
	s_and_b64 exec, exec, s[0:1]
	s_cbranch_execz .LBB12_7
; %bb.6:
	v_mul_lo_u32 v1, s11, v1
	v_cmp_eq_u32_e32 vcc, 1, v0
	s_mul_i32 s0, s14, s7
	v_or_b32_e32 v0, s6, v0
	v_add3_u32 v0, v0, v1, s0
	v_mov_b32_e32 v1, 0
	v_lshlrev_b64 v[0:1], 2, v[0:1]
	s_waitcnt lgkmcnt(1)
	v_add_f32_e32 v2, v2, v3
	s_waitcnt lgkmcnt(0)
	v_add_f32_e32 v3, v4, v5
	v_cndmask_b32_e32 v2, v2, v3, vcc
	v_mov_b32_e32 v3, s23
	v_add_co_u32_e32 v0, vcc, s22, v0
	v_addc_co_u32_e32 v1, vcc, v3, v1, vcc
	global_store_dword v[0:1], v2, off
.LBB12_7:
	s_endpgm
	.section	.rodata,"a",@progbits
	.p2align	6, 0x0
	.amdhsa_kernel _ZL17mul_mat_vec_q_moeIL9ggml_type2ELi2EEvPKvS2_PKiPfj15HIP_vector_typeIjLj3EEjjjjjjjjj
		.amdhsa_group_segment_fixed_size 0
		.amdhsa_private_segment_fixed_size 0
		.amdhsa_kernarg_size 84
		.amdhsa_user_sgpr_count 6
		.amdhsa_user_sgpr_private_segment_buffer 1
		.amdhsa_user_sgpr_dispatch_ptr 0
		.amdhsa_user_sgpr_queue_ptr 0
		.amdhsa_user_sgpr_kernarg_segment_ptr 1
		.amdhsa_user_sgpr_dispatch_id 0
		.amdhsa_user_sgpr_flat_scratch_init 0
		.amdhsa_user_sgpr_private_segment_size 0
		.amdhsa_uses_dynamic_stack 0
		.amdhsa_system_sgpr_private_segment_wavefront_offset 0
		.amdhsa_system_sgpr_workgroup_id_x 1
		.amdhsa_system_sgpr_workgroup_id_y 1
		.amdhsa_system_sgpr_workgroup_id_z 0
		.amdhsa_system_sgpr_workgroup_info 0
		.amdhsa_system_vgpr_workitem_id 1
		.amdhsa_next_free_vgpr 29
		.amdhsa_next_free_sgpr 28
		.amdhsa_reserve_vcc 1
		.amdhsa_reserve_flat_scratch 0
		.amdhsa_float_round_mode_32 0
		.amdhsa_float_round_mode_16_64 0
		.amdhsa_float_denorm_mode_32 3
		.amdhsa_float_denorm_mode_16_64 3
		.amdhsa_dx10_clamp 1
		.amdhsa_ieee_mode 1
		.amdhsa_fp16_overflow 0
		.amdhsa_exception_fp_ieee_invalid_op 0
		.amdhsa_exception_fp_denorm_src 0
		.amdhsa_exception_fp_ieee_div_zero 0
		.amdhsa_exception_fp_ieee_overflow 0
		.amdhsa_exception_fp_ieee_underflow 0
		.amdhsa_exception_fp_ieee_inexact 0
		.amdhsa_exception_int_div_zero 0
	.end_amdhsa_kernel
	.section	.text._ZL17mul_mat_vec_q_moeIL9ggml_type2ELi2EEvPKvS2_PKiPfj15HIP_vector_typeIjLj3EEjjjjjjjjj,"axG",@progbits,_ZL17mul_mat_vec_q_moeIL9ggml_type2ELi2EEvPKvS2_PKiPfj15HIP_vector_typeIjLj3EEjjjjjjjjj,comdat
.Lfunc_end12:
	.size	_ZL17mul_mat_vec_q_moeIL9ggml_type2ELi2EEvPKvS2_PKiPfj15HIP_vector_typeIjLj3EEjjjjjjjjj, .Lfunc_end12-_ZL17mul_mat_vec_q_moeIL9ggml_type2ELi2EEvPKvS2_PKiPfj15HIP_vector_typeIjLj3EEjjjjjjjjj
                                        ; -- End function
	.set _ZL17mul_mat_vec_q_moeIL9ggml_type2ELi2EEvPKvS2_PKiPfj15HIP_vector_typeIjLj3EEjjjjjjjjj.num_vgpr, 29
	.set _ZL17mul_mat_vec_q_moeIL9ggml_type2ELi2EEvPKvS2_PKiPfj15HIP_vector_typeIjLj3EEjjjjjjjjj.num_agpr, 0
	.set _ZL17mul_mat_vec_q_moeIL9ggml_type2ELi2EEvPKvS2_PKiPfj15HIP_vector_typeIjLj3EEjjjjjjjjj.numbered_sgpr, 28
	.set _ZL17mul_mat_vec_q_moeIL9ggml_type2ELi2EEvPKvS2_PKiPfj15HIP_vector_typeIjLj3EEjjjjjjjjj.num_named_barrier, 0
	.set _ZL17mul_mat_vec_q_moeIL9ggml_type2ELi2EEvPKvS2_PKiPfj15HIP_vector_typeIjLj3EEjjjjjjjjj.private_seg_size, 0
	.set _ZL17mul_mat_vec_q_moeIL9ggml_type2ELi2EEvPKvS2_PKiPfj15HIP_vector_typeIjLj3EEjjjjjjjjj.uses_vcc, 1
	.set _ZL17mul_mat_vec_q_moeIL9ggml_type2ELi2EEvPKvS2_PKiPfj15HIP_vector_typeIjLj3EEjjjjjjjjj.uses_flat_scratch, 0
	.set _ZL17mul_mat_vec_q_moeIL9ggml_type2ELi2EEvPKvS2_PKiPfj15HIP_vector_typeIjLj3EEjjjjjjjjj.has_dyn_sized_stack, 0
	.set _ZL17mul_mat_vec_q_moeIL9ggml_type2ELi2EEvPKvS2_PKiPfj15HIP_vector_typeIjLj3EEjjjjjjjjj.has_recursion, 0
	.set _ZL17mul_mat_vec_q_moeIL9ggml_type2ELi2EEvPKvS2_PKiPfj15HIP_vector_typeIjLj3EEjjjjjjjjj.has_indirect_call, 0
	.section	.AMDGPU.csdata,"",@progbits
; Kernel info:
; codeLenInByte = 1040
; TotalNumSgprs: 32
; NumVgprs: 29
; ScratchSize: 0
; MemoryBound: 0
; FloatMode: 240
; IeeeMode: 1
; LDSByteSize: 0 bytes/workgroup (compile time only)
; SGPRBlocks: 3
; VGPRBlocks: 7
; NumSGPRsForWavesPerEU: 32
; NumVGPRsForWavesPerEU: 29
; Occupancy: 8
; WaveLimiterHint : 1
; COMPUTE_PGM_RSRC2:SCRATCH_EN: 0
; COMPUTE_PGM_RSRC2:USER_SGPR: 6
; COMPUTE_PGM_RSRC2:TRAP_HANDLER: 0
; COMPUTE_PGM_RSRC2:TGID_X_EN: 1
; COMPUTE_PGM_RSRC2:TGID_Y_EN: 1
; COMPUTE_PGM_RSRC2:TGID_Z_EN: 0
; COMPUTE_PGM_RSRC2:TIDIG_COMP_CNT: 1
	.section	.text._ZL13mul_mat_vec_qIL9ggml_type2ELi1ELb1ELb1EEvPKvS2_PKi31ggml_cuda_mm_fusion_args_devicePfj15HIP_vector_typeIjLj3EEjjjS8_jjjS8_jjjj,"axG",@progbits,_ZL13mul_mat_vec_qIL9ggml_type2ELi1ELb1ELb1EEvPKvS2_PKi31ggml_cuda_mm_fusion_args_devicePfj15HIP_vector_typeIjLj3EEjjjS8_jjjS8_jjjj,comdat
	.globl	_ZL13mul_mat_vec_qIL9ggml_type2ELi1ELb1ELb1EEvPKvS2_PKi31ggml_cuda_mm_fusion_args_devicePfj15HIP_vector_typeIjLj3EEjjjS8_jjjS8_jjjj ; -- Begin function _ZL13mul_mat_vec_qIL9ggml_type2ELi1ELb1ELb1EEvPKvS2_PKi31ggml_cuda_mm_fusion_args_devicePfj15HIP_vector_typeIjLj3EEjjjS8_jjjS8_jjjj
	.p2align	8
	.type	_ZL13mul_mat_vec_qIL9ggml_type2ELi1ELb1ELb1EEvPKvS2_PKi31ggml_cuda_mm_fusion_args_devicePfj15HIP_vector_typeIjLj3EEjjjS8_jjjS8_jjjj,@function
_ZL13mul_mat_vec_qIL9ggml_type2ELi1ELb1ELb1EEvPKvS2_PKi31ggml_cuda_mm_fusion_args_devicePfj15HIP_vector_typeIjLj3EEjjjS8_jjjS8_jjjj: ; @_ZL13mul_mat_vec_qIL9ggml_type2ELi1ELb1ELb1EEvPKvS2_PKi31ggml_cuda_mm_fusion_args_devicePfj15HIP_vector_typeIjLj3EEjjjS8_jjjS8_jjjj
; %bb.0:
	s_load_dwordx8 s[12:19], s[4:5], 0x0
	s_load_dwordx4 s[28:31], s[4:5], 0x20
	s_load_dwordx4 s[36:39], s[4:5], 0x40
	;; [unrolled: 1-line block ×3, first 2 shown]
	s_mov_b32 s34, s7
	s_waitcnt lgkmcnt(0)
	s_cmp_lg_u64 s[16:17], 0
	s_cselect_b64 s[0:1], -1, 0
	s_cmp_eq_u64 s[16:17], 0
	s_mov_b64 s[2:3], 0
	s_cbranch_scc1 .LBB13_5
; %bb.1:
	s_mov_b32 s35, 0
	s_lshl_b64 s[10:11], s[34:35], 2
	s_add_u32 s10, s16, s10
	s_addc_u32 s11, s17, s11
	s_load_dword s35, s[10:11], 0x0
	s_load_dword s33, s[4:5], 0x50
	;; [unrolled: 1-line block ×3, first 2 shown]
	s_andn2_b64 vcc, exec, s[2:3]
	s_cbranch_vccnz .LBB13_3
.LBB13_2:
	s_load_dwordx2 s[2:3], s[4:5], 0x5c
	s_waitcnt lgkmcnt(0)
	s_mul_hi_u32 s2, s2, s34
	s_add_i32 s2, s34, s2
	s_lshr_b32 s35, s2, s3
.LBB13_3:
	s_andn2_b64 vcc, exec, s[0:1]
	s_cbranch_vccnz .LBB13_6
; %bb.4:
	s_mul_hi_u32 s0, s37, s34
	s_add_i32 s0, s34, s0
	s_lshr_b32 s0, s0, s38
	s_mul_i32 s0, s0, s39
	s_sub_i32 s37, s34, s0
	s_waitcnt lgkmcnt(0)
	s_mov_b32 s43, s35
	s_branch .LBB13_7
.LBB13_5:
                                        ; implicit-def: $sgpr35
	s_load_dword s33, s[4:5], 0x50
	s_load_dword s42, s[4:5], 0x78
	s_branch .LBB13_2
.LBB13_6:
	s_mov_b32 s43, s34
	s_mov_b32 s37, s34
.LBB13_7:
	s_load_dword s9, s[4:5], 0x58
	s_load_dwordx4 s[24:27], s[4:5], 0x80
	s_lshl_b32 s16, s6, 1
	s_cmp_eq_u64 s[18:19], 0
	s_cselect_b64 s[0:1], -1, 0
	v_mov_b32_e32 v17, 0
	s_and_b64 vcc, exec, s[0:1]
	v_cmp_gt_u32_e64 s[2:3], 2, v0
	v_cmp_eq_u32_e64 s[6:7], 0, v1
	v_add_u32_e32 v16, s16, v0
	v_mov_b32_e32 v18, 0
	s_cbranch_vccnz .LBB13_11
; %bb.8:
	s_waitcnt lgkmcnt(0)
	v_cmp_gt_u32_e32 vcc, s9, v16
	s_and_b64 s[2:3], s[2:3], vcc
	s_mov_b32 s11, 0
	s_and_b64 s[6:7], s[2:3], s[6:7]
	v_mov_b32_e32 v18, 0
	s_and_saveexec_b64 s[2:3], s[6:7]
	s_cbranch_execz .LBB13_10
; %bb.9:
	s_mul_i32 s10, s26, s8
	s_lshl_b64 s[6:7], s[10:11], 2
	s_add_u32 s17, s18, s6
	s_mul_i32 s10, s43, s22
	s_addc_u32 s18, s19, s7
	s_lshl_b64 s[6:7], s[10:11], 2
	s_add_u32 s10, s17, s6
	s_addc_u32 s11, s18, s7
	s_ashr_i32 s17, s16, 31
	s_lshl_b64 s[6:7], s[16:17], 2
	s_add_u32 s6, s10, s6
	s_addc_u32 s7, s11, s7
	v_lshlrev_b32_e32 v2, 2, v0
	global_load_dword v18, v2, s[6:7]
.LBB13_10:
	s_or_b64 exec, exec, s[2:3]
.LBB13_11:
	s_cmp_lg_u64 s[28:29], 0
	s_cselect_b64 s[38:39], -1, 0
	s_cmp_eq_u64 s[28:29], 0
	s_cselect_b64 s[18:19], -1, 0
	s_cmp_lg_u64 s[30:31], 0
	s_cselect_b64 s[2:3], -1, 0
	s_and_b64 s[6:7], s[2:3], s[38:39]
	s_andn2_b64 vcc, exec, s[6:7]
	s_waitcnt lgkmcnt(0)
	v_cmp_gt_u32_e64 s[6:7], s9, v16
	s_cbranch_vccnz .LBB13_15
; %bb.12:
	v_cmp_gt_u32_e32 vcc, 2, v0
	v_cmp_eq_u32_e64 s[10:11], 0, v1
	s_and_b64 s[6:7], vcc, s[6:7]
	s_mov_b32 s41, 0
	s_and_b64 s[10:11], s[6:7], s[10:11]
	v_mov_b32_e32 v17, 0
	s_and_saveexec_b64 s[6:7], s[10:11]
	s_cbranch_execz .LBB13_14
; %bb.13:
	s_mul_i32 s40, s26, s8
	s_lshl_b64 s[10:11], s[40:41], 2
	s_add_u32 s17, s30, s10
	s_mul_i32 s40, s43, s22
	s_addc_u32 s27, s31, s11
	s_lshl_b64 s[10:11], s[40:41], 2
	s_add_u32 s30, s17, s10
	s_addc_u32 s27, s27, s11
	s_ashr_i32 s17, s16, 31
	s_lshl_b64 s[10:11], s[16:17], 2
	s_add_u32 s10, s30, s10
	s_addc_u32 s11, s27, s11
	v_lshlrev_b32_e32 v2, 2, v0
	global_load_dword v17, v2, s[10:11]
.LBB13_14:
	s_or_b64 exec, exec, s[6:7]
.LBB13_15:
	v_lshlrev_b32_e32 v6, 6, v1
	v_add_u16_e32 v2, v6, v0
	v_lshrrev_b16_e32 v20, 1, v2
	v_mov_b32_e32 v4, 0
	v_cndmask_b32_e64 v2, 0, 1, s[38:39]
	s_lshr_b32 s17, s36, 5
	v_mov_b32_e32 v5, v4
	v_cmp_ne_u32_e64 s[6:7], 1, v2
	v_mov_b32_e32 v2, v4
	v_cmp_gt_u32_e32 vcc, s17, v20
	v_lshlrev_b32_e32 v15, 2, v0
	v_mov_b32_e32 v19, v4
	v_mov_b32_e32 v3, v5
	s_and_saveexec_b64 s[30:31], vcc
	s_cbranch_execz .LBB13_23
; %bb.16:
	s_mul_i32 s11, s37, s21
	s_mul_hi_u32 s21, s23, s8
	s_add_i32 s21, s8, s21
	s_lshr_b32 s21, s21, s42
	s_mul_i32 s20, s35, s20
	s_mul_i32 s21, s21, s24
	s_add_i32 s23, s16, 1
	s_mul_i32 s10, s25, s8
	s_add_i32 s21, s20, s21
	s_mul_i32 s20, s16, s33
	s_mul_i32 s33, s33, s23
	s_add_i32 s20, s21, s20
	s_add_i32 s21, s21, s33
	s_mul_hi_u32 s24, s10, 36
	s_mul_i32 s10, s10, 36
	s_add_u32 s10, s14, s10
	s_mul_hi_u32 s23, s11, 36
	s_mul_i32 s11, s11, 36
	s_addc_u32 s14, s15, s24
	v_add_u32_e32 v3, v6, v0
	s_add_u32 s10, s10, s11
	v_and_b32_e32 v5, 1, v0
	v_lshrrev_b32_e32 v3, 1, v3
	s_addc_u32 s11, s14, s23
	v_lshlrev_b32_e32 v21, 3, v5
	v_mad_u64_u32 v[5:6], s[10:11], v3, 36, s[10:11]
	v_and_b32_e32 v4, 4, v15
	v_mov_b32_e32 v2, 0
	v_mov_b32_e32 v3, v2
	s_mov_b64 s[14:15], 0
	v_lshlrev_b32_e32 v22, 1, v4
	v_mov_b32_e32 v19, v2
	v_mov_b32_e32 v4, v2
	s_branch .LBB13_18
.LBB13_17:                              ;   in Loop: Header=BB13_18 Depth=1
	s_waitcnt vmcnt(3)
	v_and_b32_e32 v27, 0xf0f0f0f, v11
	v_lshrrev_b32_e32 v11, 4, v11
	v_and_b32_e32 v11, 0xf0f0f0f, v11
	v_dot4_i32_i8 v27, v27, v7, 0
	v_dot4_i32_i8 v11, v11, v9, v27
	v_and_b32_e32 v27, 0xf0f0f0f, v12
	v_lshrrev_b32_e32 v12, 4, v12
	v_and_b32_e32 v12, 0xf0f0f0f, v12
	v_dot4_i32_i8 v11, v27, v8, v11
	v_dot4_i32_i8 v11, v12, v10, v11
	s_waitcnt vmcnt(1)
	v_and_b32_e32 v12, 0xf0f0f0f, v13
	v_lshrrev_b32_e32 v13, 4, v13
	v_and_b32_e32 v13, 0xf0f0f0f, v13
	v_dot4_i32_i8 v7, v12, v7, 0
	v_dot4_i32_i8 v7, v13, v9, v7
	v_and_b32_e32 v9, 0xf0f0f0f, v14
	v_lshrrev_b32_e32 v12, 4, v14
	v_and_b32_e32 v12, 0xf0f0f0f, v12
	v_dot4_i32_i8 v7, v9, v8, v7
	v_dot4_i32_i8 v7, v12, v10, v7
	v_cvt_f32_i32_e32 v11, v11
	v_cvt_f32_i32_e32 v7, v7
	v_add_u32_e32 v20, 64, v20
	v_add_co_u32_e32 v5, vcc, 0x900, v5
	v_fma_f32 v8, v11, v24, -v25
	v_fma_f32 v7, v7, v24, -v25
	v_cmp_le_u32_e64 s[10:11], s17, v20
	v_fma_mix_f32 v19, v8, v23, v19 op_sel_hi:[0,1,0]
	s_waitcnt vmcnt(0)
	v_fma_mix_f32 v4, v7, v26, v4 op_sel_hi:[0,1,0]
	s_or_b64 s[14:15], s[10:11], s[14:15]
	v_addc_co_u32_e32 v6, vcc, 0, v6, vcc
	s_andn2_b64 exec, exec, s[14:15]
	s_cbranch_execz .LBB13_22
.LBB13_18:                              ; =>This Inner Loop Header: Depth=1
	v_add_co_u32_e32 v11, vcc, v5, v21
	v_add_u32_e32 v13, s20, v20
	v_addc_co_u32_e32 v12, vcc, 0, v6, vcc
	v_mad_i64_i32 v[24:25], s[10:11], v13, 18, s[12:13]
	global_load_dwordx2 v[7:8], v[11:12], off offset:4
	global_load_dwordx2 v[9:10], v[11:12], off offset:20
	global_load_dword v14, v[5:6], off
	v_add_co_u32_e32 v26, vcc, v24, v22
	v_addc_co_u32_e32 v27, vcc, 0, v25, vcc
	global_load_dwordx2 v[11:12], v[26:27], off offset:2
	global_load_ushort v23, v[24:25], off
	s_and_b64 vcc, exec, s[6:7]
	s_waitcnt vmcnt(2)
	v_cvt_f32_f16_sdwa v25, v14 dst_sel:DWORD dst_unused:UNUSED_PAD src0_sel:WORD_1
	v_cvt_f32_f16_e32 v24, v14
	v_mul_f32_e32 v25, 4.0, v25
	s_cbranch_vccnz .LBB13_20
; %bb.19:                               ;   in Loop: Header=BB13_18 Depth=1
	v_mad_i64_i32 v[13:14], s[10:11], v13, 18, s[28:29]
	v_add_co_u32_e32 v26, vcc, v13, v22
	v_addc_co_u32_e32 v27, vcc, 0, v14, vcc
	global_load_dwordx2 v[28:29], v[26:27], off offset:2
	global_load_ushort v30, v[13:14], off
	s_waitcnt vmcnt(1)
	v_and_b32_e32 v13, 0xf0f0f0f, v28
	v_lshrrev_b32_e32 v14, 4, v28
	v_and_b32_e32 v14, 0xf0f0f0f, v14
	v_dot4_i32_i8 v13, v13, v7, 0
	v_and_b32_e32 v26, 0xf0f0f0f, v29
	v_lshrrev_b32_e32 v27, 4, v29
	v_dot4_i32_i8 v13, v14, v9, v13
	v_and_b32_e32 v14, 0xf0f0f0f, v27
	v_dot4_i32_i8 v13, v26, v8, v13
	v_dot4_i32_i8 v13, v14, v10, v13
	v_cvt_f32_i32_e32 v13, v13
	v_fma_f32 v13, v24, v13, -v25
	s_waitcnt vmcnt(0)
	v_fma_mix_f32 v2, v13, v30, v2 op_sel_hi:[0,1,0]
.LBB13_20:                              ;   in Loop: Header=BB13_18 Depth=1
	v_add_u32_e32 v27, s21, v20
	v_mad_i64_i32 v[28:29], s[10:11], v27, 18, s[12:13]
	v_add_co_u32_e32 v30, vcc, v28, v22
	v_addc_co_u32_e32 v31, vcc, 0, v29, vcc
	global_load_dwordx2 v[13:14], v[30:31], off offset:2
	global_load_ushort v26, v[28:29], off
	s_and_b64 vcc, exec, s[6:7]
	s_cbranch_vccnz .LBB13_17
; %bb.21:                               ;   in Loop: Header=BB13_18 Depth=1
	v_mad_i64_i32 v[27:28], s[10:11], v27, 18, s[28:29]
	v_add_co_u32_e32 v29, vcc, v27, v22
	v_addc_co_u32_e32 v30, vcc, 0, v28, vcc
	global_load_dwordx2 v[31:32], v[29:30], off offset:2
	global_load_ushort v33, v[27:28], off
	s_waitcnt vmcnt(1)
	v_and_b32_e32 v27, 0xf0f0f0f, v31
	v_lshrrev_b32_e32 v28, 4, v31
	v_and_b32_e32 v28, 0xf0f0f0f, v28
	v_dot4_i32_i8 v27, v27, v7, 0
	v_and_b32_e32 v29, 0xf0f0f0f, v32
	v_lshrrev_b32_e32 v30, 4, v32
	v_dot4_i32_i8 v27, v28, v9, v27
	v_and_b32_e32 v28, 0xf0f0f0f, v30
	v_dot4_i32_i8 v27, v29, v8, v27
	v_dot4_i32_i8 v27, v28, v10, v27
	v_cvt_f32_i32_e32 v27, v27
	v_fma_f32 v27, v24, v27, -v25
	s_waitcnt vmcnt(0)
	v_fma_mix_f32 v3, v27, v33, v3 op_sel_hi:[0,1,0]
	s_branch .LBB13_17
.LBB13_22:
	s_or_b64 exec, exec, s[14:15]
.LBB13_23:
	s_or_b64 exec, exec, s[30:31]
	s_load_dword s17, s[4:5], 0x30
	v_cmp_eq_u32_e64 s[10:11], 0, v1
	v_cmp_ne_u32_e32 vcc, 0, v1
	s_and_saveexec_b64 s[12:13], vcc
	s_cbranch_execz .LBB13_28
; %bb.24:
	v_lshl_or_b32 v1, v1, 9, v15
	v_add_u32_e32 v5, 0xfffffe00, v1
	s_mov_b64 s[14:15], -1
	s_and_b64 vcc, exec, s[18:19]
	ds_write_b32 v5, v19
	s_cbranch_vccz .LBB13_26
; %bb.25:
	ds_write_b32 v5, v4 offset:256
	s_mov_b64 s[14:15], 0
.LBB13_26:
	s_andn2_b64 vcc, exec, s[14:15]
	s_cbranch_vccnz .LBB13_28
; %bb.27:
	ds_write_b32 v5, v4 offset:256
	ds_write2st64_b32 v1, v2, v3 offset1:1
.LBB13_28:
	s_or_b64 exec, exec, s[12:13]
	s_waitcnt vmcnt(0) lgkmcnt(0)
	s_barrier
	s_and_saveexec_b64 s[12:13], s[10:11]
	s_cbranch_execz .LBB13_61
; %bb.29:
	ds_read_b32 v6, v15
	s_and_b64 vcc, exec, s[6:7]
	v_or_b32_e32 v5, 0x200, v15
	s_cbranch_vccnz .LBB13_31
; %bb.30:
	ds_read_b32 v1, v5
	s_waitcnt lgkmcnt(0)
	v_add_f32_e32 v2, v2, v1
.LBB13_31:
	v_mbcnt_lo_u32_b32 v1, -1, 0
	v_mbcnt_hi_u32_b32 v7, -1, v1
	v_and_b32_e32 v1, 64, v7
	v_add_u32_e32 v12, 64, v1
	v_xor_b32_e32 v1, 32, v7
	v_cmp_lt_i32_e32 vcc, v1, v12
	v_cndmask_b32_e32 v1, v7, v1, vcc
	v_lshlrev_b32_e32 v1, 2, v1
	s_waitcnt lgkmcnt(0)
	v_add_f32_e32 v6, v19, v6
	ds_bpermute_b32 v9, v1, v6
	v_xor_b32_e32 v8, 16, v7
	v_cmp_lt_i32_e32 vcc, v8, v12
	v_cndmask_b32_e32 v8, v7, v8, vcc
	v_lshlrev_b32_e32 v8, 2, v8
	s_waitcnt lgkmcnt(0)
	v_add_f32_e32 v6, v6, v9
	ds_bpermute_b32 v10, v8, v6
	;; [unrolled: 7-line block ×6, first 2 shown]
	s_and_b64 vcc, exec, s[6:7]
	s_cbranch_vccnz .LBB13_33
; %bb.32:
	ds_bpermute_b32 v13, v1, v2
	s_waitcnt lgkmcnt(0)
	v_add_f32_e32 v2, v2, v13
	ds_bpermute_b32 v13, v8, v2
	s_waitcnt lgkmcnt(0)
	v_add_f32_e32 v2, v2, v13
	;; [unrolled: 3-line block ×6, first 2 shown]
.LBB13_33:
	ds_read_b32 v13, v15 offset:256
	s_and_b64 vcc, exec, s[6:7]
	s_cbranch_vccnz .LBB13_35
; %bb.34:
	ds_read_b32 v5, v5 offset:256
	s_waitcnt lgkmcnt(0)
	v_add_f32_e32 v3, v3, v5
.LBB13_35:
	s_waitcnt lgkmcnt(0)
	v_add_f32_e32 v4, v4, v13
	ds_bpermute_b32 v5, v1, v4
	s_and_b64 vcc, exec, s[6:7]
	s_waitcnt lgkmcnt(0)
	v_add_f32_e32 v4, v4, v5
	ds_bpermute_b32 v5, v8, v4
	s_waitcnt lgkmcnt(0)
	v_add_f32_e32 v4, v4, v5
	ds_bpermute_b32 v5, v9, v4
	;; [unrolled: 3-line block ×5, first 2 shown]
	s_cbranch_vccnz .LBB13_37
; %bb.36:
	ds_bpermute_b32 v1, v1, v3
	s_waitcnt lgkmcnt(0)
	v_add_f32_e32 v1, v3, v1
	ds_bpermute_b32 v3, v8, v1
	s_waitcnt lgkmcnt(0)
	v_add_f32_e32 v1, v1, v3
	;; [unrolled: 3-line block ×6, first 2 shown]
.LBB13_37:
	v_cmp_gt_u32_e32 vcc, s9, v16
	v_cmp_gt_u32_e64 s[10:11], 2, v0
	s_and_b64 s[10:11], s[10:11], vcc
	s_and_b64 exec, exec, s[10:11]
	s_cbranch_execz .LBB13_61
; %bb.38:
	v_add_f32_e32 v1, v6, v7
	s_waitcnt lgkmcnt(0)
	v_add_f32_e32 v4, v4, v5
	v_cmp_eq_u32_e64 s[10:11], 1, v0
	v_cndmask_b32_e64 v0, v1, v4, s[10:11]
	v_add_f32_e32 v1, v18, v0
	s_and_b64 vcc, exec, s[6:7]
	v_cndmask_b32_e64 v0, v1, v0, s[0:1]
	s_cbranch_vccnz .LBB13_60
; %bb.39:
	v_cndmask_b32_e64 v1, v2, v3, s[10:11]
	v_add_f32_e32 v2, v17, v1
	v_cndmask_b32_e64 v1, v1, v2, s[2:3]
	s_cmp_lt_i32 s17, 2
	s_mov_b64 s[0:1], 0
	s_cbranch_scc1 .LBB13_43
; %bb.40:
	s_cmp_gt_i32 s17, 2
	s_cbranch_scc0 .LBB13_44
; %bb.41:
	s_cmp_eq_u32 s17, 3
	s_cbranch_scc0 .LBB13_45
; %bb.42:
	v_max_f32_e32 v2, v1, v1
	v_min_f32_e32 v2, 0x40e00000, v2
	v_mul_f32_e32 v3, 0xbfd9db23, v2
	s_mov_b32 s2, 0x3fb8aa3b
	v_mul_f32_e32 v4, 0x3fb8aa3b, v3
	v_fma_f32 v5, v3, s2, -v4
	v_rndne_f32_e32 v6, v4
	v_fmac_f32_e32 v5, 0x32a5705f, v3
	v_sub_f32_e32 v4, v4, v6
	v_add_f32_e32 v4, v4, v5
	v_exp_f32_e32 v4, v4
	v_cvt_i32_f32_e32 v5, v6
	s_mov_b32 s2, 0xc2ce8ed0
	v_cmp_ngt_f32_e32 vcc, s2, v3
	s_mov_b32 s2, 0x42b17218
	v_ldexp_f32 v4, v4, v5
	v_cndmask_b32_e32 v4, 0, v4, vcc
	v_mov_b32_e32 v5, 0x7f800000
	v_cmp_nlt_f32_e32 vcc, s2, v3
	v_cndmask_b32_e32 v3, v5, v4, vcc
	v_add_f32_e32 v3, 1.0, v3
	v_div_scale_f32 v4, s[2:3], v3, v3, v2
	v_div_scale_f32 v5, vcc, v2, v3, v2
	s_mov_b64 s[2:3], 0
	v_rcp_f32_e32 v6, v4
	v_fma_f32 v7, -v4, v6, 1.0
	v_fmac_f32_e32 v6, v7, v6
	v_mul_f32_e32 v7, v5, v6
	v_fma_f32 v8, -v4, v7, v5
	v_fmac_f32_e32 v7, v8, v6
	v_fma_f32 v4, -v4, v7, v5
	v_div_fmas_f32 v4, v4, v6, v7
	v_max_f32_e32 v5, v0, v0
	v_min_f32_e32 v5, 0x40e00000, v5
	v_max_f32_e32 v5, 0xc0e00000, v5
	v_add_f32_e32 v5, 1.0, v5
	v_div_fixup_f32 v2, v4, v3, v2
	v_mul_f32_e32 v2, v5, v2
	s_branch .LBB13_46
.LBB13_43:
                                        ; implicit-def: $vgpr2
	s_mov_b64 s[2:3], 0
	s_cbranch_execnz .LBB13_50
	s_branch .LBB13_51
.LBB13_44:
	s_mov_b64 s[6:7], -1
	s_mov_b64 s[2:3], 0
                                        ; implicit-def: $vgpr2
	s_branch .LBB13_47
.LBB13_45:
	s_mov_b64 s[2:3], -1
                                        ; implicit-def: $vgpr2
.LBB13_46:
	s_mov_b64 s[6:7], 0
.LBB13_47:
	s_and_b64 vcc, exec, s[6:7]
	s_cbranch_vccz .LBB13_49
; %bb.48:
	v_mul_f32_e32 v2, 0xbfb8aa3b, v1
	s_mov_b32 s6, 0xbfb8aa3b
	v_rndne_f32_e32 v3, v2
	v_sub_f32_e32 v4, v2, v3
	v_fma_f32 v2, v1, s6, -v2
	v_fmac_f32_e32 v2, 0xb2a5705f, v1
	v_add_f32_e32 v2, v4, v2
	v_exp_f32_e32 v2, v2
	v_cvt_i32_f32_e32 v3, v3
	s_mov_b32 s6, 0x42ce8ed0
	v_cmp_nlt_f32_e32 vcc, s6, v1
	s_mov_b32 s6, 0xc2b17218
	v_ldexp_f32 v2, v2, v3
	v_cndmask_b32_e32 v2, 0, v2, vcc
	v_mov_b32_e32 v3, 0x7f800000
	v_cmp_ngt_f32_e32 vcc, s6, v1
	v_cndmask_b32_e32 v2, v3, v2, vcc
	v_add_f32_e32 v2, 1.0, v2
	v_div_scale_f32 v3, s[6:7], v2, v2, v1
	v_div_scale_f32 v4, vcc, v1, v2, v1
	v_rcp_f32_e32 v5, v3
	v_fma_f32 v6, -v3, v5, 1.0
	v_fmac_f32_e32 v5, v6, v5
	v_mul_f32_e32 v6, v4, v5
	v_fma_f32 v7, -v3, v6, v4
	v_fmac_f32_e32 v6, v7, v5
	v_fma_f32 v3, -v3, v6, v4
	v_div_fmas_f32 v3, v3, v5, v6
	v_div_fixup_f32 v2, v3, v2, v1
	v_mul_f32_e32 v2, v0, v2
.LBB13_49:
	s_branch .LBB13_51
.LBB13_50:
	s_cmp_lg_u32 s17, 1
	s_mov_b64 s[0:1], -1
	s_cselect_b64 s[2:3], -1, 0
.LBB13_51:
	s_andn2_b64 vcc, exec, s[2:3]
	s_cbranch_vccz .LBB13_53
; %bb.52:
	s_andn2_b64 vcc, exec, s[0:1]
	s_cbranch_vccz .LBB13_54
	s_branch .LBB13_59
.LBB13_53:
	v_mul_f32_e32 v2, v1, v0
	s_cbranch_execnz .LBB13_59
.LBB13_54:
	v_mul_f32_e32 v3, 0x3d372713, v1
	v_mul_f32_e32 v2, 0x3f4c422a, v1
	v_fma_f32 v3, v1, v3, 1.0
	v_mul_f32_e32 v2, v2, v3
	s_mov_b32 s0, 0x3f200000
	v_cmp_nlt_f32_e64 s[0:1], |v2|, s0
                                        ; implicit-def: $vgpr3
	s_and_saveexec_b64 s[2:3], s[0:1]
	s_xor_b64 s[0:1], exec, s[2:3]
	s_cbranch_execz .LBB13_56
; %bb.55:
	v_add_f32_e64 v3, |v2|, |v2|
	v_mul_f32_e32 v4, 0x3fb8aa3b, v3
	s_mov_b32 s2, 0x3fb8aa3b
	v_rndne_f32_e32 v5, v4
	v_sub_f32_e32 v6, v4, v5
	v_fma_f32 v4, v3, s2, -v4
	v_fmac_f32_e32 v4, 0x32a5705f, v3
	v_add_f32_e32 v4, v6, v4
	v_exp_f32_e32 v4, v4
	v_cvt_i32_f32_e32 v5, v5
	s_mov_b32 s2, 0xc2ce8ed0
	v_cmp_ngt_f32_e32 vcc, s2, v3
	s_mov_b32 s2, 0x42b17218
	v_ldexp_f32 v4, v4, v5
	v_cndmask_b32_e32 v4, 0, v4, vcc
	v_mov_b32_e32 v5, 0x7f800000
	v_cmp_nlt_f32_e32 vcc, s2, v3
	v_cndmask_b32_e32 v3, v5, v4, vcc
	v_add_f32_e32 v3, 1.0, v3
	v_rcp_f32_e32 v3, v3
	v_fma_f32 v3, v3, -2.0, 1.0
.LBB13_56:
	s_andn2_saveexec_b64 s[0:1], s[0:1]
	s_cbranch_execz .LBB13_58
; %bb.57:
	v_mul_f32_e32 v3, v2, v2
	v_mov_b32_e32 v4, 0x3ca908c9
	v_fmac_f32_e32 v4, 0xbbbac73d, v3
	v_mov_b32_e32 v5, 0xbd5c1c4e
	v_fmac_f32_e32 v5, v3, v4
	;; [unrolled: 2-line block ×4, first 2 shown]
	v_mul_f32_e64 v4, |v2|, v5
	v_fma_f32 v3, v3, v4, |v2|
.LBB13_58:
	s_or_b64 exec, exec, s[0:1]
	s_brev_b32 s0, -2
	v_bfi_b32 v2, s0, v3, v2
	v_mul_f32_e32 v1, 0.5, v1
	v_add_f32_e32 v2, 1.0, v2
	v_mul_f32_e32 v1, v1, v2
	v_mul_f32_e32 v2, v0, v1
.LBB13_59:
	v_mov_b32_e32 v0, v2
.LBB13_60:
	s_load_dwordx2 s[0:1], s[4:5], 0x38
	s_mul_i32 s3, s22, s34
	s_mul_i32 s2, s26, s8
	s_add_i32 s3, s3, s16
	s_add_i32 s2, s3, s2
	s_mov_b32 s3, 0
	s_lshl_b64 s[2:3], s[2:3], 2
	s_waitcnt lgkmcnt(0)
	s_add_u32 s0, s0, s2
	s_addc_u32 s1, s1, s3
	global_store_dword v15, v0, s[0:1]
.LBB13_61:
	s_endpgm
	.section	.rodata,"a",@progbits
	.p2align	6, 0x0
	.amdhsa_kernel _ZL13mul_mat_vec_qIL9ggml_type2ELi1ELb1ELb1EEvPKvS2_PKi31ggml_cuda_mm_fusion_args_devicePfj15HIP_vector_typeIjLj3EEjjjS8_jjjS8_jjjj
		.amdhsa_group_segment_fixed_size 1024
		.amdhsa_private_segment_fixed_size 0
		.amdhsa_kernarg_size 144
		.amdhsa_user_sgpr_count 6
		.amdhsa_user_sgpr_private_segment_buffer 1
		.amdhsa_user_sgpr_dispatch_ptr 0
		.amdhsa_user_sgpr_queue_ptr 0
		.amdhsa_user_sgpr_kernarg_segment_ptr 1
		.amdhsa_user_sgpr_dispatch_id 0
		.amdhsa_user_sgpr_flat_scratch_init 0
		.amdhsa_user_sgpr_private_segment_size 0
		.amdhsa_uses_dynamic_stack 0
		.amdhsa_system_sgpr_private_segment_wavefront_offset 0
		.amdhsa_system_sgpr_workgroup_id_x 1
		.amdhsa_system_sgpr_workgroup_id_y 1
		.amdhsa_system_sgpr_workgroup_id_z 1
		.amdhsa_system_sgpr_workgroup_info 0
		.amdhsa_system_vgpr_workitem_id 1
		.amdhsa_next_free_vgpr 34
		.amdhsa_next_free_sgpr 44
		.amdhsa_reserve_vcc 1
		.amdhsa_reserve_flat_scratch 0
		.amdhsa_float_round_mode_32 0
		.amdhsa_float_round_mode_16_64 0
		.amdhsa_float_denorm_mode_32 3
		.amdhsa_float_denorm_mode_16_64 3
		.amdhsa_dx10_clamp 1
		.amdhsa_ieee_mode 1
		.amdhsa_fp16_overflow 0
		.amdhsa_exception_fp_ieee_invalid_op 0
		.amdhsa_exception_fp_denorm_src 0
		.amdhsa_exception_fp_ieee_div_zero 0
		.amdhsa_exception_fp_ieee_overflow 0
		.amdhsa_exception_fp_ieee_underflow 0
		.amdhsa_exception_fp_ieee_inexact 0
		.amdhsa_exception_int_div_zero 0
	.end_amdhsa_kernel
	.section	.text._ZL13mul_mat_vec_qIL9ggml_type2ELi1ELb1ELb1EEvPKvS2_PKi31ggml_cuda_mm_fusion_args_devicePfj15HIP_vector_typeIjLj3EEjjjS8_jjjS8_jjjj,"axG",@progbits,_ZL13mul_mat_vec_qIL9ggml_type2ELi1ELb1ELb1EEvPKvS2_PKi31ggml_cuda_mm_fusion_args_devicePfj15HIP_vector_typeIjLj3EEjjjS8_jjjS8_jjjj,comdat
.Lfunc_end13:
	.size	_ZL13mul_mat_vec_qIL9ggml_type2ELi1ELb1ELb1EEvPKvS2_PKi31ggml_cuda_mm_fusion_args_devicePfj15HIP_vector_typeIjLj3EEjjjS8_jjjS8_jjjj, .Lfunc_end13-_ZL13mul_mat_vec_qIL9ggml_type2ELi1ELb1ELb1EEvPKvS2_PKi31ggml_cuda_mm_fusion_args_devicePfj15HIP_vector_typeIjLj3EEjjjS8_jjjS8_jjjj
                                        ; -- End function
	.set _ZL13mul_mat_vec_qIL9ggml_type2ELi1ELb1ELb1EEvPKvS2_PKi31ggml_cuda_mm_fusion_args_devicePfj15HIP_vector_typeIjLj3EEjjjS8_jjjS8_jjjj.num_vgpr, 34
	.set _ZL13mul_mat_vec_qIL9ggml_type2ELi1ELb1ELb1EEvPKvS2_PKi31ggml_cuda_mm_fusion_args_devicePfj15HIP_vector_typeIjLj3EEjjjS8_jjjS8_jjjj.num_agpr, 0
	.set _ZL13mul_mat_vec_qIL9ggml_type2ELi1ELb1ELb1EEvPKvS2_PKi31ggml_cuda_mm_fusion_args_devicePfj15HIP_vector_typeIjLj3EEjjjS8_jjjS8_jjjj.numbered_sgpr, 44
	.set _ZL13mul_mat_vec_qIL9ggml_type2ELi1ELb1ELb1EEvPKvS2_PKi31ggml_cuda_mm_fusion_args_devicePfj15HIP_vector_typeIjLj3EEjjjS8_jjjS8_jjjj.num_named_barrier, 0
	.set _ZL13mul_mat_vec_qIL9ggml_type2ELi1ELb1ELb1EEvPKvS2_PKi31ggml_cuda_mm_fusion_args_devicePfj15HIP_vector_typeIjLj3EEjjjS8_jjjS8_jjjj.private_seg_size, 0
	.set _ZL13mul_mat_vec_qIL9ggml_type2ELi1ELb1ELb1EEvPKvS2_PKi31ggml_cuda_mm_fusion_args_devicePfj15HIP_vector_typeIjLj3EEjjjS8_jjjS8_jjjj.uses_vcc, 1
	.set _ZL13mul_mat_vec_qIL9ggml_type2ELi1ELb1ELb1EEvPKvS2_PKi31ggml_cuda_mm_fusion_args_devicePfj15HIP_vector_typeIjLj3EEjjjS8_jjjS8_jjjj.uses_flat_scratch, 0
	.set _ZL13mul_mat_vec_qIL9ggml_type2ELi1ELb1ELb1EEvPKvS2_PKi31ggml_cuda_mm_fusion_args_devicePfj15HIP_vector_typeIjLj3EEjjjS8_jjjS8_jjjj.has_dyn_sized_stack, 0
	.set _ZL13mul_mat_vec_qIL9ggml_type2ELi1ELb1ELb1EEvPKvS2_PKi31ggml_cuda_mm_fusion_args_devicePfj15HIP_vector_typeIjLj3EEjjjS8_jjjS8_jjjj.has_recursion, 0
	.set _ZL13mul_mat_vec_qIL9ggml_type2ELi1ELb1ELb1EEvPKvS2_PKi31ggml_cuda_mm_fusion_args_devicePfj15HIP_vector_typeIjLj3EEjjjS8_jjjS8_jjjj.has_indirect_call, 0
	.section	.AMDGPU.csdata,"",@progbits
; Kernel info:
; codeLenInByte = 3044
; TotalNumSgprs: 48
; NumVgprs: 34
; ScratchSize: 0
; MemoryBound: 0
; FloatMode: 240
; IeeeMode: 1
; LDSByteSize: 1024 bytes/workgroup (compile time only)
; SGPRBlocks: 5
; VGPRBlocks: 8
; NumSGPRsForWavesPerEU: 48
; NumVGPRsForWavesPerEU: 34
; Occupancy: 7
; WaveLimiterHint : 0
; COMPUTE_PGM_RSRC2:SCRATCH_EN: 0
; COMPUTE_PGM_RSRC2:USER_SGPR: 6
; COMPUTE_PGM_RSRC2:TRAP_HANDLER: 0
; COMPUTE_PGM_RSRC2:TGID_X_EN: 1
; COMPUTE_PGM_RSRC2:TGID_Y_EN: 1
; COMPUTE_PGM_RSRC2:TGID_Z_EN: 1
; COMPUTE_PGM_RSRC2:TIDIG_COMP_CNT: 1
	.section	.text._ZL13mul_mat_vec_qIL9ggml_type2ELi1ELb0ELb1EEvPKvS2_PKi31ggml_cuda_mm_fusion_args_devicePfj15HIP_vector_typeIjLj3EEjjjS8_jjjS8_jjjj,"axG",@progbits,_ZL13mul_mat_vec_qIL9ggml_type2ELi1ELb0ELb1EEvPKvS2_PKi31ggml_cuda_mm_fusion_args_devicePfj15HIP_vector_typeIjLj3EEjjjS8_jjjS8_jjjj,comdat
	.globl	_ZL13mul_mat_vec_qIL9ggml_type2ELi1ELb0ELb1EEvPKvS2_PKi31ggml_cuda_mm_fusion_args_devicePfj15HIP_vector_typeIjLj3EEjjjS8_jjjS8_jjjj ; -- Begin function _ZL13mul_mat_vec_qIL9ggml_type2ELi1ELb0ELb1EEvPKvS2_PKi31ggml_cuda_mm_fusion_args_devicePfj15HIP_vector_typeIjLj3EEjjjS8_jjjS8_jjjj
	.p2align	8
	.type	_ZL13mul_mat_vec_qIL9ggml_type2ELi1ELb0ELb1EEvPKvS2_PKi31ggml_cuda_mm_fusion_args_devicePfj15HIP_vector_typeIjLj3EEjjjS8_jjjS8_jjjj,@function
_ZL13mul_mat_vec_qIL9ggml_type2ELi1ELb0ELb1EEvPKvS2_PKi31ggml_cuda_mm_fusion_args_devicePfj15HIP_vector_typeIjLj3EEjjjS8_jjjS8_jjjj: ; @_ZL13mul_mat_vec_qIL9ggml_type2ELi1ELb0ELb1EEvPKvS2_PKi31ggml_cuda_mm_fusion_args_devicePfj15HIP_vector_typeIjLj3EEjjjS8_jjjS8_jjjj
; %bb.0:
	s_load_dwordx2 s[0:1], s[4:5], 0x10
	s_load_dwordx4 s[16:19], s[4:5], 0x40
	s_mov_b32 s10, s7
	s_mov_b64 s[14:15], 0
	s_waitcnt lgkmcnt(0)
	s_cmp_lg_u64 s[0:1], 0
	s_cselect_b64 s[12:13], -1, 0
	s_cmp_eq_u64 s[0:1], 0
	s_cbranch_scc1 .LBB14_5
; %bb.1:
	s_mov_b32 s11, 0
	s_lshl_b64 s[2:3], s[10:11], 2
	s_add_u32 s0, s0, s2
	s_addc_u32 s1, s1, s3
	s_load_dword s21, s[0:1], 0x0
	s_nop 0
	s_load_dwordx4 s[0:3], s[4:5], 0x68
	s_load_dword s20, s[4:5], 0x50
	s_andn2_b64 vcc, exec, s[14:15]
	s_cbranch_vccnz .LBB14_3
.LBB14_2:
	s_load_dwordx2 s[14:15], s[4:5], 0x5c
	s_waitcnt lgkmcnt(0)
	s_mul_hi_u32 s7, s14, s10
	s_add_i32 s7, s10, s7
	s_lshr_b32 s21, s7, s15
.LBB14_3:
	s_load_dword s22, s[4:5], 0x78
	s_andn2_b64 vcc, exec, s[12:13]
	s_cbranch_vccnz .LBB14_6
; %bb.4:
	s_mul_hi_u32 s7, s17, s10
	s_add_i32 s7, s10, s7
	s_lshr_b32 s7, s7, s18
	s_mul_i32 s7, s7, s19
	s_sub_i32 s23, s10, s7
	s_branch .LBB14_7
.LBB14_5:
                                        ; implicit-def: $sgpr21
	s_load_dwordx4 s[0:3], s[4:5], 0x68
	s_load_dword s20, s[4:5], 0x50
	s_branch .LBB14_2
.LBB14_6:
	s_mov_b32 s23, s10
.LBB14_7:
	s_load_dwordx4 s[12:15], s[4:5], 0x80
	v_lshlrev_b32_e32 v2, 6, v1
	v_add_u16_e32 v3, v2, v0
	s_lshr_b32 s11, s16, 5
	v_lshrrev_b16_e32 v7, 1, v3
	s_lshl_b32 s9, s6, 1
	v_cmp_gt_u32_e32 vcc, s11, v7
	v_mov_b32_e32 v6, 0
	v_lshlrev_b32_e32 v4, 2, v0
	v_mov_b32_e32 v5, 0
	s_and_saveexec_b64 s[6:7], vcc
	s_cbranch_execz .LBB14_11
; %bb.8:
	s_waitcnt lgkmcnt(0)
	s_mul_hi_u32 s3, s3, s8
	s_add_i32 s3, s8, s3
	s_lshr_b32 s3, s3, s22
	s_load_dwordx4 s[16:19], s[4:5], 0x0
	s_mul_i32 s0, s21, s0
	s_mul_i32 s3, s3, s12
	s_add_i32 s12, s0, s3
	s_mul_i32 s0, s9, s20
	s_add_i32 s3, s12, s0
	s_add_i32 s0, s9, 1
	s_mul_i32 s13, s13, s8
	s_mul_i32 s20, s20, s0
	s_add_i32 s12, s12, s20
	s_mul_hi_u32 s0, s13, 36
	s_mul_i32 s13, s13, 36
	s_mul_i32 s1, s23, s1
	s_waitcnt lgkmcnt(0)
	s_add_u32 s13, s18, s13
	s_mul_hi_u32 s15, s1, 36
	s_mul_i32 s1, s1, 36
	s_addc_u32 s18, s19, s0
	v_add_u32_e32 v2, v2, v0
	s_add_u32 s0, s13, s1
	v_and_b32_e32 v3, 1, v0
	v_lshrrev_b32_e32 v2, 1, v2
	s_addc_u32 s1, s18, s15
	v_lshlrev_b32_e32 v8, 3, v3
	v_mad_u64_u32 v[2:3], s[0:1], v2, 36, s[0:1]
	v_and_b32_e32 v6, 4, v4
	v_mov_b32_e32 v5, 0
	s_mov_b64 s[0:1], 0
	v_lshlrev_b32_e32 v9, 1, v6
	v_mov_b32_e32 v6, 0
.LBB14_9:                               ; =>This Inner Loop Header: Depth=1
	v_add_co_u32_e32 v10, vcc, v2, v8
	v_addc_co_u32_e32 v11, vcc, 0, v3, vcc
	global_load_dwordx2 v[12:13], v[10:11], off offset:4
	global_load_dwordx2 v[14:15], v[10:11], off offset:20
	global_load_dword v20, v[2:3], off
	s_waitcnt vmcnt(0)
	v_cvt_f32_f16_sdwa v10, v20 dst_sel:DWORD dst_unused:UNUSED_PAD src0_sel:WORD_1
	v_mul_f32_e32 v21, -4.0, v10
	v_add_u32_e32 v10, s3, v7
	v_mad_i64_i32 v[10:11], s[18:19], v10, 18, s[16:17]
	v_add_co_u32_e32 v16, vcc, v10, v9
	v_addc_co_u32_e32 v17, vcc, 0, v11, vcc
	global_load_dwordx2 v[18:19], v[16:17], off offset:2
	global_load_ushort v22, v[10:11], off
	s_waitcnt vmcnt(1)
	v_and_b32_e32 v10, 0xf0f0f0f, v18
	v_lshrrev_b32_e32 v11, 4, v18
	v_and_b32_e32 v11, 0xf0f0f0f, v11
	v_dot4_i32_i8 v10, v10, v12, 0
	v_dot4_i32_i8 v10, v11, v14, v10
	v_and_b32_e32 v11, 0xf0f0f0f, v19
	v_lshrrev_b32_e32 v16, 4, v19
	v_and_b32_e32 v16, 0xf0f0f0f, v16
	v_dot4_i32_i8 v10, v11, v13, v10
	v_dot4_i32_i8 v10, v16, v15, v10
	v_cvt_f32_i32_e32 v10, v10
	v_fma_mix_f32 v10, v10, v20, v21 op_sel_hi:[0,1,0]
	s_waitcnt vmcnt(0)
	v_fma_mix_f32 v5, v10, v22, v5 op_sel_hi:[0,1,0]
	v_add_u32_e32 v10, s12, v7
	v_mad_i64_i32 v[10:11], s[18:19], v10, 18, s[16:17]
	v_add_u32_e32 v7, 64, v7
	v_add_co_u32_e32 v16, vcc, v10, v9
	v_addc_co_u32_e32 v17, vcc, 0, v11, vcc
	global_load_dwordx2 v[18:19], v[16:17], off offset:2
	global_load_ushort v22, v[10:11], off
	v_add_co_u32_e32 v2, vcc, 0x900, v2
	v_addc_co_u32_e32 v3, vcc, 0, v3, vcc
	v_cmp_le_u32_e32 vcc, s11, v7
	s_or_b64 s[0:1], vcc, s[0:1]
	s_waitcnt vmcnt(1)
	v_and_b32_e32 v10, 0xf0f0f0f, v18
	v_lshrrev_b32_e32 v11, 4, v18
	v_and_b32_e32 v11, 0xf0f0f0f, v11
	v_dot4_i32_i8 v10, v10, v12, 0
	v_dot4_i32_i8 v10, v11, v14, v10
	v_and_b32_e32 v11, 0xf0f0f0f, v19
	v_lshrrev_b32_e32 v12, 4, v19
	v_and_b32_e32 v12, 0xf0f0f0f, v12
	v_dot4_i32_i8 v10, v11, v13, v10
	v_dot4_i32_i8 v10, v12, v15, v10
	v_cvt_f32_i32_e32 v10, v10
	v_fma_mix_f32 v10, v10, v20, v21 op_sel_hi:[0,1,0]
	s_waitcnt vmcnt(0)
	v_fma_mix_f32 v6, v10, v22, v6 op_sel_hi:[0,1,0]
	s_andn2_b64 exec, exec, s[0:1]
	s_cbranch_execnz .LBB14_9
; %bb.10:
	s_or_b64 exec, exec, s[0:1]
.LBB14_11:
	s_or_b64 exec, exec, s[6:7]
	v_cmp_eq_u32_e32 vcc, 0, v1
	s_waitcnt lgkmcnt(0)
	v_cmp_ne_u32_e64 s[0:1], 0, v1
	s_and_saveexec_b64 s[6:7], s[0:1]
; %bb.12:
	v_lshl_or_b32 v1, v1, 9, v4
	v_add_u32_e32 v1, 0xfffffe00, v1
	ds_write2st64_b32 v1, v5, v6 offset1:1
; %bb.13:
	s_or_b64 exec, exec, s[6:7]
	s_waitcnt lgkmcnt(0)
	s_barrier
	s_and_saveexec_b64 s[0:1], vcc
	s_cbranch_execz .LBB14_16
; %bb.14:
	v_mbcnt_lo_u32_b32 v1, -1, 0
	v_mbcnt_hi_u32_b32 v3, -1, v1
	v_and_b32_e32 v1, 64, v3
	v_add_u32_e32 v7, 64, v1
	v_xor_b32_e32 v1, 32, v3
	v_cmp_lt_i32_e32 vcc, v1, v7
	v_cndmask_b32_e32 v1, v3, v1, vcc
	v_lshlrev_b32_e32 v8, 2, v1
	v_xor_b32_e32 v1, 16, v3
	v_cmp_lt_i32_e32 vcc, v1, v7
	v_cndmask_b32_e32 v1, v3, v1, vcc
	v_lshlrev_b32_e32 v9, 2, v1
	ds_read2st64_b32 v[1:2], v4 offset1:1
	v_xor_b32_e32 v10, 8, v3
	v_cmp_lt_i32_e32 vcc, v10, v7
	v_cndmask_b32_e32 v10, v3, v10, vcc
	v_lshlrev_b32_e32 v10, 2, v10
	s_waitcnt lgkmcnt(0)
	v_add_f32_e32 v1, v5, v1
	v_add_f32_e32 v2, v6, v2
	ds_bpermute_b32 v5, v8, v1
	ds_bpermute_b32 v6, v8, v2
	v_xor_b32_e32 v11, 4, v3
	v_cmp_lt_i32_e32 vcc, v11, v7
	v_cndmask_b32_e32 v8, v3, v11, vcc
	s_waitcnt lgkmcnt(1)
	v_add_f32_e32 v1, v1, v5
	s_waitcnt lgkmcnt(0)
	v_add_f32_e32 v2, v2, v6
	ds_bpermute_b32 v5, v9, v1
	ds_bpermute_b32 v6, v9, v2
	v_lshlrev_b32_e32 v8, 2, v8
	v_xor_b32_e32 v9, 2, v3
	v_cmp_lt_i32_e32 vcc, v9, v7
	s_waitcnt lgkmcnt(1)
	v_add_f32_e32 v1, v1, v5
	s_waitcnt lgkmcnt(0)
	v_add_f32_e32 v2, v2, v6
	ds_bpermute_b32 v5, v10, v1
	ds_bpermute_b32 v6, v10, v2
	v_cndmask_b32_e32 v9, v3, v9, vcc
	s_load_dword s0, s[4:5], 0x58
	s_mov_b32 s3, 0
	s_waitcnt lgkmcnt(0)
	v_add_f32_e32 v1, v1, v5
	v_add_f32_e32 v2, v2, v6
	ds_bpermute_b32 v5, v8, v1
	ds_bpermute_b32 v6, v8, v2
	v_lshlrev_b32_e32 v8, 2, v9
	v_xor_b32_e32 v9, 1, v3
	v_cmp_lt_i32_e32 vcc, v9, v7
	s_waitcnt lgkmcnt(1)
	v_add_f32_e32 v1, v1, v5
	s_waitcnt lgkmcnt(0)
	v_add_f32_e32 v6, v2, v6
	ds_bpermute_b32 v5, v8, v1
	ds_bpermute_b32 v8, v8, v6
	v_cndmask_b32_e32 v2, v3, v9, vcc
	v_lshlrev_b32_e32 v7, 2, v2
	s_waitcnt lgkmcnt(1)
	v_add_f32_e32 v1, v1, v5
	s_waitcnt lgkmcnt(0)
	v_add_f32_e32 v3, v6, v8
	ds_bpermute_b32 v2, v7, v1
	ds_bpermute_b32 v5, v7, v3
	v_or_b32_e32 v6, s9, v0
	v_cmp_gt_u32_e32 vcc, s0, v6
	v_cmp_gt_u32_e64 s[0:1], 2, v0
	s_and_b64 s[0:1], s[0:1], vcc
	s_and_b64 exec, exec, s[0:1]
	s_cbranch_execz .LBB14_16
; %bb.15:
	s_load_dwordx2 s[0:1], s[4:5], 0x38
	s_mul_i32 s2, s2, s10
	s_add_i32 s2, s2, s9
	s_mul_i32 s4, s14, s8
	s_add_i32 s2, s2, s4
	s_lshl_b64 s[2:3], s[2:3], 2
	s_waitcnt lgkmcnt(0)
	s_add_u32 s0, s0, s2
	v_add_f32_e32 v3, v3, v5
	v_add_f32_e32 v1, v1, v2
	v_cmp_eq_u32_e32 vcc, 1, v0
	s_addc_u32 s1, s1, s3
	v_cndmask_b32_e32 v0, v1, v3, vcc
	global_store_dword v4, v0, s[0:1]
.LBB14_16:
	s_endpgm
	.section	.rodata,"a",@progbits
	.p2align	6, 0x0
	.amdhsa_kernel _ZL13mul_mat_vec_qIL9ggml_type2ELi1ELb0ELb1EEvPKvS2_PKi31ggml_cuda_mm_fusion_args_devicePfj15HIP_vector_typeIjLj3EEjjjS8_jjjS8_jjjj
		.amdhsa_group_segment_fixed_size 512
		.amdhsa_private_segment_fixed_size 0
		.amdhsa_kernarg_size 144
		.amdhsa_user_sgpr_count 6
		.amdhsa_user_sgpr_private_segment_buffer 1
		.amdhsa_user_sgpr_dispatch_ptr 0
		.amdhsa_user_sgpr_queue_ptr 0
		.amdhsa_user_sgpr_kernarg_segment_ptr 1
		.amdhsa_user_sgpr_dispatch_id 0
		.amdhsa_user_sgpr_flat_scratch_init 0
		.amdhsa_user_sgpr_private_segment_size 0
		.amdhsa_uses_dynamic_stack 0
		.amdhsa_system_sgpr_private_segment_wavefront_offset 0
		.amdhsa_system_sgpr_workgroup_id_x 1
		.amdhsa_system_sgpr_workgroup_id_y 1
		.amdhsa_system_sgpr_workgroup_id_z 1
		.amdhsa_system_sgpr_workgroup_info 0
		.amdhsa_system_vgpr_workitem_id 1
		.amdhsa_next_free_vgpr 23
		.amdhsa_next_free_sgpr 24
		.amdhsa_reserve_vcc 1
		.amdhsa_reserve_flat_scratch 0
		.amdhsa_float_round_mode_32 0
		.amdhsa_float_round_mode_16_64 0
		.amdhsa_float_denorm_mode_32 3
		.amdhsa_float_denorm_mode_16_64 3
		.amdhsa_dx10_clamp 1
		.amdhsa_ieee_mode 1
		.amdhsa_fp16_overflow 0
		.amdhsa_exception_fp_ieee_invalid_op 0
		.amdhsa_exception_fp_denorm_src 0
		.amdhsa_exception_fp_ieee_div_zero 0
		.amdhsa_exception_fp_ieee_overflow 0
		.amdhsa_exception_fp_ieee_underflow 0
		.amdhsa_exception_fp_ieee_inexact 0
		.amdhsa_exception_int_div_zero 0
	.end_amdhsa_kernel
	.section	.text._ZL13mul_mat_vec_qIL9ggml_type2ELi1ELb0ELb1EEvPKvS2_PKi31ggml_cuda_mm_fusion_args_devicePfj15HIP_vector_typeIjLj3EEjjjS8_jjjS8_jjjj,"axG",@progbits,_ZL13mul_mat_vec_qIL9ggml_type2ELi1ELb0ELb1EEvPKvS2_PKi31ggml_cuda_mm_fusion_args_devicePfj15HIP_vector_typeIjLj3EEjjjS8_jjjS8_jjjj,comdat
.Lfunc_end14:
	.size	_ZL13mul_mat_vec_qIL9ggml_type2ELi1ELb0ELb1EEvPKvS2_PKi31ggml_cuda_mm_fusion_args_devicePfj15HIP_vector_typeIjLj3EEjjjS8_jjjS8_jjjj, .Lfunc_end14-_ZL13mul_mat_vec_qIL9ggml_type2ELi1ELb0ELb1EEvPKvS2_PKi31ggml_cuda_mm_fusion_args_devicePfj15HIP_vector_typeIjLj3EEjjjS8_jjjS8_jjjj
                                        ; -- End function
	.set _ZL13mul_mat_vec_qIL9ggml_type2ELi1ELb0ELb1EEvPKvS2_PKi31ggml_cuda_mm_fusion_args_devicePfj15HIP_vector_typeIjLj3EEjjjS8_jjjS8_jjjj.num_vgpr, 23
	.set _ZL13mul_mat_vec_qIL9ggml_type2ELi1ELb0ELb1EEvPKvS2_PKi31ggml_cuda_mm_fusion_args_devicePfj15HIP_vector_typeIjLj3EEjjjS8_jjjS8_jjjj.num_agpr, 0
	.set _ZL13mul_mat_vec_qIL9ggml_type2ELi1ELb0ELb1EEvPKvS2_PKi31ggml_cuda_mm_fusion_args_devicePfj15HIP_vector_typeIjLj3EEjjjS8_jjjS8_jjjj.numbered_sgpr, 24
	.set _ZL13mul_mat_vec_qIL9ggml_type2ELi1ELb0ELb1EEvPKvS2_PKi31ggml_cuda_mm_fusion_args_devicePfj15HIP_vector_typeIjLj3EEjjjS8_jjjS8_jjjj.num_named_barrier, 0
	.set _ZL13mul_mat_vec_qIL9ggml_type2ELi1ELb0ELb1EEvPKvS2_PKi31ggml_cuda_mm_fusion_args_devicePfj15HIP_vector_typeIjLj3EEjjjS8_jjjS8_jjjj.private_seg_size, 0
	.set _ZL13mul_mat_vec_qIL9ggml_type2ELi1ELb0ELb1EEvPKvS2_PKi31ggml_cuda_mm_fusion_args_devicePfj15HIP_vector_typeIjLj3EEjjjS8_jjjS8_jjjj.uses_vcc, 1
	.set _ZL13mul_mat_vec_qIL9ggml_type2ELi1ELb0ELb1EEvPKvS2_PKi31ggml_cuda_mm_fusion_args_devicePfj15HIP_vector_typeIjLj3EEjjjS8_jjjS8_jjjj.uses_flat_scratch, 0
	.set _ZL13mul_mat_vec_qIL9ggml_type2ELi1ELb0ELb1EEvPKvS2_PKi31ggml_cuda_mm_fusion_args_devicePfj15HIP_vector_typeIjLj3EEjjjS8_jjjS8_jjjj.has_dyn_sized_stack, 0
	.set _ZL13mul_mat_vec_qIL9ggml_type2ELi1ELb0ELb1EEvPKvS2_PKi31ggml_cuda_mm_fusion_args_devicePfj15HIP_vector_typeIjLj3EEjjjS8_jjjS8_jjjj.has_recursion, 0
	.set _ZL13mul_mat_vec_qIL9ggml_type2ELi1ELb0ELb1EEvPKvS2_PKi31ggml_cuda_mm_fusion_args_devicePfj15HIP_vector_typeIjLj3EEjjjS8_jjjS8_jjjj.has_indirect_call, 0
	.section	.AMDGPU.csdata,"",@progbits
; Kernel info:
; codeLenInByte = 1224
; TotalNumSgprs: 28
; NumVgprs: 23
; ScratchSize: 0
; MemoryBound: 0
; FloatMode: 240
; IeeeMode: 1
; LDSByteSize: 512 bytes/workgroup (compile time only)
; SGPRBlocks: 3
; VGPRBlocks: 5
; NumSGPRsForWavesPerEU: 28
; NumVGPRsForWavesPerEU: 23
; Occupancy: 10
; WaveLimiterHint : 0
; COMPUTE_PGM_RSRC2:SCRATCH_EN: 0
; COMPUTE_PGM_RSRC2:USER_SGPR: 6
; COMPUTE_PGM_RSRC2:TRAP_HANDLER: 0
; COMPUTE_PGM_RSRC2:TGID_X_EN: 1
; COMPUTE_PGM_RSRC2:TGID_Y_EN: 1
; COMPUTE_PGM_RSRC2:TGID_Z_EN: 1
; COMPUTE_PGM_RSRC2:TIDIG_COMP_CNT: 1
	.section	.text._ZL13mul_mat_vec_qIL9ggml_type2ELi1ELb1ELb0EEvPKvS2_PKi31ggml_cuda_mm_fusion_args_devicePfj15HIP_vector_typeIjLj3EEjjjS8_jjjS8_jjjj,"axG",@progbits,_ZL13mul_mat_vec_qIL9ggml_type2ELi1ELb1ELb0EEvPKvS2_PKi31ggml_cuda_mm_fusion_args_devicePfj15HIP_vector_typeIjLj3EEjjjS8_jjjS8_jjjj,comdat
	.globl	_ZL13mul_mat_vec_qIL9ggml_type2ELi1ELb1ELb0EEvPKvS2_PKi31ggml_cuda_mm_fusion_args_devicePfj15HIP_vector_typeIjLj3EEjjjS8_jjjS8_jjjj ; -- Begin function _ZL13mul_mat_vec_qIL9ggml_type2ELi1ELb1ELb0EEvPKvS2_PKi31ggml_cuda_mm_fusion_args_devicePfj15HIP_vector_typeIjLj3EEjjjS8_jjjS8_jjjj
	.p2align	8
	.type	_ZL13mul_mat_vec_qIL9ggml_type2ELi1ELb1ELb0EEvPKvS2_PKi31ggml_cuda_mm_fusion_args_devicePfj15HIP_vector_typeIjLj3EEjjjS8_jjjS8_jjjj,@function
_ZL13mul_mat_vec_qIL9ggml_type2ELi1ELb1ELb0EEvPKvS2_PKi31ggml_cuda_mm_fusion_args_devicePfj15HIP_vector_typeIjLj3EEjjjS8_jjjS8_jjjj: ; @_ZL13mul_mat_vec_qIL9ggml_type2ELi1ELb1ELb0EEvPKvS2_PKi31ggml_cuda_mm_fusion_args_devicePfj15HIP_vector_typeIjLj3EEjjjS8_jjjS8_jjjj
; %bb.0:
	s_load_dwordx8 s[16:23], s[4:5], 0x0
	s_load_dwordx4 s[36:39], s[4:5], 0x20
	s_load_dwordx4 s[12:15], s[4:5], 0x40
	;; [unrolled: 1-line block ×3, first 2 shown]
	s_mov_b32 s34, s7
	s_waitcnt lgkmcnt(0)
	s_cmp_lg_u64 s[20:21], 0
	s_cselect_b64 s[0:1], -1, 0
	s_cmp_eq_u64 s[20:21], 0
	s_mov_b64 s[2:3], 0
	s_cbranch_scc1 .LBB15_5
; %bb.1:
	s_mov_b32 s35, 0
	s_lshl_b64 s[10:11], s[34:35], 2
	s_add_u32 s10, s20, s10
	s_addc_u32 s11, s21, s11
	s_load_dword s9, s[10:11], 0x0
	s_load_dword s33, s[4:5], 0x50
	;; [unrolled: 1-line block ×3, first 2 shown]
	s_andn2_b64 vcc, exec, s[2:3]
	s_cbranch_vccnz .LBB15_3
.LBB15_2:
	s_load_dwordx2 s[2:3], s[4:5], 0x5c
	s_waitcnt lgkmcnt(0)
	s_mul_hi_u32 s2, s2, s34
	s_add_i32 s2, s34, s2
	s_lshr_b32 s9, s2, s3
.LBB15_3:
	s_andn2_b64 vcc, exec, s[0:1]
	s_cbranch_vccnz .LBB15_6
; %bb.4:
	s_mul_hi_u32 s0, s13, s34
	s_add_i32 s0, s34, s0
	s_lshr_b32 s0, s0, s14
	s_mul_i32 s0, s0, s15
	s_sub_i32 s40, s34, s0
	s_waitcnt lgkmcnt(0)
	s_mov_b32 s2, s9
	s_branch .LBB15_7
.LBB15_5:
                                        ; implicit-def: $sgpr9
	s_load_dword s33, s[4:5], 0x50
	s_load_dword s35, s[4:5], 0x78
	s_branch .LBB15_2
.LBB15_6:
	s_mov_b32 s2, s34
	s_mov_b32 s40, s34
.LBB15_7:
	s_load_dwordx4 s[28:31], s[4:5], 0x80
	s_cmp_lg_u64 s[22:23], 0
	v_or_b32_e32 v2, v0, v1
	s_cselect_b64 s[0:1], -1, 0
	v_cmp_eq_u32_e32 vcc, 0, v2
	s_mov_b32 s15, 0
	s_and_b64 s[20:21], s[0:1], vcc
	v_mov_b32_e32 v11, 0
	s_mul_i32 s10, s2, s26
	v_lshlrev_b32_e32 v10, 2, v0
	v_mov_b32_e32 v12, 0
	s_and_saveexec_b64 s[2:3], s[20:21]
	s_cbranch_execz .LBB15_9
; %bb.8:
	s_waitcnt lgkmcnt(0)
	s_mul_i32 s14, s30, s8
	s_lshl_b64 s[20:21], s[14:15], 2
	s_add_u32 s7, s22, s20
	s_mov_b32 s11, s15
	s_addc_u32 s13, s23, s21
	s_lshl_b64 s[14:15], s[10:11], 2
	s_add_u32 s11, s7, s14
	s_addc_u32 s13, s13, s15
	s_ashr_i32 s7, s6, 31
	s_lshl_b64 s[14:15], s[6:7], 2
	s_add_u32 s14, s11, s14
	s_addc_u32 s15, s13, s15
	global_load_dword v12, v10, s[14:15]
.LBB15_9:
	s_or_b64 exec, exec, s[2:3]
	s_cmp_lg_u64 s[36:37], 0
	s_cselect_b64 s[14:15], -1, 0
	s_cmp_lg_u64 s[38:39], 0
	s_cselect_b64 s[2:3], -1, 0
	s_and_b64 s[20:21], s[2:3], s[14:15]
	s_and_b64 s[22:23], s[20:21], vcc
	s_and_saveexec_b64 s[20:21], s[22:23]
	s_cbranch_execz .LBB15_11
; %bb.10:
	s_waitcnt lgkmcnt(0)
	s_mul_i32 s22, s30, s8
	s_mov_b32 s23, 0
	s_lshl_b64 s[42:43], s[22:23], 2
	s_add_u32 s7, s38, s42
	s_mov_b32 s11, s23
	s_addc_u32 s13, s39, s43
	s_lshl_b64 s[10:11], s[10:11], 2
	s_add_u32 s22, s7, s10
	s_addc_u32 s13, s13, s11
	s_ashr_i32 s7, s6, 31
	s_lshl_b64 s[10:11], s[6:7], 2
	s_add_u32 s10, s22, s10
	s_addc_u32 s11, s13, s11
	global_load_dword v11, v10, s[10:11]
.LBB15_11:
	s_or_b64 exec, exec, s[20:21]
	v_lshlrev_b32_e32 v2, 6, v1
	v_add_u16_e32 v3, v2, v0
	s_lshr_b32 s7, s12, 5
	v_lshrrev_b16_e32 v15, 1, v3
	v_cndmask_b32_e64 v3, 0, 1, s[14:15]
	v_cmp_gt_u32_e32 vcc, s7, v15
	v_mov_b32_e32 v14, 0
	v_cmp_ne_u32_e64 s[12:13], 1, v3
	v_mov_b32_e32 v13, 0
	s_and_saveexec_b64 s[20:21], vcc
	s_cbranch_execz .LBB15_17
; %bb.12:
	s_mul_hi_u32 s22, s27, s8
	s_add_i32 s22, s8, s22
	s_waitcnt lgkmcnt(0)
	s_lshr_b32 s22, s22, s35
	s_mul_i32 s33, s33, s6
	s_mul_i32 s22, s22, s28
	;; [unrolled: 1-line block ×4, first 2 shown]
	s_add_i32 s22, s22, s33
	s_add_i32 s9, s9, s22
	s_mul_hi_u32 s23, s10, 36
	s_mul_i32 s10, s10, 36
	s_mul_i32 s11, s40, s25
	s_add_u32 s10, s18, s10
	s_mul_hi_u32 s22, s11, 36
	s_mul_i32 s11, s11, 36
	s_addc_u32 s18, s19, s23
	v_add_u32_e32 v2, v2, v0
	s_add_u32 s10, s10, s11
	v_and_b32_e32 v3, 1, v0
	v_lshrrev_b32_e32 v2, 1, v2
	s_addc_u32 s11, s18, s22
	v_lshlrev_b32_e32 v16, 3, v3
	v_mad_u64_u32 v[2:3], s[10:11], v2, 36, s[10:11]
	v_and_b32_e32 v4, 4, v10
	v_mov_b32_e32 v14, 0
	s_mov_b64 s[18:19], 0
	v_lshlrev_b32_e32 v17, 1, v4
	v_mov_b32_e32 v13, 0
	s_branch .LBB15_14
.LBB15_13:                              ;   in Loop: Header=BB15_14 Depth=1
	s_waitcnt vmcnt(1)
	v_and_b32_e32 v21, 0xf0f0f0f, v8
	v_lshrrev_b32_e32 v8, 4, v8
	v_and_b32_e32 v8, 0xf0f0f0f, v8
	v_dot4_i32_i8 v4, v21, v4, 0
	v_dot4_i32_i8 v4, v8, v6, v4
	v_and_b32_e32 v6, 0xf0f0f0f, v9
	v_lshrrev_b32_e32 v8, 4, v9
	v_and_b32_e32 v8, 0xf0f0f0f, v8
	v_dot4_i32_i8 v4, v6, v5, v4
	v_dot4_i32_i8 v4, v8, v7, v4
	v_cvt_f32_i32_e32 v4, v4
	v_add_u32_e32 v15, 64, v15
	v_add_co_u32_e32 v2, vcc, 0x900, v2
	v_fma_f32 v4, v4, v19, -v20
	v_cmp_le_u32_e64 s[10:11], s7, v15
	s_waitcnt vmcnt(0)
	v_fma_mix_f32 v14, v4, v18, v14 op_sel_hi:[0,1,0]
	s_or_b64 s[18:19], s[10:11], s[18:19]
	v_addc_co_u32_e32 v3, vcc, 0, v3, vcc
	s_andn2_b64 exec, exec, s[18:19]
	s_cbranch_execz .LBB15_16
.LBB15_14:                              ; =>This Inner Loop Header: Depth=1
	v_add_u32_e32 v21, s9, v15
	v_add_co_u32_e32 v8, vcc, v2, v16
	v_mad_i64_i32 v[19:20], s[10:11], v21, 18, s[16:17]
	v_addc_co_u32_e32 v9, vcc, 0, v3, vcc
	global_load_dwordx2 v[4:5], v[8:9], off offset:4
	global_load_dwordx2 v[6:7], v[8:9], off offset:20
	global_load_dword v24, v[2:3], off
	v_add_co_u32_e32 v22, vcc, v19, v17
	v_addc_co_u32_e32 v23, vcc, 0, v20, vcc
	global_load_dwordx2 v[8:9], v[22:23], off offset:2
	global_load_ushort v18, v[19:20], off
	s_and_b64 vcc, exec, s[12:13]
	s_waitcnt vmcnt(2)
	v_cvt_f32_f16_sdwa v20, v24 dst_sel:DWORD dst_unused:UNUSED_PAD src0_sel:WORD_1
	v_cvt_f32_f16_e32 v19, v24
	v_mul_f32_e32 v20, 4.0, v20
	s_cbranch_vccnz .LBB15_13
; %bb.15:                               ;   in Loop: Header=BB15_14 Depth=1
	v_mad_i64_i32 v[21:22], s[10:11], v21, 18, s[36:37]
	v_add_co_u32_e32 v23, vcc, v21, v17
	v_addc_co_u32_e32 v24, vcc, 0, v22, vcc
	global_load_dwordx2 v[25:26], v[23:24], off offset:2
	global_load_ushort v27, v[21:22], off
	s_waitcnt vmcnt(1)
	v_and_b32_e32 v21, 0xf0f0f0f, v25
	v_lshrrev_b32_e32 v22, 4, v25
	v_and_b32_e32 v22, 0xf0f0f0f, v22
	v_dot4_i32_i8 v21, v21, v4, 0
	v_and_b32_e32 v23, 0xf0f0f0f, v26
	v_lshrrev_b32_e32 v24, 4, v26
	v_dot4_i32_i8 v21, v22, v6, v21
	v_and_b32_e32 v22, 0xf0f0f0f, v24
	v_dot4_i32_i8 v21, v23, v5, v21
	v_dot4_i32_i8 v21, v22, v7, v21
	v_cvt_f32_i32_e32 v21, v21
	v_fma_f32 v21, v19, v21, -v20
	s_waitcnt vmcnt(0)
	v_fma_mix_f32 v13, v21, v27, v13 op_sel_hi:[0,1,0]
	s_branch .LBB15_13
.LBB15_16:
	s_or_b64 exec, exec, s[18:19]
.LBB15_17:
	s_or_b64 exec, exec, s[20:21]
	s_load_dword s7, s[4:5], 0x30
	v_cmp_eq_u32_e64 s[10:11], 0, v1
	v_cmp_ne_u32_e32 vcc, 0, v1
	s_and_saveexec_b64 s[16:17], vcc
	s_cbranch_execz .LBB15_21
; %bb.18:
	s_and_b64 vcc, exec, s[14:15]
	s_cbranch_vccz .LBB15_20
; %bb.19:
	v_lshl_add_u32 v2, v1, 8, v10
	ds_write_b32 v2, v13
.LBB15_20:
	v_lshlrev_b32_e32 v1, 8, v1
	s_waitcnt lgkmcnt(0)
	s_movk_i32 s9, 0xff00
	v_add3_u32 v1, v1, v10, s9
	ds_write_b32 v1, v14
.LBB15_21:
	s_or_b64 exec, exec, s[16:17]
	s_waitcnt vmcnt(0) lgkmcnt(0)
	s_barrier
	s_and_saveexec_b64 s[14:15], s[10:11]
	s_cbranch_execz .LBB15_50
; %bb.22:
	ds_read_b32 v2, v10
	s_and_b64 vcc, exec, s[12:13]
	s_cbranch_vccnz .LBB15_24
; %bb.23:
	ds_read_b32 v1, v10 offset:256
	s_waitcnt lgkmcnt(0)
	v_add_f32_e32 v13, v13, v1
.LBB15_24:
	v_mbcnt_lo_u32_b32 v1, -1, 0
	v_mbcnt_hi_u32_b32 v3, -1, v1
	v_and_b32_e32 v1, 64, v3
	v_add_u32_e32 v4, 64, v1
	v_xor_b32_e32 v1, 32, v3
	v_cmp_lt_i32_e32 vcc, v1, v4
	v_cndmask_b32_e32 v1, v3, v1, vcc
	v_lshlrev_b32_e32 v1, 2, v1
	s_waitcnt lgkmcnt(0)
	v_add_f32_e32 v5, v14, v2
	ds_bpermute_b32 v6, v1, v5
	v_xor_b32_e32 v2, 16, v3
	v_cmp_lt_i32_e32 vcc, v2, v4
	v_cndmask_b32_e32 v2, v3, v2, vcc
	v_lshlrev_b32_e32 v2, 2, v2
	s_waitcnt lgkmcnt(0)
	v_add_f32_e32 v6, v5, v6
	ds_bpermute_b32 v7, v2, v6
	;; [unrolled: 7-line block ×6, first 2 shown]
	s_and_b64 vcc, exec, s[12:13]
	s_cbranch_vccnz .LBB15_26
; %bb.25:
	ds_bpermute_b32 v1, v1, v13
	s_waitcnt lgkmcnt(0)
	v_add_f32_e32 v1, v13, v1
	ds_bpermute_b32 v2, v2, v1
	s_waitcnt lgkmcnt(0)
	v_add_f32_e32 v1, v1, v2
	;; [unrolled: 3-line block ×6, first 2 shown]
.LBB15_26:
	v_cmp_eq_u32_e32 vcc, 0, v0
	s_and_b64 exec, exec, vcc
	s_cbranch_execz .LBB15_50
; %bb.27:
	s_waitcnt lgkmcnt(0)
	v_add_f32_e32 v0, v3, v4
	v_add_f32_e32 v1, v12, v0
	s_and_b64 vcc, exec, s[12:13]
	v_cndmask_b32_e64 v0, v0, v1, s[0:1]
	s_cbranch_vccnz .LBB15_49
; %bb.28:
	v_add_f32_e32 v1, v11, v13
	v_cndmask_b32_e64 v1, v13, v1, s[2:3]
	s_cmp_lt_i32 s7, 2
	s_mov_b64 s[0:1], 0
	s_cbranch_scc1 .LBB15_32
; %bb.29:
	s_cmp_gt_i32 s7, 2
	s_cbranch_scc0 .LBB15_33
; %bb.30:
	s_cmp_eq_u32 s7, 3
	s_cbranch_scc0 .LBB15_34
; %bb.31:
	v_max_f32_e32 v2, v1, v1
	v_min_f32_e32 v2, 0x40e00000, v2
	v_mul_f32_e32 v3, 0xbfd9db23, v2
	s_mov_b32 s2, 0x3fb8aa3b
	v_mul_f32_e32 v4, 0x3fb8aa3b, v3
	v_fma_f32 v5, v3, s2, -v4
	v_rndne_f32_e32 v6, v4
	v_fmac_f32_e32 v5, 0x32a5705f, v3
	v_sub_f32_e32 v4, v4, v6
	v_add_f32_e32 v4, v4, v5
	v_exp_f32_e32 v4, v4
	v_cvt_i32_f32_e32 v5, v6
	s_mov_b32 s2, 0xc2ce8ed0
	v_cmp_ngt_f32_e32 vcc, s2, v3
	s_mov_b32 s2, 0x42b17218
	v_ldexp_f32 v4, v4, v5
	v_cndmask_b32_e32 v4, 0, v4, vcc
	v_mov_b32_e32 v5, 0x7f800000
	v_cmp_nlt_f32_e32 vcc, s2, v3
	v_cndmask_b32_e32 v3, v5, v4, vcc
	v_add_f32_e32 v3, 1.0, v3
	v_div_scale_f32 v4, s[2:3], v3, v3, v2
	v_div_scale_f32 v5, vcc, v2, v3, v2
	s_mov_b64 s[2:3], 0
	v_rcp_f32_e32 v6, v4
	v_fma_f32 v7, -v4, v6, 1.0
	v_fmac_f32_e32 v6, v7, v6
	v_mul_f32_e32 v7, v5, v6
	v_fma_f32 v8, -v4, v7, v5
	v_fmac_f32_e32 v7, v8, v6
	v_fma_f32 v4, -v4, v7, v5
	v_div_fmas_f32 v4, v4, v6, v7
	v_max_f32_e32 v5, v0, v0
	v_min_f32_e32 v5, 0x40e00000, v5
	v_max_f32_e32 v5, 0xc0e00000, v5
	v_add_f32_e32 v5, 1.0, v5
	v_div_fixup_f32 v2, v4, v3, v2
	v_mul_f32_e32 v2, v5, v2
	s_branch .LBB15_35
.LBB15_32:
                                        ; implicit-def: $vgpr2
	s_mov_b64 s[2:3], 0
	s_cbranch_execnz .LBB15_39
	s_branch .LBB15_40
.LBB15_33:
	s_mov_b64 s[10:11], -1
	s_mov_b64 s[2:3], 0
                                        ; implicit-def: $vgpr2
	s_branch .LBB15_36
.LBB15_34:
	s_mov_b64 s[2:3], -1
                                        ; implicit-def: $vgpr2
.LBB15_35:
	s_mov_b64 s[10:11], 0
.LBB15_36:
	s_and_b64 vcc, exec, s[10:11]
	s_cbranch_vccz .LBB15_38
; %bb.37:
	v_mul_f32_e32 v2, 0xbfb8aa3b, v1
	s_mov_b32 s9, 0xbfb8aa3b
	v_rndne_f32_e32 v3, v2
	v_sub_f32_e32 v4, v2, v3
	v_fma_f32 v2, v1, s9, -v2
	v_fmac_f32_e32 v2, 0xb2a5705f, v1
	v_add_f32_e32 v2, v4, v2
	v_exp_f32_e32 v2, v2
	v_cvt_i32_f32_e32 v3, v3
	s_mov_b32 s9, 0x42ce8ed0
	v_cmp_nlt_f32_e32 vcc, s9, v1
	s_mov_b32 s9, 0xc2b17218
	v_ldexp_f32 v2, v2, v3
	v_cndmask_b32_e32 v2, 0, v2, vcc
	v_mov_b32_e32 v3, 0x7f800000
	v_cmp_ngt_f32_e32 vcc, s9, v1
	v_cndmask_b32_e32 v2, v3, v2, vcc
	v_add_f32_e32 v2, 1.0, v2
	v_div_scale_f32 v3, s[10:11], v2, v2, v1
	v_div_scale_f32 v4, vcc, v1, v2, v1
	v_rcp_f32_e32 v5, v3
	v_fma_f32 v6, -v3, v5, 1.0
	v_fmac_f32_e32 v5, v6, v5
	v_mul_f32_e32 v6, v4, v5
	v_fma_f32 v7, -v3, v6, v4
	v_fmac_f32_e32 v6, v7, v5
	v_fma_f32 v3, -v3, v6, v4
	v_div_fmas_f32 v3, v3, v5, v6
	v_div_fixup_f32 v2, v3, v2, v1
	v_mul_f32_e32 v2, v0, v2
.LBB15_38:
	s_branch .LBB15_40
.LBB15_39:
	s_cmp_lg_u32 s7, 1
	s_mov_b64 s[0:1], -1
	s_cselect_b64 s[2:3], -1, 0
.LBB15_40:
	s_andn2_b64 vcc, exec, s[2:3]
	s_cbranch_vccz .LBB15_42
; %bb.41:
	s_andn2_b64 vcc, exec, s[0:1]
	s_cbranch_vccz .LBB15_43
	s_branch .LBB15_48
.LBB15_42:
	v_mul_f32_e32 v2, v1, v0
	s_cbranch_execnz .LBB15_48
.LBB15_43:
	v_mul_f32_e32 v3, 0x3d372713, v1
	v_mul_f32_e32 v2, 0x3f4c422a, v1
	v_fma_f32 v3, v1, v3, 1.0
	v_mul_f32_e32 v2, v2, v3
	s_mov_b32 s0, 0x3f200000
	v_cmp_nlt_f32_e64 s[0:1], |v2|, s0
                                        ; implicit-def: $vgpr3
	s_and_saveexec_b64 s[2:3], s[0:1]
	s_xor_b64 s[0:1], exec, s[2:3]
	s_cbranch_execz .LBB15_45
; %bb.44:
	v_add_f32_e64 v3, |v2|, |v2|
	v_mul_f32_e32 v4, 0x3fb8aa3b, v3
	s_mov_b32 s2, 0x3fb8aa3b
	v_rndne_f32_e32 v5, v4
	v_sub_f32_e32 v6, v4, v5
	v_fma_f32 v4, v3, s2, -v4
	v_fmac_f32_e32 v4, 0x32a5705f, v3
	v_add_f32_e32 v4, v6, v4
	v_exp_f32_e32 v4, v4
	v_cvt_i32_f32_e32 v5, v5
	s_mov_b32 s2, 0xc2ce8ed0
	v_cmp_ngt_f32_e32 vcc, s2, v3
	s_mov_b32 s2, 0x42b17218
	v_ldexp_f32 v4, v4, v5
	v_cndmask_b32_e32 v4, 0, v4, vcc
	v_mov_b32_e32 v5, 0x7f800000
	v_cmp_nlt_f32_e32 vcc, s2, v3
	v_cndmask_b32_e32 v3, v5, v4, vcc
	v_add_f32_e32 v3, 1.0, v3
	v_rcp_f32_e32 v3, v3
	v_fma_f32 v3, v3, -2.0, 1.0
.LBB15_45:
	s_andn2_saveexec_b64 s[0:1], s[0:1]
	s_cbranch_execz .LBB15_47
; %bb.46:
	v_mul_f32_e32 v3, v2, v2
	v_mov_b32_e32 v4, 0x3ca908c9
	v_fmac_f32_e32 v4, 0xbbbac73d, v3
	v_mov_b32_e32 v5, 0xbd5c1c4e
	v_fmac_f32_e32 v5, v3, v4
	;; [unrolled: 2-line block ×4, first 2 shown]
	v_mul_f32_e64 v4, |v2|, v5
	v_fma_f32 v3, v3, v4, |v2|
.LBB15_47:
	s_or_b64 exec, exec, s[0:1]
	s_brev_b32 s0, -2
	v_bfi_b32 v2, s0, v3, v2
	v_mul_f32_e32 v1, 0.5, v1
	v_add_f32_e32 v2, 1.0, v2
	v_mul_f32_e32 v1, v1, v2
	v_mul_f32_e32 v2, v0, v1
.LBB15_48:
	v_mov_b32_e32 v0, v2
.LBB15_49:
	s_load_dwordx2 s[0:1], s[4:5], 0x38
	s_mul_i32 s3, s26, s34
	s_mul_i32 s2, s30, s8
	s_add_i32 s3, s3, s6
	s_add_i32 s2, s3, s2
	s_mov_b32 s3, 0
	s_lshl_b64 s[2:3], s[2:3], 2
	s_waitcnt lgkmcnt(0)
	s_add_u32 s0, s0, s2
	s_addc_u32 s1, s1, s3
	global_store_dword v10, v0, s[0:1]
.LBB15_50:
	s_endpgm
	.section	.rodata,"a",@progbits
	.p2align	6, 0x0
	.amdhsa_kernel _ZL13mul_mat_vec_qIL9ggml_type2ELi1ELb1ELb0EEvPKvS2_PKi31ggml_cuda_mm_fusion_args_devicePfj15HIP_vector_typeIjLj3EEjjjS8_jjjS8_jjjj
		.amdhsa_group_segment_fixed_size 512
		.amdhsa_private_segment_fixed_size 0
		.amdhsa_kernarg_size 144
		.amdhsa_user_sgpr_count 6
		.amdhsa_user_sgpr_private_segment_buffer 1
		.amdhsa_user_sgpr_dispatch_ptr 0
		.amdhsa_user_sgpr_queue_ptr 0
		.amdhsa_user_sgpr_kernarg_segment_ptr 1
		.amdhsa_user_sgpr_dispatch_id 0
		.amdhsa_user_sgpr_flat_scratch_init 0
		.amdhsa_user_sgpr_private_segment_size 0
		.amdhsa_uses_dynamic_stack 0
		.amdhsa_system_sgpr_private_segment_wavefront_offset 0
		.amdhsa_system_sgpr_workgroup_id_x 1
		.amdhsa_system_sgpr_workgroup_id_y 1
		.amdhsa_system_sgpr_workgroup_id_z 1
		.amdhsa_system_sgpr_workgroup_info 0
		.amdhsa_system_vgpr_workitem_id 1
		.amdhsa_next_free_vgpr 28
		.amdhsa_next_free_sgpr 44
		.amdhsa_reserve_vcc 1
		.amdhsa_reserve_flat_scratch 0
		.amdhsa_float_round_mode_32 0
		.amdhsa_float_round_mode_16_64 0
		.amdhsa_float_denorm_mode_32 3
		.amdhsa_float_denorm_mode_16_64 3
		.amdhsa_dx10_clamp 1
		.amdhsa_ieee_mode 1
		.amdhsa_fp16_overflow 0
		.amdhsa_exception_fp_ieee_invalid_op 0
		.amdhsa_exception_fp_denorm_src 0
		.amdhsa_exception_fp_ieee_div_zero 0
		.amdhsa_exception_fp_ieee_overflow 0
		.amdhsa_exception_fp_ieee_underflow 0
		.amdhsa_exception_fp_ieee_inexact 0
		.amdhsa_exception_int_div_zero 0
	.end_amdhsa_kernel
	.section	.text._ZL13mul_mat_vec_qIL9ggml_type2ELi1ELb1ELb0EEvPKvS2_PKi31ggml_cuda_mm_fusion_args_devicePfj15HIP_vector_typeIjLj3EEjjjS8_jjjS8_jjjj,"axG",@progbits,_ZL13mul_mat_vec_qIL9ggml_type2ELi1ELb1ELb0EEvPKvS2_PKi31ggml_cuda_mm_fusion_args_devicePfj15HIP_vector_typeIjLj3EEjjjS8_jjjS8_jjjj,comdat
.Lfunc_end15:
	.size	_ZL13mul_mat_vec_qIL9ggml_type2ELi1ELb1ELb0EEvPKvS2_PKi31ggml_cuda_mm_fusion_args_devicePfj15HIP_vector_typeIjLj3EEjjjS8_jjjS8_jjjj, .Lfunc_end15-_ZL13mul_mat_vec_qIL9ggml_type2ELi1ELb1ELb0EEvPKvS2_PKi31ggml_cuda_mm_fusion_args_devicePfj15HIP_vector_typeIjLj3EEjjjS8_jjjS8_jjjj
                                        ; -- End function
	.set _ZL13mul_mat_vec_qIL9ggml_type2ELi1ELb1ELb0EEvPKvS2_PKi31ggml_cuda_mm_fusion_args_devicePfj15HIP_vector_typeIjLj3EEjjjS8_jjjS8_jjjj.num_vgpr, 28
	.set _ZL13mul_mat_vec_qIL9ggml_type2ELi1ELb1ELb0EEvPKvS2_PKi31ggml_cuda_mm_fusion_args_devicePfj15HIP_vector_typeIjLj3EEjjjS8_jjjS8_jjjj.num_agpr, 0
	.set _ZL13mul_mat_vec_qIL9ggml_type2ELi1ELb1ELb0EEvPKvS2_PKi31ggml_cuda_mm_fusion_args_devicePfj15HIP_vector_typeIjLj3EEjjjS8_jjjS8_jjjj.numbered_sgpr, 44
	.set _ZL13mul_mat_vec_qIL9ggml_type2ELi1ELb1ELb0EEvPKvS2_PKi31ggml_cuda_mm_fusion_args_devicePfj15HIP_vector_typeIjLj3EEjjjS8_jjjS8_jjjj.num_named_barrier, 0
	.set _ZL13mul_mat_vec_qIL9ggml_type2ELi1ELb1ELb0EEvPKvS2_PKi31ggml_cuda_mm_fusion_args_devicePfj15HIP_vector_typeIjLj3EEjjjS8_jjjS8_jjjj.private_seg_size, 0
	.set _ZL13mul_mat_vec_qIL9ggml_type2ELi1ELb1ELb0EEvPKvS2_PKi31ggml_cuda_mm_fusion_args_devicePfj15HIP_vector_typeIjLj3EEjjjS8_jjjS8_jjjj.uses_vcc, 1
	.set _ZL13mul_mat_vec_qIL9ggml_type2ELi1ELb1ELb0EEvPKvS2_PKi31ggml_cuda_mm_fusion_args_devicePfj15HIP_vector_typeIjLj3EEjjjS8_jjjS8_jjjj.uses_flat_scratch, 0
	.set _ZL13mul_mat_vec_qIL9ggml_type2ELi1ELb1ELb0EEvPKvS2_PKi31ggml_cuda_mm_fusion_args_devicePfj15HIP_vector_typeIjLj3EEjjjS8_jjjS8_jjjj.has_dyn_sized_stack, 0
	.set _ZL13mul_mat_vec_qIL9ggml_type2ELi1ELb1ELb0EEvPKvS2_PKi31ggml_cuda_mm_fusion_args_devicePfj15HIP_vector_typeIjLj3EEjjjS8_jjjS8_jjjj.has_recursion, 0
	.set _ZL13mul_mat_vec_qIL9ggml_type2ELi1ELb1ELb0EEvPKvS2_PKi31ggml_cuda_mm_fusion_args_devicePfj15HIP_vector_typeIjLj3EEjjjS8_jjjS8_jjjj.has_indirect_call, 0
	.section	.AMDGPU.csdata,"",@progbits
; Kernel info:
; codeLenInByte = 2352
; TotalNumSgprs: 48
; NumVgprs: 28
; ScratchSize: 0
; MemoryBound: 0
; FloatMode: 240
; IeeeMode: 1
; LDSByteSize: 512 bytes/workgroup (compile time only)
; SGPRBlocks: 5
; VGPRBlocks: 6
; NumSGPRsForWavesPerEU: 48
; NumVGPRsForWavesPerEU: 28
; Occupancy: 9
; WaveLimiterHint : 0
; COMPUTE_PGM_RSRC2:SCRATCH_EN: 0
; COMPUTE_PGM_RSRC2:USER_SGPR: 6
; COMPUTE_PGM_RSRC2:TRAP_HANDLER: 0
; COMPUTE_PGM_RSRC2:TGID_X_EN: 1
; COMPUTE_PGM_RSRC2:TGID_Y_EN: 1
; COMPUTE_PGM_RSRC2:TGID_Z_EN: 1
; COMPUTE_PGM_RSRC2:TIDIG_COMP_CNT: 1
	.section	.text._ZL13mul_mat_vec_qIL9ggml_type2ELi1ELb0ELb0EEvPKvS2_PKi31ggml_cuda_mm_fusion_args_devicePfj15HIP_vector_typeIjLj3EEjjjS8_jjjS8_jjjj,"axG",@progbits,_ZL13mul_mat_vec_qIL9ggml_type2ELi1ELb0ELb0EEvPKvS2_PKi31ggml_cuda_mm_fusion_args_devicePfj15HIP_vector_typeIjLj3EEjjjS8_jjjS8_jjjj,comdat
	.globl	_ZL13mul_mat_vec_qIL9ggml_type2ELi1ELb0ELb0EEvPKvS2_PKi31ggml_cuda_mm_fusion_args_devicePfj15HIP_vector_typeIjLj3EEjjjS8_jjjS8_jjjj ; -- Begin function _ZL13mul_mat_vec_qIL9ggml_type2ELi1ELb0ELb0EEvPKvS2_PKi31ggml_cuda_mm_fusion_args_devicePfj15HIP_vector_typeIjLj3EEjjjS8_jjjS8_jjjj
	.p2align	8
	.type	_ZL13mul_mat_vec_qIL9ggml_type2ELi1ELb0ELb0EEvPKvS2_PKi31ggml_cuda_mm_fusion_args_devicePfj15HIP_vector_typeIjLj3EEjjjS8_jjjS8_jjjj,@function
_ZL13mul_mat_vec_qIL9ggml_type2ELi1ELb0ELb0EEvPKvS2_PKi31ggml_cuda_mm_fusion_args_devicePfj15HIP_vector_typeIjLj3EEjjjS8_jjjS8_jjjj: ; @_ZL13mul_mat_vec_qIL9ggml_type2ELi1ELb0ELb0EEvPKvS2_PKi31ggml_cuda_mm_fusion_args_devicePfj15HIP_vector_typeIjLj3EEjjjS8_jjjS8_jjjj
; %bb.0:
	s_load_dwordx2 s[0:1], s[4:5], 0x10
	s_load_dwordx4 s[16:19], s[4:5], 0x40
	s_mov_b32 s10, s7
	s_mov_b64 s[14:15], 0
	s_waitcnt lgkmcnt(0)
	s_cmp_lg_u64 s[0:1], 0
	s_cselect_b64 s[12:13], -1, 0
	s_cmp_eq_u64 s[0:1], 0
	s_cbranch_scc1 .LBB16_5
; %bb.1:
	s_mov_b32 s11, 0
	s_lshl_b64 s[2:3], s[10:11], 2
	s_add_u32 s0, s0, s2
	s_addc_u32 s1, s1, s3
	s_load_dword s9, s[0:1], 0x0
	s_nop 0
	s_load_dwordx4 s[0:3], s[4:5], 0x68
	s_load_dword s11, s[4:5], 0x50
	s_andn2_b64 vcc, exec, s[14:15]
	s_cbranch_vccnz .LBB16_3
.LBB16_2:
	s_load_dwordx2 s[14:15], s[4:5], 0x5c
	s_waitcnt lgkmcnt(0)
	s_mul_hi_u32 s7, s14, s10
	s_add_i32 s7, s10, s7
	s_lshr_b32 s9, s7, s15
.LBB16_3:
	s_load_dword s22, s[4:5], 0x78
	s_andn2_b64 vcc, exec, s[12:13]
	s_cbranch_vccnz .LBB16_6
; %bb.4:
	s_mul_hi_u32 s7, s17, s10
	s_add_i32 s7, s10, s7
	s_lshr_b32 s7, s7, s18
	s_mul_i32 s7, s7, s19
	s_sub_i32 s23, s10, s7
	s_branch .LBB16_7
.LBB16_5:
                                        ; implicit-def: $sgpr9
	s_load_dwordx4 s[0:3], s[4:5], 0x68
	s_load_dword s11, s[4:5], 0x50
	s_branch .LBB16_2
.LBB16_6:
	s_mov_b32 s23, s10
.LBB16_7:
	s_load_dwordx4 s[12:15], s[4:5], 0x80
	v_lshlrev_b32_e32 v2, 6, v1
	v_add_u16_e32 v3, v2, v0
	s_lshr_b32 s7, s16, 5
	v_lshrrev_b16_e32 v6, 1, v3
	v_cmp_gt_u32_e32 vcc, s7, v6
	v_mov_b32_e32 v4, 0
	v_lshlrev_b32_e32 v5, 2, v0
	s_and_saveexec_b64 s[20:21], vcc
	s_cbranch_execz .LBB16_11
; %bb.8:
	s_waitcnt lgkmcnt(0)
	s_mul_hi_u32 s3, s3, s8
	s_load_dwordx4 s[16:19], s[4:5], 0x0
	s_add_i32 s3, s8, s3
	s_lshr_b32 s3, s3, s22
	s_mul_i32 s11, s11, s6
	s_mul_i32 s3, s3, s12
	;; [unrolled: 1-line block ×4, first 2 shown]
	s_add_i32 s3, s3, s11
	s_add_i32 s3, s0, s3
	s_mul_hi_u32 s0, s13, 36
	s_mul_i32 s13, s13, 36
	s_mul_i32 s1, s23, s1
	s_waitcnt lgkmcnt(0)
	s_add_u32 s11, s18, s13
	s_mul_hi_u32 s9, s1, 36
	s_mul_i32 s1, s1, 36
	s_addc_u32 s12, s19, s0
	v_add_u32_e32 v2, v2, v0
	s_add_u32 s0, s11, s1
	v_lshrrev_b32_e32 v2, 1, v2
	s_addc_u32 s1, s12, s9
	v_mad_u64_u32 v[2:3], s[0:1], v2, 36, s[0:1]
	v_and_b32_e32 v8, 4, v5
	v_and_b32_e32 v7, 1, v0
	v_mov_b32_e32 v4, 0
	v_lshlrev_b32_e32 v7, 3, v7
	s_mov_b64 s[12:13], 0
	v_lshlrev_b32_e32 v8, 1, v8
.LBB16_9:                               ; =>This Inner Loop Header: Depth=1
	v_add_u32_e32 v11, s3, v6
	v_mad_i64_i32 v[11:12], s[0:1], v11, 18, s[16:17]
	v_add_co_u32_e32 v9, vcc, v2, v7
	v_addc_co_u32_e32 v10, vcc, 0, v3, vcc
	global_load_dwordx2 v[13:14], v[9:10], off offset:4
	global_load_dwordx2 v[15:16], v[9:10], off offset:20
	v_add_co_u32_e32 v9, vcc, v11, v8
	v_addc_co_u32_e32 v10, vcc, 0, v12, vcc
	global_load_dwordx2 v[17:18], v[9:10], off offset:2
	global_load_dword v19, v[2:3], off
	global_load_ushort v20, v[11:12], off
	v_add_u32_e32 v6, 64, v6
	v_add_co_u32_e32 v2, vcc, 0x900, v2
	v_cmp_le_u32_e64 s[0:1], s7, v6
	v_addc_co_u32_e32 v3, vcc, 0, v3, vcc
	s_or_b64 s[12:13], s[0:1], s[12:13]
	s_waitcnt vmcnt(2)
	v_and_b32_e32 v10, 0xf0f0f0f, v17
	v_lshrrev_b32_e32 v11, 4, v17
	v_and_b32_e32 v11, 0xf0f0f0f, v11
	v_dot4_i32_i8 v10, v10, v13, 0
	v_and_b32_e32 v12, 0xf0f0f0f, v18
	v_lshrrev_b32_e32 v17, 4, v18
	v_dot4_i32_i8 v10, v11, v15, v10
	v_and_b32_e32 v13, 0xf0f0f0f, v17
	v_dot4_i32_i8 v10, v12, v14, v10
	s_waitcnt vmcnt(1)
	v_cvt_f32_f16_sdwa v9, v19 dst_sel:DWORD dst_unused:UNUSED_PAD src0_sel:WORD_1
	v_dot4_i32_i8 v10, v13, v16, v10
	v_cvt_f32_i32_e32 v10, v10
	v_mul_f32_e32 v9, -4.0, v9
	v_fma_mix_f32 v9, v10, v19, v9 op_sel_hi:[0,1,0]
	s_waitcnt vmcnt(0)
	v_fma_mix_f32 v4, v9, v20, v4 op_sel_hi:[0,1,0]
	s_andn2_b64 exec, exec, s[12:13]
	s_cbranch_execnz .LBB16_9
; %bb.10:
	s_or_b64 exec, exec, s[12:13]
.LBB16_11:
	s_or_b64 exec, exec, s[20:21]
	v_cmp_eq_u32_e32 vcc, 0, v1
	s_waitcnt lgkmcnt(0)
	v_cmp_ne_u32_e64 s[0:1], 0, v1
	s_and_saveexec_b64 s[12:13], s[0:1]
; %bb.12:
	v_lshlrev_b32_e32 v1, 8, v1
	s_movk_i32 s0, 0xff00
	v_add3_u32 v1, v1, v5, s0
	ds_write_b32 v1, v4
; %bb.13:
	s_or_b64 exec, exec, s[12:13]
	s_waitcnt lgkmcnt(0)
	s_barrier
	s_and_saveexec_b64 s[0:1], vcc
	s_cbranch_execz .LBB16_16
; %bb.14:
	v_mbcnt_lo_u32_b32 v2, -1, 0
	ds_read_b32 v1, v5
	v_mbcnt_hi_u32_b32 v2, -1, v2
	v_and_b32_e32 v3, 64, v2
	v_add_u32_e32 v3, 64, v3
	v_xor_b32_e32 v5, 32, v2
	v_cmp_lt_i32_e32 vcc, v5, v3
	v_cndmask_b32_e32 v5, v2, v5, vcc
	v_lshlrev_b32_e32 v5, 2, v5
	s_waitcnt lgkmcnt(0)
	v_add_f32_e32 v1, v4, v1
	ds_bpermute_b32 v4, v5, v1
	v_xor_b32_e32 v5, 16, v2
	v_cmp_lt_i32_e32 vcc, v5, v3
	v_cndmask_b32_e32 v5, v2, v5, vcc
	v_lshlrev_b32_e32 v5, 2, v5
	s_waitcnt lgkmcnt(0)
	v_add_f32_e32 v1, v1, v4
	ds_bpermute_b32 v4, v5, v1
	;; [unrolled: 7-line block ×6, first 2 shown]
	s_mov_b32 s1, 0
	v_cmp_eq_u32_e32 vcc, 0, v0
	s_and_b64 exec, exec, vcc
	s_cbranch_execz .LBB16_16
; %bb.15:
	s_load_dwordx2 s[4:5], s[4:5], 0x38
	s_mul_i32 s0, s2, s10
	s_add_i32 s0, s0, s6
	s_mul_i32 s2, s14, s8
	s_add_i32 s0, s0, s2
	s_lshl_b64 s[0:1], s[0:1], 2
	s_waitcnt lgkmcnt(0)
	s_add_u32 s0, s4, s0
	v_add_f32_e32 v0, v1, v2
	s_addc_u32 s1, s5, s1
	v_mov_b32_e32 v1, 0
	global_store_dword v1, v0, s[0:1]
.LBB16_16:
	s_endpgm
	.section	.rodata,"a",@progbits
	.p2align	6, 0x0
	.amdhsa_kernel _ZL13mul_mat_vec_qIL9ggml_type2ELi1ELb0ELb0EEvPKvS2_PKi31ggml_cuda_mm_fusion_args_devicePfj15HIP_vector_typeIjLj3EEjjjS8_jjjS8_jjjj
		.amdhsa_group_segment_fixed_size 256
		.amdhsa_private_segment_fixed_size 0
		.amdhsa_kernarg_size 144
		.amdhsa_user_sgpr_count 6
		.amdhsa_user_sgpr_private_segment_buffer 1
		.amdhsa_user_sgpr_dispatch_ptr 0
		.amdhsa_user_sgpr_queue_ptr 0
		.amdhsa_user_sgpr_kernarg_segment_ptr 1
		.amdhsa_user_sgpr_dispatch_id 0
		.amdhsa_user_sgpr_flat_scratch_init 0
		.amdhsa_user_sgpr_private_segment_size 0
		.amdhsa_uses_dynamic_stack 0
		.amdhsa_system_sgpr_private_segment_wavefront_offset 0
		.amdhsa_system_sgpr_workgroup_id_x 1
		.amdhsa_system_sgpr_workgroup_id_y 1
		.amdhsa_system_sgpr_workgroup_id_z 1
		.amdhsa_system_sgpr_workgroup_info 0
		.amdhsa_system_vgpr_workitem_id 1
		.amdhsa_next_free_vgpr 21
		.amdhsa_next_free_sgpr 24
		.amdhsa_reserve_vcc 1
		.amdhsa_reserve_flat_scratch 0
		.amdhsa_float_round_mode_32 0
		.amdhsa_float_round_mode_16_64 0
		.amdhsa_float_denorm_mode_32 3
		.amdhsa_float_denorm_mode_16_64 3
		.amdhsa_dx10_clamp 1
		.amdhsa_ieee_mode 1
		.amdhsa_fp16_overflow 0
		.amdhsa_exception_fp_ieee_invalid_op 0
		.amdhsa_exception_fp_denorm_src 0
		.amdhsa_exception_fp_ieee_div_zero 0
		.amdhsa_exception_fp_ieee_overflow 0
		.amdhsa_exception_fp_ieee_underflow 0
		.amdhsa_exception_fp_ieee_inexact 0
		.amdhsa_exception_int_div_zero 0
	.end_amdhsa_kernel
	.section	.text._ZL13mul_mat_vec_qIL9ggml_type2ELi1ELb0ELb0EEvPKvS2_PKi31ggml_cuda_mm_fusion_args_devicePfj15HIP_vector_typeIjLj3EEjjjS8_jjjS8_jjjj,"axG",@progbits,_ZL13mul_mat_vec_qIL9ggml_type2ELi1ELb0ELb0EEvPKvS2_PKi31ggml_cuda_mm_fusion_args_devicePfj15HIP_vector_typeIjLj3EEjjjS8_jjjS8_jjjj,comdat
.Lfunc_end16:
	.size	_ZL13mul_mat_vec_qIL9ggml_type2ELi1ELb0ELb0EEvPKvS2_PKi31ggml_cuda_mm_fusion_args_devicePfj15HIP_vector_typeIjLj3EEjjjS8_jjjS8_jjjj, .Lfunc_end16-_ZL13mul_mat_vec_qIL9ggml_type2ELi1ELb0ELb0EEvPKvS2_PKi31ggml_cuda_mm_fusion_args_devicePfj15HIP_vector_typeIjLj3EEjjjS8_jjjS8_jjjj
                                        ; -- End function
	.set _ZL13mul_mat_vec_qIL9ggml_type2ELi1ELb0ELb0EEvPKvS2_PKi31ggml_cuda_mm_fusion_args_devicePfj15HIP_vector_typeIjLj3EEjjjS8_jjjS8_jjjj.num_vgpr, 21
	.set _ZL13mul_mat_vec_qIL9ggml_type2ELi1ELb0ELb0EEvPKvS2_PKi31ggml_cuda_mm_fusion_args_devicePfj15HIP_vector_typeIjLj3EEjjjS8_jjjS8_jjjj.num_agpr, 0
	.set _ZL13mul_mat_vec_qIL9ggml_type2ELi1ELb0ELb0EEvPKvS2_PKi31ggml_cuda_mm_fusion_args_devicePfj15HIP_vector_typeIjLj3EEjjjS8_jjjS8_jjjj.numbered_sgpr, 24
	.set _ZL13mul_mat_vec_qIL9ggml_type2ELi1ELb0ELb0EEvPKvS2_PKi31ggml_cuda_mm_fusion_args_devicePfj15HIP_vector_typeIjLj3EEjjjS8_jjjS8_jjjj.num_named_barrier, 0
	.set _ZL13mul_mat_vec_qIL9ggml_type2ELi1ELb0ELb0EEvPKvS2_PKi31ggml_cuda_mm_fusion_args_devicePfj15HIP_vector_typeIjLj3EEjjjS8_jjjS8_jjjj.private_seg_size, 0
	.set _ZL13mul_mat_vec_qIL9ggml_type2ELi1ELb0ELb0EEvPKvS2_PKi31ggml_cuda_mm_fusion_args_devicePfj15HIP_vector_typeIjLj3EEjjjS8_jjjS8_jjjj.uses_vcc, 1
	.set _ZL13mul_mat_vec_qIL9ggml_type2ELi1ELb0ELb0EEvPKvS2_PKi31ggml_cuda_mm_fusion_args_devicePfj15HIP_vector_typeIjLj3EEjjjS8_jjjS8_jjjj.uses_flat_scratch, 0
	.set _ZL13mul_mat_vec_qIL9ggml_type2ELi1ELb0ELb0EEvPKvS2_PKi31ggml_cuda_mm_fusion_args_devicePfj15HIP_vector_typeIjLj3EEjjjS8_jjjS8_jjjj.has_dyn_sized_stack, 0
	.set _ZL13mul_mat_vec_qIL9ggml_type2ELi1ELb0ELb0EEvPKvS2_PKi31ggml_cuda_mm_fusion_args_devicePfj15HIP_vector_typeIjLj3EEjjjS8_jjjS8_jjjj.has_recursion, 0
	.set _ZL13mul_mat_vec_qIL9ggml_type2ELi1ELb0ELb0EEvPKvS2_PKi31ggml_cuda_mm_fusion_args_devicePfj15HIP_vector_typeIjLj3EEjjjS8_jjjS8_jjjj.has_indirect_call, 0
	.section	.AMDGPU.csdata,"",@progbits
; Kernel info:
; codeLenInByte = 948
; TotalNumSgprs: 28
; NumVgprs: 21
; ScratchSize: 0
; MemoryBound: 0
; FloatMode: 240
; IeeeMode: 1
; LDSByteSize: 256 bytes/workgroup (compile time only)
; SGPRBlocks: 3
; VGPRBlocks: 5
; NumSGPRsForWavesPerEU: 28
; NumVGPRsForWavesPerEU: 21
; Occupancy: 10
; WaveLimiterHint : 0
; COMPUTE_PGM_RSRC2:SCRATCH_EN: 0
; COMPUTE_PGM_RSRC2:USER_SGPR: 6
; COMPUTE_PGM_RSRC2:TRAP_HANDLER: 0
; COMPUTE_PGM_RSRC2:TGID_X_EN: 1
; COMPUTE_PGM_RSRC2:TGID_Y_EN: 1
; COMPUTE_PGM_RSRC2:TGID_Z_EN: 1
; COMPUTE_PGM_RSRC2:TIDIG_COMP_CNT: 1
	.section	.text._ZL13mul_mat_vec_qIL9ggml_type2ELi2ELb0ELb0EEvPKvS2_PKi31ggml_cuda_mm_fusion_args_devicePfj15HIP_vector_typeIjLj3EEjjjS8_jjjS8_jjjj,"axG",@progbits,_ZL13mul_mat_vec_qIL9ggml_type2ELi2ELb0ELb0EEvPKvS2_PKi31ggml_cuda_mm_fusion_args_devicePfj15HIP_vector_typeIjLj3EEjjjS8_jjjS8_jjjj,comdat
	.globl	_ZL13mul_mat_vec_qIL9ggml_type2ELi2ELb0ELb0EEvPKvS2_PKi31ggml_cuda_mm_fusion_args_devicePfj15HIP_vector_typeIjLj3EEjjjS8_jjjS8_jjjj ; -- Begin function _ZL13mul_mat_vec_qIL9ggml_type2ELi2ELb0ELb0EEvPKvS2_PKi31ggml_cuda_mm_fusion_args_devicePfj15HIP_vector_typeIjLj3EEjjjS8_jjjS8_jjjj
	.p2align	8
	.type	_ZL13mul_mat_vec_qIL9ggml_type2ELi2ELb0ELb0EEvPKvS2_PKi31ggml_cuda_mm_fusion_args_devicePfj15HIP_vector_typeIjLj3EEjjjS8_jjjS8_jjjj,@function
_ZL13mul_mat_vec_qIL9ggml_type2ELi2ELb0ELb0EEvPKvS2_PKi31ggml_cuda_mm_fusion_args_devicePfj15HIP_vector_typeIjLj3EEjjjS8_jjjS8_jjjj: ; @_ZL13mul_mat_vec_qIL9ggml_type2ELi2ELb0ELb0EEvPKvS2_PKi31ggml_cuda_mm_fusion_args_devicePfj15HIP_vector_typeIjLj3EEjjjS8_jjjS8_jjjj
; %bb.0:
	v_lshlrev_b32_e32 v2, 6, v1
	s_load_dword s9, s[4:5], 0x40
	s_load_dwordx4 s[0:3], s[4:5], 0x50
	s_load_dword s25, s[4:5], 0x60
	s_load_dwordx4 s[12:15], s[4:5], 0x68
	;; [unrolled: 2-line block ×3, first 2 shown]
	v_add_u16_e32 v2, v2, v0
	s_waitcnt lgkmcnt(0)
	s_lshr_b32 s9, s9, 5
	v_lshrrev_b16_e32 v8, 1, v2
	s_lshl_b32 s6, s6, 1
	v_cmp_gt_u32_e32 vcc, s9, v8
	v_mov_b32_e32 v7, 0
	v_mov_b32_e32 v6, 0
	;; [unrolled: 1-line block ×4, first 2 shown]
	s_and_saveexec_b64 s[10:11], vcc
	s_cbranch_execz .LBB17_4
; %bb.1:
	s_load_dwordx4 s[20:23], s[4:5], 0x0
	s_mul_i32 s17, s17, s8
	s_mul_hi_u32 s19, s17, 36
	s_mul_i32 s17, s17, 36
	s_mul_i32 s13, s13, s7
	s_waitcnt lgkmcnt(0)
	s_add_u32 s17, s22, s17
	s_addc_u32 s19, s23, s19
	s_mul_hi_u32 s23, s13, 36
	s_mul_i32 s13, s13, 36
	s_add_u32 s22, s17, s13
	s_mul_hi_u32 s3, s3, s7
	s_addc_u32 s23, s19, s23
	s_add_i32 s3, s7, s3
	s_lshr_b32 s3, s3, s25
	s_mul_i32 s3, s3, s12
	s_mul_hi_u32 s12, s15, s8
	s_add_i32 s12, s8, s12
	s_lshr_b32 s12, s12, s24
	s_mul_i32 s12, s12, s16
	v_lshlrev_b32_e32 v3, 1, v0
	s_add_i32 s13, s6, 1
	v_and_b32_e32 v5, 2, v3
	s_add_i32 s12, s12, s3
	s_mul_i32 s3, s6, s0
	s_mul_i32 s0, s0, s13
	v_and_b32_e32 v3, 1, v0
	v_lshrrev_b16_e32 v2, 1, v2
	s_add_i32 s3, s12, s3
	s_add_i32 s0, s12, s0
	v_lshlrev_b32_e32 v9, 3, v3
	v_mad_u64_u32 v[2:3], s[12:13], v2, 36, s[22:23]
	v_lshlrev_b32_e32 v6, 1, v5
	v_mov_b32_e32 v4, 0
	s_mov_b64 s[12:13], 0
	v_lshlrev_b32_e32 v10, 1, v6
	v_lshlrev_b32_e32 v11, 2, v5
	v_mov_b32_e32 v5, 0
	v_mov_b32_e32 v7, 0
	;; [unrolled: 1-line block ×3, first 2 shown]
.LBB17_2:                               ; =>This Inner Loop Header: Depth=1
	v_add_u32_e32 v14, s3, v8
	v_mad_i64_i32 v[14:15], s[16:17], v14, 18, s[20:21]
	v_add_u32_e32 v16, s0, v8
	v_add_co_u32_e32 v12, vcc, v2, v9
	v_mad_i64_i32 v[16:17], s[16:17], v16, 18, s[20:21]
	v_addc_co_u32_e32 v13, vcc, 0, v3, vcc
	global_load_dwordx2 v[18:19], v[12:13], off offset:4
	global_load_dwordx2 v[20:21], v[12:13], off offset:20
	v_add_co_u32_e32 v12, vcc, v14, v10
	v_addc_co_u32_e32 v13, vcc, 0, v15, vcc
	v_add_co_u32_e32 v22, vcc, v16, v10
	v_addc_co_u32_e32 v23, vcc, 0, v17, vcc
	global_load_dwordx2 v[24:25], v[22:23], off offset:2
	global_load_dwordx2 v[26:27], v[12:13], off offset:2
	global_load_ushort v29, v[16:17], off
	global_load_ushort v30, v[14:15], off
	s_waitcnt vmcnt(3)
	v_lshrrev_b32_e32 v13, 4, v24
	s_waitcnt vmcnt(2)
	v_lshrrev_b32_e32 v12, 4, v26
	v_and_b32_e32 v22, 0xf0f0f0f, v26
	v_and_b32_e32 v23, 0xf0f0f0f, v24
	;; [unrolled: 1-line block ×3, first 2 shown]
	v_dot4_i32_i8 v12, v22, v18, 0
	v_and_b32_e32 v26, 0xf0f0f0f, v13
	v_dot4_i32_i8 v13, v23, v18, 0
	v_dot4_i32_i8 v12, v24, v20, v12
	v_and_b32_e32 v18, 0xf0f0f0f, v27
	v_dot4_i32_i8 v13, v26, v20, v13
	v_dot4_i32_i8 v20, v18, v19, v12
	v_and_b32_e32 v28, 0xf0f0f0f, v25
	v_add_u32_e32 v12, s1, v8
	v_dot4_i32_i8 v19, v28, v19, v13
	v_mad_u64_u32 v[12:13], s[16:17], v12, 36, s[22:23]
	v_add_u32_e32 v8, 64, v8
	v_add_co_u32_e32 v14, vcc, v12, v11
	v_addc_co_u32_e32 v15, vcc, 0, v13, vcc
	global_load_dword v31, v[12:13], off
	global_load_dwordx2 v[16:17], v[14:15], off offset:4
                                        ; kill: killed $vgpr12 killed $vgpr13
	s_nop 0
	global_load_dwordx2 v[12:13], v[14:15], off offset:20
	s_waitcnt vmcnt(1)
	v_dot4_i32_i8 v14, v22, v16, 0
	v_dot4_i32_i8 v15, v23, v16, 0
	s_waitcnt vmcnt(0)
	v_dot4_i32_i8 v14, v24, v12, v14
	v_dot4_i32_i8 v12, v26, v12, v15
	global_load_dword v15, v[2:3], off
	v_dot4_i32_i8 v14, v18, v17, v14
	v_lshrrev_b32_e32 v18, 4, v27
	v_lshrrev_b32_e32 v22, 4, v25
	v_dot4_i32_i8 v12, v28, v17, v12
	v_and_b32_e32 v18, 0xf0f0f0f, v18
	v_and_b32_e32 v22, 0xf0f0f0f, v22
	v_cvt_f32_f16_sdwa v17, v31 dst_sel:DWORD dst_unused:UNUSED_PAD src0_sel:WORD_1
	v_dot4_i32_i8 v20, v18, v21, v20
	v_dot4_i32_i8 v19, v22, v21, v19
	;; [unrolled: 1-line block ×4, first 2 shown]
	v_cvt_f32_i32_e32 v13, v20
	v_cvt_f32_i32_e32 v18, v19
	;; [unrolled: 1-line block ×4, first 2 shown]
	v_add_co_u32_e32 v2, vcc, 0x900, v2
	v_addc_co_u32_e32 v3, vcc, 0, v3, vcc
	v_mul_f32_e32 v17, 4.0, v17
	v_cmp_le_u32_e32 vcc, s9, v8
	v_fma_mix_f32 v14, v14, v31, -v17 op_sel_hi:[0,1,0]
	v_fma_mix_f32 v12, v12, v31, -v17 op_sel_hi:[0,1,0]
	s_or_b64 s[12:13], vcc, s[12:13]
	v_fma_mix_f32 v5, v14, v30, v5 op_sel_hi:[0,1,0]
	v_fma_mix_f32 v4, v12, v29, v4 op_sel_hi:[0,1,0]
	s_waitcnt vmcnt(0)
	v_cvt_f32_f16_sdwa v16, v15 dst_sel:DWORD dst_unused:UNUSED_PAD src0_sel:WORD_1
	v_mul_f32_e32 v16, 4.0, v16
	v_fma_mix_f32 v13, v13, v15, -v16 op_sel_hi:[0,1,0]
	v_fma_mix_f32 v15, v18, v15, -v16 op_sel_hi:[0,1,0]
	v_fma_mix_f32 v7, v13, v30, v7 op_sel_hi:[0,1,0]
	v_fma_mix_f32 v6, v15, v29, v6 op_sel_hi:[0,1,0]
	s_andn2_b64 exec, exec, s[12:13]
	s_cbranch_execnz .LBB17_2
; %bb.3:
	s_or_b64 exec, exec, s[12:13]
.LBB17_4:
	s_or_b64 exec, exec, s[10:11]
	v_cmp_eq_u32_e32 vcc, 0, v1
	v_cmp_ne_u32_e64 s[0:1], 0, v1
	v_lshlrev_b32_e32 v2, 2, v0
	s_and_saveexec_b64 s[10:11], s[0:1]
	s_cbranch_execz .LBB17_6
; %bb.5:
	v_lshl_or_b32 v1, v1, 10, v2
	v_add_u32_e32 v1, 0xfffffc00, v1
	ds_write2st64_b32 v1, v7, v6 offset1:1
	ds_write2st64_b32 v1, v5, v4 offset0:2 offset1:3
.LBB17_6:
	s_or_b64 exec, exec, s[10:11]
	s_waitcnt lgkmcnt(0)
	s_barrier
	s_and_saveexec_b64 s[0:1], vcc
	s_cbranch_execz .LBB17_11
; %bb.7:
	v_mbcnt_lo_u32_b32 v1, -1, 0
	v_mbcnt_hi_u32_b32 v11, -1, v1
	ds_read2st64_b32 v[9:10], v2 offset1:1
	v_and_b32_e32 v1, 64, v11
	v_add_u32_e32 v12, 64, v1
	v_xor_b32_e32 v1, 32, v11
	v_cmp_lt_i32_e32 vcc, v1, v12
	v_cndmask_b32_e32 v1, v11, v1, vcc
	v_lshlrev_b32_e32 v1, 2, v1
	s_waitcnt lgkmcnt(0)
	v_add_f32_e32 v7, v9, v7
	v_add_f32_e32 v10, v10, v6
	ds_bpermute_b32 v9, v1, v7
	ds_bpermute_b32 v14, v1, v10
	v_xor_b32_e32 v3, 16, v11
	v_cmp_lt_i32_e32 vcc, v3, v12
	v_cndmask_b32_e32 v3, v11, v3, vcc
	v_lshlrev_b32_e32 v3, 2, v3
	s_waitcnt lgkmcnt(1)
	v_add_f32_e32 v7, v7, v9
	s_waitcnt lgkmcnt(0)
	v_add_f32_e32 v10, v10, v14
	ds_bpermute_b32 v9, v3, v7
	ds_bpermute_b32 v14, v3, v10
	v_xor_b32_e32 v8, 8, v11
	v_cmp_lt_i32_e32 vcc, v8, v12
	v_cndmask_b32_e32 v8, v11, v8, vcc
	v_lshlrev_b32_e32 v8, 2, v8
	s_waitcnt lgkmcnt(1)
	v_add_f32_e32 v9, v7, v9
	s_waitcnt lgkmcnt(0)
	;; [unrolled: 10-line block ×3, first 2 shown]
	v_add_f32_e32 v10, v10, v14
	ds_bpermute_b32 v15, v6, v9
	ds_bpermute_b32 v14, v6, v10
	v_xor_b32_e32 v13, 2, v11
	v_cmp_lt_i32_e32 vcc, v13, v12
	v_cndmask_b32_e32 v13, v11, v13, vcc
	v_lshlrev_b32_e32 v7, 2, v13
	v_xor_b32_e32 v13, 1, v11
	v_cmp_lt_i32_e32 vcc, v13, v12
	s_waitcnt lgkmcnt(1)
	v_add_f32_e32 v9, v9, v15
	s_waitcnt lgkmcnt(0)
	v_add_f32_e32 v10, v10, v14
	v_cndmask_b32_e32 v11, v11, v13, vcc
	ds_bpermute_b32 v12, v7, v9
	ds_bpermute_b32 v13, v7, v10
	s_load_dwordx2 s[0:1], s[4:5], 0x38
	s_mul_i32 s4, s14, s7
	v_lshlrev_b32_e32 v11, 2, v11
	s_waitcnt lgkmcnt(0)
	v_add_f32_e32 v9, v9, v12
	v_add_f32_e32 v10, v10, v13
	s_mul_i32 s3, s18, s8
	s_add_i32 s4, s4, s6
	ds_bpermute_b32 v12, v11, v9
	ds_bpermute_b32 v13, v11, v10
	s_add_i32 s4, s4, s3
	s_mov_b32 s5, 0
	s_lshl_b64 s[4:5], s[4:5], 2
	s_add_u32 s4, s0, s4
	v_add_u32_e32 v14, s6, v0
	s_addc_u32 s5, s1, s5
	v_cmp_gt_u32_e32 vcc, 2, v0
	v_cmp_gt_u32_e64 s[0:1], s2, v14
	s_and_b64 s[0:1], vcc, s[0:1]
	s_waitcnt lgkmcnt(1)
	v_add_f32_e32 v9, v9, v12
	s_waitcnt lgkmcnt(0)
	v_add_f32_e32 v10, v10, v13
	s_and_saveexec_b64 s[6:7], s[0:1]
	s_cbranch_execz .LBB17_9
; %bb.8:
	v_cmp_eq_u32_e32 vcc, 1, v0
	v_cndmask_b32_e32 v12, v9, v10, vcc
	v_cmp_eq_u32_e32 vcc, 2, v0
	v_cndmask_b32_e32 v12, v12, v5, vcc
	;; [unrolled: 2-line block ×3, first 2 shown]
	global_store_dword v2, v12, s[4:5]
.LBB17_9:
	s_or_b64 exec, exec, s[6:7]
	ds_read2st64_b32 v[12:13], v2 offset0:2 offset1:3
	s_waitcnt lgkmcnt(0)
	v_add_f32_e32 v2, v12, v5
	v_add_f32_e32 v4, v13, v4
	ds_bpermute_b32 v5, v1, v2
	ds_bpermute_b32 v1, v1, v4
	s_waitcnt lgkmcnt(1)
	v_add_f32_e32 v2, v2, v5
	s_waitcnt lgkmcnt(0)
	v_add_f32_e32 v1, v4, v1
	ds_bpermute_b32 v4, v3, v2
	ds_bpermute_b32 v3, v3, v1
	s_waitcnt lgkmcnt(1)
	v_add_f32_e32 v2, v2, v4
	s_waitcnt lgkmcnt(0)
	v_add_f32_e32 v1, v1, v3
	ds_bpermute_b32 v3, v8, v2
	ds_bpermute_b32 v4, v8, v1
	s_waitcnt lgkmcnt(1)
	v_add_f32_e32 v2, v2, v3
	s_waitcnt lgkmcnt(0)
	v_add_f32_e32 v1, v1, v4
	ds_bpermute_b32 v3, v6, v2
	ds_bpermute_b32 v4, v6, v1
	s_waitcnt lgkmcnt(1)
	v_add_f32_e32 v2, v2, v3
	s_waitcnt lgkmcnt(0)
	v_add_f32_e32 v3, v1, v4
	ds_bpermute_b32 v1, v7, v2
	ds_bpermute_b32 v4, v7, v3
	s_waitcnt lgkmcnt(1)
	v_add_f32_e32 v1, v2, v1
	s_waitcnt lgkmcnt(0)
	v_add_f32_e32 v2, v3, v4
	ds_bpermute_b32 v3, v11, v1
	ds_bpermute_b32 v4, v11, v2
	s_and_b64 exec, exec, s[0:1]
	s_cbranch_execz .LBB17_11
; %bb.10:
	s_waitcnt lgkmcnt(1)
	v_add_f32_e32 v1, v1, v3
	v_add_u32_e32 v3, 2, v0
	v_cmp_eq_u32_e32 vcc, 1, v3
	s_waitcnt lgkmcnt(0)
	v_add_f32_e32 v2, v2, v4
	v_cndmask_b32_e32 v4, v9, v10, vcc
	v_cmp_eq_u32_e32 vcc, 2, v3
	v_cndmask_b32_e32 v1, v4, v1, vcc
	v_cmp_eq_u32_e32 vcc, 3, v3
	v_cndmask_b32_e32 v2, v1, v2, vcc
	v_add_u32_e32 v0, s2, v0
	v_mov_b32_e32 v1, 0
	v_lshlrev_b64 v[0:1], 2, v[0:1]
	v_mov_b32_e32 v3, s5
	v_add_co_u32_e32 v0, vcc, s4, v0
	v_addc_co_u32_e32 v1, vcc, v3, v1, vcc
	global_store_dword v[0:1], v2, off
.LBB17_11:
	s_endpgm
	.section	.rodata,"a",@progbits
	.p2align	6, 0x0
	.amdhsa_kernel _ZL13mul_mat_vec_qIL9ggml_type2ELi2ELb0ELb0EEvPKvS2_PKi31ggml_cuda_mm_fusion_args_devicePfj15HIP_vector_typeIjLj3EEjjjS8_jjjS8_jjjj
		.amdhsa_group_segment_fixed_size 1024
		.amdhsa_private_segment_fixed_size 0
		.amdhsa_kernarg_size 144
		.amdhsa_user_sgpr_count 6
		.amdhsa_user_sgpr_private_segment_buffer 1
		.amdhsa_user_sgpr_dispatch_ptr 0
		.amdhsa_user_sgpr_queue_ptr 0
		.amdhsa_user_sgpr_kernarg_segment_ptr 1
		.amdhsa_user_sgpr_dispatch_id 0
		.amdhsa_user_sgpr_flat_scratch_init 0
		.amdhsa_user_sgpr_private_segment_size 0
		.amdhsa_uses_dynamic_stack 0
		.amdhsa_system_sgpr_private_segment_wavefront_offset 0
		.amdhsa_system_sgpr_workgroup_id_x 1
		.amdhsa_system_sgpr_workgroup_id_y 1
		.amdhsa_system_sgpr_workgroup_id_z 1
		.amdhsa_system_sgpr_workgroup_info 0
		.amdhsa_system_vgpr_workitem_id 1
		.amdhsa_next_free_vgpr 32
		.amdhsa_next_free_sgpr 26
		.amdhsa_reserve_vcc 1
		.amdhsa_reserve_flat_scratch 0
		.amdhsa_float_round_mode_32 0
		.amdhsa_float_round_mode_16_64 0
		.amdhsa_float_denorm_mode_32 3
		.amdhsa_float_denorm_mode_16_64 3
		.amdhsa_dx10_clamp 1
		.amdhsa_ieee_mode 1
		.amdhsa_fp16_overflow 0
		.amdhsa_exception_fp_ieee_invalid_op 0
		.amdhsa_exception_fp_denorm_src 0
		.amdhsa_exception_fp_ieee_div_zero 0
		.amdhsa_exception_fp_ieee_overflow 0
		.amdhsa_exception_fp_ieee_underflow 0
		.amdhsa_exception_fp_ieee_inexact 0
		.amdhsa_exception_int_div_zero 0
	.end_amdhsa_kernel
	.section	.text._ZL13mul_mat_vec_qIL9ggml_type2ELi2ELb0ELb0EEvPKvS2_PKi31ggml_cuda_mm_fusion_args_devicePfj15HIP_vector_typeIjLj3EEjjjS8_jjjS8_jjjj,"axG",@progbits,_ZL13mul_mat_vec_qIL9ggml_type2ELi2ELb0ELb0EEvPKvS2_PKi31ggml_cuda_mm_fusion_args_devicePfj15HIP_vector_typeIjLj3EEjjjS8_jjjS8_jjjj,comdat
.Lfunc_end17:
	.size	_ZL13mul_mat_vec_qIL9ggml_type2ELi2ELb0ELb0EEvPKvS2_PKi31ggml_cuda_mm_fusion_args_devicePfj15HIP_vector_typeIjLj3EEjjjS8_jjjS8_jjjj, .Lfunc_end17-_ZL13mul_mat_vec_qIL9ggml_type2ELi2ELb0ELb0EEvPKvS2_PKi31ggml_cuda_mm_fusion_args_devicePfj15HIP_vector_typeIjLj3EEjjjS8_jjjS8_jjjj
                                        ; -- End function
	.set _ZL13mul_mat_vec_qIL9ggml_type2ELi2ELb0ELb0EEvPKvS2_PKi31ggml_cuda_mm_fusion_args_devicePfj15HIP_vector_typeIjLj3EEjjjS8_jjjS8_jjjj.num_vgpr, 32
	.set _ZL13mul_mat_vec_qIL9ggml_type2ELi2ELb0ELb0EEvPKvS2_PKi31ggml_cuda_mm_fusion_args_devicePfj15HIP_vector_typeIjLj3EEjjjS8_jjjS8_jjjj.num_agpr, 0
	.set _ZL13mul_mat_vec_qIL9ggml_type2ELi2ELb0ELb0EEvPKvS2_PKi31ggml_cuda_mm_fusion_args_devicePfj15HIP_vector_typeIjLj3EEjjjS8_jjjS8_jjjj.numbered_sgpr, 26
	.set _ZL13mul_mat_vec_qIL9ggml_type2ELi2ELb0ELb0EEvPKvS2_PKi31ggml_cuda_mm_fusion_args_devicePfj15HIP_vector_typeIjLj3EEjjjS8_jjjS8_jjjj.num_named_barrier, 0
	.set _ZL13mul_mat_vec_qIL9ggml_type2ELi2ELb0ELb0EEvPKvS2_PKi31ggml_cuda_mm_fusion_args_devicePfj15HIP_vector_typeIjLj3EEjjjS8_jjjS8_jjjj.private_seg_size, 0
	.set _ZL13mul_mat_vec_qIL9ggml_type2ELi2ELb0ELb0EEvPKvS2_PKi31ggml_cuda_mm_fusion_args_devicePfj15HIP_vector_typeIjLj3EEjjjS8_jjjS8_jjjj.uses_vcc, 1
	.set _ZL13mul_mat_vec_qIL9ggml_type2ELi2ELb0ELb0EEvPKvS2_PKi31ggml_cuda_mm_fusion_args_devicePfj15HIP_vector_typeIjLj3EEjjjS8_jjjS8_jjjj.uses_flat_scratch, 0
	.set _ZL13mul_mat_vec_qIL9ggml_type2ELi2ELb0ELb0EEvPKvS2_PKi31ggml_cuda_mm_fusion_args_devicePfj15HIP_vector_typeIjLj3EEjjjS8_jjjS8_jjjj.has_dyn_sized_stack, 0
	.set _ZL13mul_mat_vec_qIL9ggml_type2ELi2ELb0ELb0EEvPKvS2_PKi31ggml_cuda_mm_fusion_args_devicePfj15HIP_vector_typeIjLj3EEjjjS8_jjjS8_jjjj.has_recursion, 0
	.set _ZL13mul_mat_vec_qIL9ggml_type2ELi2ELb0ELb0EEvPKvS2_PKi31ggml_cuda_mm_fusion_args_devicePfj15HIP_vector_typeIjLj3EEjjjS8_jjjS8_jjjj.has_indirect_call, 0
	.section	.AMDGPU.csdata,"",@progbits
; Kernel info:
; codeLenInByte = 1588
; TotalNumSgprs: 30
; NumVgprs: 32
; ScratchSize: 0
; MemoryBound: 0
; FloatMode: 240
; IeeeMode: 1
; LDSByteSize: 1024 bytes/workgroup (compile time only)
; SGPRBlocks: 3
; VGPRBlocks: 7
; NumSGPRsForWavesPerEU: 30
; NumVGPRsForWavesPerEU: 32
; Occupancy: 8
; WaveLimiterHint : 0
; COMPUTE_PGM_RSRC2:SCRATCH_EN: 0
; COMPUTE_PGM_RSRC2:USER_SGPR: 6
; COMPUTE_PGM_RSRC2:TRAP_HANDLER: 0
; COMPUTE_PGM_RSRC2:TGID_X_EN: 1
; COMPUTE_PGM_RSRC2:TGID_Y_EN: 1
; COMPUTE_PGM_RSRC2:TGID_Z_EN: 1
; COMPUTE_PGM_RSRC2:TIDIG_COMP_CNT: 1
	.section	.text._ZL13mul_mat_vec_qIL9ggml_type2ELi3ELb0ELb0EEvPKvS2_PKi31ggml_cuda_mm_fusion_args_devicePfj15HIP_vector_typeIjLj3EEjjjS8_jjjS8_jjjj,"axG",@progbits,_ZL13mul_mat_vec_qIL9ggml_type2ELi3ELb0ELb0EEvPKvS2_PKi31ggml_cuda_mm_fusion_args_devicePfj15HIP_vector_typeIjLj3EEjjjS8_jjjS8_jjjj,comdat
	.globl	_ZL13mul_mat_vec_qIL9ggml_type2ELi3ELb0ELb0EEvPKvS2_PKi31ggml_cuda_mm_fusion_args_devicePfj15HIP_vector_typeIjLj3EEjjjS8_jjjS8_jjjj ; -- Begin function _ZL13mul_mat_vec_qIL9ggml_type2ELi3ELb0ELb0EEvPKvS2_PKi31ggml_cuda_mm_fusion_args_devicePfj15HIP_vector_typeIjLj3EEjjjS8_jjjS8_jjjj
	.p2align	8
	.type	_ZL13mul_mat_vec_qIL9ggml_type2ELi3ELb0ELb0EEvPKvS2_PKi31ggml_cuda_mm_fusion_args_devicePfj15HIP_vector_typeIjLj3EEjjjS8_jjjS8_jjjj,@function
_ZL13mul_mat_vec_qIL9ggml_type2ELi3ELb0ELb0EEvPKvS2_PKi31ggml_cuda_mm_fusion_args_devicePfj15HIP_vector_typeIjLj3EEjjjS8_jjjS8_jjjj: ; @_ZL13mul_mat_vec_qIL9ggml_type2ELi3ELb0ELb0EEvPKvS2_PKi31ggml_cuda_mm_fusion_args_devicePfj15HIP_vector_typeIjLj3EEjjjS8_jjjS8_jjjj
; %bb.0:
	v_lshlrev_b32_e32 v2, 6, v1
	s_load_dword s9, s[4:5], 0x40
	s_load_dwordx4 s[0:3], s[4:5], 0x50
	s_load_dword s25, s[4:5], 0x60
	s_load_dwordx4 s[12:15], s[4:5], 0x68
	;; [unrolled: 2-line block ×3, first 2 shown]
	v_add_u16_e32 v2, v2, v0
	s_waitcnt lgkmcnt(0)
	s_lshr_b32 s9, s9, 5
	v_lshrrev_b16_e32 v10, 1, v2
	v_mov_b32_e32 v8, 0
	s_lshl_b32 s6, s6, 1
	v_cmp_gt_u32_e32 vcc, s9, v10
	v_mov_b32_e32 v9, 0
	v_mov_b32_e32 v7, 0
	;; [unrolled: 1-line block ×5, first 2 shown]
	s_and_saveexec_b64 s[10:11], vcc
	s_cbranch_execz .LBB18_4
; %bb.1:
	s_load_dwordx4 s[20:23], s[4:5], 0x0
	s_mul_i32 s17, s17, s8
	s_mul_hi_u32 s19, s17, 36
	s_mul_i32 s17, s17, 36
	s_mul_i32 s13, s13, s7
	s_waitcnt lgkmcnt(0)
	s_add_u32 s17, s22, s17
	s_addc_u32 s19, s23, s19
	s_mul_hi_u32 s23, s13, 36
	s_mul_i32 s13, s13, 36
	s_add_u32 s22, s17, s13
	s_mul_hi_u32 s3, s3, s7
	s_addc_u32 s23, s19, s23
	s_add_i32 s3, s7, s3
	s_lshr_b32 s3, s3, s25
	s_mul_i32 s3, s3, s12
	s_mul_hi_u32 s12, s15, s8
	s_add_i32 s12, s8, s12
	s_lshr_b32 s12, s12, s24
	s_mul_i32 s12, s12, s16
	v_lshlrev_b32_e32 v3, 1, v0
	s_add_i32 s13, s6, 1
	v_and_b32_e32 v5, 2, v3
	s_add_i32 s12, s12, s3
	s_mul_i32 s3, s6, s0
	s_mul_i32 s0, s0, s13
	v_and_b32_e32 v3, 1, v0
	v_lshrrev_b16_e32 v2, 1, v2
	s_add_i32 s3, s12, s3
	s_add_i32 s0, s12, s0
	v_lshlrev_b32_e32 v11, 3, v3
	v_mad_u64_u32 v[2:3], s[12:13], v2, 36, s[22:23]
	v_lshlrev_b32_e32 v6, 1, v5
	v_mov_b32_e32 v4, 0
	s_lshl_b32 s15, s1, 1
	s_mov_b64 s[12:13], 0
	v_lshlrev_b32_e32 v12, 1, v6
	v_lshlrev_b32_e32 v13, 2, v5
	v_mov_b32_e32 v5, v4
	v_mov_b32_e32 v6, v4
	v_mov_b32_e32 v7, v4
	v_mov_b32_e32 v8, v4
	v_mov_b32_e32 v9, v4
.LBB18_2:                               ; =>This Inner Loop Header: Depth=1
	v_add_co_u32_e32 v14, vcc, v2, v11
	v_addc_co_u32_e32 v15, vcc, 0, v3, vcc
	global_load_dwordx2 v[16:17], v[14:15], off offset:4
	global_load_dwordx2 v[18:19], v[14:15], off offset:20
	global_load_dword v24, v[2:3], off
	v_add_u32_e32 v20, s3, v10
	s_waitcnt vmcnt(0)
	v_cvt_f32_f16_sdwa v14, v24 dst_sel:DWORD dst_unused:UNUSED_PAD src0_sel:WORD_1
	v_mul_f32_e32 v25, 4.0, v14
	v_mad_i64_i32 v[14:15], s[16:17], v20, 18, s[20:21]
	v_add_co_u32_e32 v20, vcc, v14, v12
	v_addc_co_u32_e32 v21, vcc, 0, v15, vcc
	global_load_dwordx2 v[22:23], v[20:21], off offset:2
	global_load_ushort v26, v[14:15], off
	s_waitcnt vmcnt(1)
	v_and_b32_e32 v27, 0xf0f0f0f, v22
	v_lshrrev_b32_e32 v14, 4, v22
	v_and_b32_e32 v28, 0xf0f0f0f, v14
	v_dot4_i32_i8 v14, v27, v16, 0
	v_dot4_i32_i8 v14, v28, v18, v14
	v_and_b32_e32 v29, 0xf0f0f0f, v23
	v_lshrrev_b32_e32 v15, 4, v23
	v_and_b32_e32 v30, 0xf0f0f0f, v15
	v_dot4_i32_i8 v14, v29, v17, v14
	v_dot4_i32_i8 v14, v30, v19, v14
	v_cvt_f32_i32_e32 v14, v14
	v_fma_mix_f32 v14, v14, v24, -v25 op_sel_hi:[0,1,0]
	s_waitcnt vmcnt(0)
	v_fma_mix_f32 v9, v14, v26, v9 op_sel_hi:[0,1,0]
	v_add_u32_e32 v14, s0, v10
	v_mad_i64_i32 v[14:15], s[16:17], v14, 18, s[20:21]
	v_add_co_u32_e32 v20, vcc, v14, v12
	v_addc_co_u32_e32 v21, vcc, 0, v15, vcc
	global_load_dwordx2 v[22:23], v[20:21], off offset:2
	global_load_ushort v31, v[14:15], off
	s_waitcnt vmcnt(1)
	v_and_b32_e32 v32, 0xf0f0f0f, v22
	v_lshrrev_b32_e32 v14, 4, v22
	v_and_b32_e32 v22, 0xf0f0f0f, v14
	v_dot4_i32_i8 v14, v32, v16, 0
	v_dot4_i32_i8 v14, v22, v18, v14
	v_and_b32_e32 v33, 0xf0f0f0f, v23
	v_lshrrev_b32_e32 v15, 4, v23
	v_and_b32_e32 v23, 0xf0f0f0f, v15
	v_dot4_i32_i8 v14, v33, v17, v14
	v_dot4_i32_i8 v14, v23, v19, v14
	v_cvt_f32_i32_e32 v14, v14
	v_fma_mix_f32 v14, v14, v24, -v25 op_sel_hi:[0,1,0]
	s_waitcnt vmcnt(0)
	v_fma_mix_f32 v8, v14, v31, v8 op_sel_hi:[0,1,0]
	v_add_u32_e32 v14, s1, v10
	v_mad_u64_u32 v[14:15], s[16:17], v14, 36, s[22:23]
	v_add_co_u32_e32 v16, vcc, v14, v13
	v_addc_co_u32_e32 v17, vcc, 0, v15, vcc
	global_load_dwordx2 v[18:19], v[16:17], off offset:4
	global_load_dwordx2 v[20:21], v[16:17], off offset:20
                                        ; kill: killed $vgpr16 killed $vgpr17
	s_nop 0
	global_load_dword v14, v[14:15], off
	s_waitcnt vmcnt(2)
	v_dot4_i32_i8 v16, v27, v18, 0
	s_waitcnt vmcnt(1)
	v_dot4_i32_i8 v16, v28, v20, v16
	v_dot4_i32_i8 v16, v29, v19, v16
	s_waitcnt vmcnt(0)
	v_cvt_f32_f16_sdwa v15, v14 dst_sel:DWORD dst_unused:UNUSED_PAD src0_sel:WORD_1
	v_dot4_i32_i8 v16, v30, v21, v16
	v_cvt_f32_i32_e32 v16, v16
	v_mul_f32_e32 v15, 4.0, v15
	v_fma_mix_f32 v16, v16, v14, -v15 op_sel_hi:[0,1,0]
	v_fma_mix_f32 v7, v16, v26, v7 op_sel_hi:[0,1,0]
	v_dot4_i32_i8 v16, v32, v18, 0
	v_dot4_i32_i8 v16, v22, v20, v16
	;; [unrolled: 1-line block ×4, first 2 shown]
	v_cvt_f32_i32_e32 v16, v16
	v_fma_mix_f32 v14, v16, v14, -v15 op_sel_hi:[0,1,0]
	v_fma_mix_f32 v6, v14, v31, v6 op_sel_hi:[0,1,0]
	v_add_u32_e32 v14, s15, v10
	v_mad_u64_u32 v[14:15], s[16:17], v14, 36, s[22:23]
	v_add_u32_e32 v10, 64, v10
	v_add_co_u32_e32 v16, vcc, v14, v13
	v_addc_co_u32_e32 v17, vcc, 0, v15, vcc
	global_load_dwordx2 v[18:19], v[16:17], off offset:4
	global_load_dwordx2 v[20:21], v[16:17], off offset:20
                                        ; kill: killed $vgpr16 killed $vgpr17
	s_nop 0
	global_load_dword v14, v[14:15], off
	v_add_co_u32_e32 v2, vcc, 0x900, v2
	v_addc_co_u32_e32 v3, vcc, 0, v3, vcc
	v_cmp_le_u32_e32 vcc, s9, v10
	s_or_b64 s[12:13], vcc, s[12:13]
	s_waitcnt vmcnt(2)
	v_dot4_i32_i8 v16, v27, v18, 0
	s_waitcnt vmcnt(1)
	v_dot4_i32_i8 v16, v28, v20, v16
	v_dot4_i32_i8 v16, v29, v19, v16
	s_waitcnt vmcnt(0)
	v_cvt_f32_f16_sdwa v15, v14 dst_sel:DWORD dst_unused:UNUSED_PAD src0_sel:WORD_1
	v_dot4_i32_i8 v16, v30, v21, v16
	v_cvt_f32_i32_e32 v16, v16
	v_mul_f32_e32 v15, 4.0, v15
	v_fma_mix_f32 v16, v16, v14, -v15 op_sel_hi:[0,1,0]
	v_fma_mix_f32 v5, v16, v26, v5 op_sel_hi:[0,1,0]
	v_dot4_i32_i8 v16, v32, v18, 0
	v_dot4_i32_i8 v16, v22, v20, v16
	;; [unrolled: 1-line block ×4, first 2 shown]
	v_cvt_f32_i32_e32 v16, v16
	v_fma_mix_f32 v14, v16, v14, -v15 op_sel_hi:[0,1,0]
	v_fma_mix_f32 v4, v14, v31, v4 op_sel_hi:[0,1,0]
	s_andn2_b64 exec, exec, s[12:13]
	s_cbranch_execnz .LBB18_2
; %bb.3:
	s_or_b64 exec, exec, s[12:13]
.LBB18_4:
	s_or_b64 exec, exec, s[10:11]
	v_cmp_eq_u32_e32 vcc, 0, v1
	v_cmp_ne_u32_e64 s[0:1], 0, v1
	s_and_saveexec_b64 s[10:11], s[0:1]
	s_cbranch_execz .LBB18_6
; %bb.5:
	v_mul_u32_u24_e32 v1, 0x600, v1
	v_lshl_or_b32 v1, v0, 2, v1
	v_add_u32_e32 v1, 0xfffffa00, v1
	ds_write2st64_b32 v1, v9, v8 offset1:1
	ds_write2st64_b32 v1, v7, v6 offset0:2 offset1:3
	ds_write2st64_b32 v1, v5, v4 offset0:4 offset1:5
.LBB18_6:
	s_or_b64 exec, exec, s[10:11]
	s_waitcnt lgkmcnt(0)
	s_barrier
	s_and_saveexec_b64 s[0:1], vcc
	s_cbranch_execz .LBB18_13
; %bb.7:
	v_lshlrev_b32_e32 v3, 2, v0
	v_mbcnt_lo_u32_b32 v1, -1, 0
	v_mbcnt_hi_u32_b32 v13, -1, v1
	ds_read2st64_b32 v[11:12], v3 offset1:1
	v_and_b32_e32 v1, 64, v13
	v_add_u32_e32 v14, 64, v1
	v_xor_b32_e32 v1, 32, v13
	v_cmp_lt_i32_e32 vcc, v1, v14
	v_cndmask_b32_e32 v1, v13, v1, vcc
	v_lshlrev_b32_e32 v1, 2, v1
	s_waitcnt lgkmcnt(0)
	v_add_f32_e32 v9, v11, v9
	v_add_f32_e32 v12, v12, v8
	ds_bpermute_b32 v11, v1, v9
	ds_bpermute_b32 v16, v1, v12
	v_xor_b32_e32 v2, 16, v13
	v_cmp_lt_i32_e32 vcc, v2, v14
	v_cndmask_b32_e32 v2, v13, v2, vcc
	v_lshlrev_b32_e32 v2, 2, v2
	s_waitcnt lgkmcnt(1)
	v_add_f32_e32 v9, v9, v11
	s_waitcnt lgkmcnt(0)
	v_add_f32_e32 v12, v12, v16
	ds_bpermute_b32 v11, v2, v9
	ds_bpermute_b32 v16, v2, v12
	v_xor_b32_e32 v10, 8, v13
	v_cmp_lt_i32_e32 vcc, v10, v14
	v_cndmask_b32_e32 v10, v13, v10, vcc
	v_lshlrev_b32_e32 v10, 2, v10
	s_waitcnt lgkmcnt(1)
	v_add_f32_e32 v11, v9, v11
	s_waitcnt lgkmcnt(0)
	;; [unrolled: 10-line block ×3, first 2 shown]
	v_add_f32_e32 v12, v12, v16
	ds_bpermute_b32 v17, v8, v11
	ds_bpermute_b32 v16, v8, v12
	v_xor_b32_e32 v15, 2, v13
	v_cmp_lt_i32_e32 vcc, v15, v14
	v_cndmask_b32_e32 v15, v13, v15, vcc
	v_lshlrev_b32_e32 v9, 2, v15
	v_xor_b32_e32 v15, 1, v13
	v_cmp_lt_i32_e32 vcc, v15, v14
	s_waitcnt lgkmcnt(1)
	v_add_f32_e32 v11, v11, v17
	s_waitcnt lgkmcnt(0)
	v_add_f32_e32 v12, v12, v16
	v_cndmask_b32_e32 v13, v13, v15, vcc
	ds_bpermute_b32 v14, v9, v11
	ds_bpermute_b32 v15, v9, v12
	s_load_dwordx2 s[0:1], s[4:5], 0x38
	s_mul_i32 s4, s14, s7
	v_lshlrev_b32_e32 v13, 2, v13
	s_waitcnt lgkmcnt(0)
	v_add_f32_e32 v11, v11, v14
	v_add_f32_e32 v12, v12, v15
	s_mul_i32 s3, s18, s8
	s_add_i32 s4, s4, s6
	ds_bpermute_b32 v14, v13, v11
	ds_bpermute_b32 v15, v13, v12
	s_add_i32 s4, s4, s3
	s_mov_b32 s5, 0
	s_lshl_b64 s[4:5], s[4:5], 2
	s_add_u32 s4, s0, s4
	v_add_u32_e32 v16, s6, v0
	s_addc_u32 s5, s1, s5
	v_cmp_gt_u32_e32 vcc, 2, v0
	v_cmp_gt_u32_e64 s[0:1], s2, v16
	s_and_b64 s[0:1], vcc, s[0:1]
	s_waitcnt lgkmcnt(1)
	v_add_f32_e32 v11, v11, v14
	s_waitcnt lgkmcnt(0)
	v_add_f32_e32 v12, v12, v15
	s_and_saveexec_b64 s[6:7], s[0:1]
	s_cbranch_execz .LBB18_9
; %bb.8:
	v_cmp_eq_u32_e32 vcc, 1, v0
	v_cndmask_b32_e32 v14, v11, v12, vcc
	v_cmp_eq_u32_e32 vcc, 2, v0
	v_cndmask_b32_e32 v14, v14, v7, vcc
	;; [unrolled: 2-line block ×5, first 2 shown]
	global_store_dword v3, v14, s[4:5]
.LBB18_9:
	s_or_b64 exec, exec, s[6:7]
	ds_read2st64_b32 v[14:15], v3 offset0:2 offset1:3
	s_waitcnt lgkmcnt(0)
	v_add_f32_e32 v7, v14, v7
	v_add_f32_e32 v6, v15, v6
	ds_bpermute_b32 v14, v1, v7
	ds_bpermute_b32 v15, v1, v6
	s_waitcnt lgkmcnt(1)
	v_add_f32_e32 v7, v7, v14
	s_waitcnt lgkmcnt(0)
	v_add_f32_e32 v6, v6, v15
	ds_bpermute_b32 v14, v2, v7
	ds_bpermute_b32 v15, v2, v6
	s_waitcnt lgkmcnt(1)
	v_add_f32_e32 v7, v7, v14
	s_waitcnt lgkmcnt(0)
	;; [unrolled: 6-line block ×6, first 2 shown]
	v_add_f32_e32 v6, v6, v15
	s_and_saveexec_b64 s[6:7], s[0:1]
	s_cbranch_execz .LBB18_11
; %bb.10:
	v_add_u32_e32 v14, 2, v0
	v_cmp_eq_u32_e32 vcc, 1, v14
	v_cndmask_b32_e32 v15, v11, v12, vcc
	v_cmp_eq_u32_e32 vcc, 2, v14
	v_cndmask_b32_e32 v15, v15, v7, vcc
	;; [unrolled: 2-line block ×5, first 2 shown]
	v_add_u32_e32 v14, s2, v0
	v_mov_b32_e32 v15, 0
	v_lshlrev_b64 v[14:15], 2, v[14:15]
	v_mov_b32_e32 v17, s5
	v_add_co_u32_e32 v14, vcc, s4, v14
	v_addc_co_u32_e32 v15, vcc, v17, v15, vcc
	global_store_dword v[14:15], v16, off
.LBB18_11:
	s_or_b64 exec, exec, s[6:7]
	ds_read2st64_b32 v[14:15], v3 offset0:4 offset1:5
	s_waitcnt lgkmcnt(0)
	v_add_f32_e32 v3, v14, v5
	v_add_f32_e32 v4, v15, v4
	ds_bpermute_b32 v5, v1, v3
	ds_bpermute_b32 v1, v1, v4
	s_waitcnt lgkmcnt(1)
	v_add_f32_e32 v3, v3, v5
	s_waitcnt lgkmcnt(0)
	v_add_f32_e32 v1, v4, v1
	ds_bpermute_b32 v4, v2, v3
	ds_bpermute_b32 v2, v2, v1
	s_waitcnt lgkmcnt(1)
	v_add_f32_e32 v3, v3, v4
	s_waitcnt lgkmcnt(0)
	;; [unrolled: 6-line block ×5, first 2 shown]
	v_add_f32_e32 v2, v3, v4
	ds_bpermute_b32 v3, v13, v1
	ds_bpermute_b32 v4, v13, v2
	s_and_b64 exec, exec, s[0:1]
	s_cbranch_execz .LBB18_13
; %bb.12:
	s_waitcnt lgkmcnt(1)
	v_add_f32_e32 v1, v1, v3
	v_add_u32_e32 v3, 4, v0
	v_cmp_eq_u32_e32 vcc, 1, v3
	s_waitcnt lgkmcnt(0)
	v_add_f32_e32 v2, v2, v4
	v_cndmask_b32_e32 v4, v11, v12, vcc
	v_cmp_eq_u32_e32 vcc, 2, v3
	v_cndmask_b32_e32 v4, v4, v7, vcc
	v_cmp_eq_u32_e32 vcc, 3, v3
	;; [unrolled: 2-line block ×4, first 2 shown]
	v_cndmask_b32_e32 v2, v1, v2, vcc
	v_lshl_or_b32 v0, s2, 1, v0
	v_mov_b32_e32 v1, 0
	v_lshlrev_b64 v[0:1], 2, v[0:1]
	v_mov_b32_e32 v3, s5
	v_add_co_u32_e32 v0, vcc, s4, v0
	v_addc_co_u32_e32 v1, vcc, v3, v1, vcc
	global_store_dword v[0:1], v2, off
.LBB18_13:
	s_endpgm
	.section	.rodata,"a",@progbits
	.p2align	6, 0x0
	.amdhsa_kernel _ZL13mul_mat_vec_qIL9ggml_type2ELi3ELb0ELb0EEvPKvS2_PKi31ggml_cuda_mm_fusion_args_devicePfj15HIP_vector_typeIjLj3EEjjjS8_jjjS8_jjjj
		.amdhsa_group_segment_fixed_size 1536
		.amdhsa_private_segment_fixed_size 0
		.amdhsa_kernarg_size 144
		.amdhsa_user_sgpr_count 6
		.amdhsa_user_sgpr_private_segment_buffer 1
		.amdhsa_user_sgpr_dispatch_ptr 0
		.amdhsa_user_sgpr_queue_ptr 0
		.amdhsa_user_sgpr_kernarg_segment_ptr 1
		.amdhsa_user_sgpr_dispatch_id 0
		.amdhsa_user_sgpr_flat_scratch_init 0
		.amdhsa_user_sgpr_private_segment_size 0
		.amdhsa_uses_dynamic_stack 0
		.amdhsa_system_sgpr_private_segment_wavefront_offset 0
		.amdhsa_system_sgpr_workgroup_id_x 1
		.amdhsa_system_sgpr_workgroup_id_y 1
		.amdhsa_system_sgpr_workgroup_id_z 1
		.amdhsa_system_sgpr_workgroup_info 0
		.amdhsa_system_vgpr_workitem_id 1
		.amdhsa_next_free_vgpr 34
		.amdhsa_next_free_sgpr 26
		.amdhsa_reserve_vcc 1
		.amdhsa_reserve_flat_scratch 0
		.amdhsa_float_round_mode_32 0
		.amdhsa_float_round_mode_16_64 0
		.amdhsa_float_denorm_mode_32 3
		.amdhsa_float_denorm_mode_16_64 3
		.amdhsa_dx10_clamp 1
		.amdhsa_ieee_mode 1
		.amdhsa_fp16_overflow 0
		.amdhsa_exception_fp_ieee_invalid_op 0
		.amdhsa_exception_fp_denorm_src 0
		.amdhsa_exception_fp_ieee_div_zero 0
		.amdhsa_exception_fp_ieee_overflow 0
		.amdhsa_exception_fp_ieee_underflow 0
		.amdhsa_exception_fp_ieee_inexact 0
		.amdhsa_exception_int_div_zero 0
	.end_amdhsa_kernel
	.section	.text._ZL13mul_mat_vec_qIL9ggml_type2ELi3ELb0ELb0EEvPKvS2_PKi31ggml_cuda_mm_fusion_args_devicePfj15HIP_vector_typeIjLj3EEjjjS8_jjjS8_jjjj,"axG",@progbits,_ZL13mul_mat_vec_qIL9ggml_type2ELi3ELb0ELb0EEvPKvS2_PKi31ggml_cuda_mm_fusion_args_devicePfj15HIP_vector_typeIjLj3EEjjjS8_jjjS8_jjjj,comdat
.Lfunc_end18:
	.size	_ZL13mul_mat_vec_qIL9ggml_type2ELi3ELb0ELb0EEvPKvS2_PKi31ggml_cuda_mm_fusion_args_devicePfj15HIP_vector_typeIjLj3EEjjjS8_jjjS8_jjjj, .Lfunc_end18-_ZL13mul_mat_vec_qIL9ggml_type2ELi3ELb0ELb0EEvPKvS2_PKi31ggml_cuda_mm_fusion_args_devicePfj15HIP_vector_typeIjLj3EEjjjS8_jjjS8_jjjj
                                        ; -- End function
	.set _ZL13mul_mat_vec_qIL9ggml_type2ELi3ELb0ELb0EEvPKvS2_PKi31ggml_cuda_mm_fusion_args_devicePfj15HIP_vector_typeIjLj3EEjjjS8_jjjS8_jjjj.num_vgpr, 34
	.set _ZL13mul_mat_vec_qIL9ggml_type2ELi3ELb0ELb0EEvPKvS2_PKi31ggml_cuda_mm_fusion_args_devicePfj15HIP_vector_typeIjLj3EEjjjS8_jjjS8_jjjj.num_agpr, 0
	.set _ZL13mul_mat_vec_qIL9ggml_type2ELi3ELb0ELb0EEvPKvS2_PKi31ggml_cuda_mm_fusion_args_devicePfj15HIP_vector_typeIjLj3EEjjjS8_jjjS8_jjjj.numbered_sgpr, 26
	.set _ZL13mul_mat_vec_qIL9ggml_type2ELi3ELb0ELb0EEvPKvS2_PKi31ggml_cuda_mm_fusion_args_devicePfj15HIP_vector_typeIjLj3EEjjjS8_jjjS8_jjjj.num_named_barrier, 0
	.set _ZL13mul_mat_vec_qIL9ggml_type2ELi3ELb0ELb0EEvPKvS2_PKi31ggml_cuda_mm_fusion_args_devicePfj15HIP_vector_typeIjLj3EEjjjS8_jjjS8_jjjj.private_seg_size, 0
	.set _ZL13mul_mat_vec_qIL9ggml_type2ELi3ELb0ELb0EEvPKvS2_PKi31ggml_cuda_mm_fusion_args_devicePfj15HIP_vector_typeIjLj3EEjjjS8_jjjS8_jjjj.uses_vcc, 1
	.set _ZL13mul_mat_vec_qIL9ggml_type2ELi3ELb0ELb0EEvPKvS2_PKi31ggml_cuda_mm_fusion_args_devicePfj15HIP_vector_typeIjLj3EEjjjS8_jjjS8_jjjj.uses_flat_scratch, 0
	.set _ZL13mul_mat_vec_qIL9ggml_type2ELi3ELb0ELb0EEvPKvS2_PKi31ggml_cuda_mm_fusion_args_devicePfj15HIP_vector_typeIjLj3EEjjjS8_jjjS8_jjjj.has_dyn_sized_stack, 0
	.set _ZL13mul_mat_vec_qIL9ggml_type2ELi3ELb0ELb0EEvPKvS2_PKi31ggml_cuda_mm_fusion_args_devicePfj15HIP_vector_typeIjLj3EEjjjS8_jjjS8_jjjj.has_recursion, 0
	.set _ZL13mul_mat_vec_qIL9ggml_type2ELi3ELb0ELb0EEvPKvS2_PKi31ggml_cuda_mm_fusion_args_devicePfj15HIP_vector_typeIjLj3EEjjjS8_jjjS8_jjjj.has_indirect_call, 0
	.section	.AMDGPU.csdata,"",@progbits
; Kernel info:
; codeLenInByte = 2152
; TotalNumSgprs: 30
; NumVgprs: 34
; ScratchSize: 0
; MemoryBound: 0
; FloatMode: 240
; IeeeMode: 1
; LDSByteSize: 1536 bytes/workgroup (compile time only)
; SGPRBlocks: 3
; VGPRBlocks: 8
; NumSGPRsForWavesPerEU: 30
; NumVGPRsForWavesPerEU: 34
; Occupancy: 7
; WaveLimiterHint : 0
; COMPUTE_PGM_RSRC2:SCRATCH_EN: 0
; COMPUTE_PGM_RSRC2:USER_SGPR: 6
; COMPUTE_PGM_RSRC2:TRAP_HANDLER: 0
; COMPUTE_PGM_RSRC2:TGID_X_EN: 1
; COMPUTE_PGM_RSRC2:TGID_Y_EN: 1
; COMPUTE_PGM_RSRC2:TGID_Z_EN: 1
; COMPUTE_PGM_RSRC2:TIDIG_COMP_CNT: 1
	.section	.text._ZL13mul_mat_vec_qIL9ggml_type2ELi4ELb0ELb0EEvPKvS2_PKi31ggml_cuda_mm_fusion_args_devicePfj15HIP_vector_typeIjLj3EEjjjS8_jjjS8_jjjj,"axG",@progbits,_ZL13mul_mat_vec_qIL9ggml_type2ELi4ELb0ELb0EEvPKvS2_PKi31ggml_cuda_mm_fusion_args_devicePfj15HIP_vector_typeIjLj3EEjjjS8_jjjS8_jjjj,comdat
	.globl	_ZL13mul_mat_vec_qIL9ggml_type2ELi4ELb0ELb0EEvPKvS2_PKi31ggml_cuda_mm_fusion_args_devicePfj15HIP_vector_typeIjLj3EEjjjS8_jjjS8_jjjj ; -- Begin function _ZL13mul_mat_vec_qIL9ggml_type2ELi4ELb0ELb0EEvPKvS2_PKi31ggml_cuda_mm_fusion_args_devicePfj15HIP_vector_typeIjLj3EEjjjS8_jjjS8_jjjj
	.p2align	8
	.type	_ZL13mul_mat_vec_qIL9ggml_type2ELi4ELb0ELb0EEvPKvS2_PKi31ggml_cuda_mm_fusion_args_devicePfj15HIP_vector_typeIjLj3EEjjjS8_jjjS8_jjjj,@function
_ZL13mul_mat_vec_qIL9ggml_type2ELi4ELb0ELb0EEvPKvS2_PKi31ggml_cuda_mm_fusion_args_devicePfj15HIP_vector_typeIjLj3EEjjjS8_jjjS8_jjjj: ; @_ZL13mul_mat_vec_qIL9ggml_type2ELi4ELb0ELb0EEvPKvS2_PKi31ggml_cuda_mm_fusion_args_devicePfj15HIP_vector_typeIjLj3EEjjjS8_jjjS8_jjjj
; %bb.0:
	v_lshlrev_b32_e32 v2, 6, v1
	s_load_dword s9, s[4:5], 0x40
	s_load_dwordx4 s[0:3], s[4:5], 0x50
	s_load_dword s25, s[4:5], 0x60
	s_load_dwordx4 s[12:15], s[4:5], 0x68
	s_load_dword s24, s[4:5], 0x78
	s_load_dwordx4 s[16:19], s[4:5], 0x80
	v_add_u16_e32 v2, v2, v0
	s_waitcnt lgkmcnt(0)
	s_lshr_b32 s9, s9, 5
	v_lshrrev_b16_e32 v12, 1, v2
	v_mov_b32_e32 v8, 0
	s_lshl_b32 s6, s6, 1
	v_cmp_gt_u32_e32 vcc, s9, v12
	v_mov_b32_e32 v9, v8
	v_mov_b32_e32 v10, v8
	;; [unrolled: 1-line block ×7, first 2 shown]
	s_and_saveexec_b64 s[10:11], vcc
	s_cbranch_execz .LBB19_4
; %bb.1:
	s_load_dwordx4 s[20:23], s[4:5], 0x0
	s_mul_i32 s17, s17, s8
	s_mul_hi_u32 s19, s17, 36
	s_mul_i32 s17, s17, 36
	s_mul_i32 s13, s13, s7
	s_waitcnt lgkmcnt(0)
	s_add_u32 s17, s22, s17
	s_addc_u32 s19, s23, s19
	s_mul_hi_u32 s23, s13, 36
	s_mul_i32 s13, s13, 36
	s_add_u32 s22, s17, s13
	s_mul_hi_u32 s3, s3, s7
	s_addc_u32 s23, s19, s23
	s_add_i32 s3, s7, s3
	s_lshr_b32 s3, s3, s25
	s_mul_i32 s3, s3, s12
	s_mul_hi_u32 s12, s15, s8
	s_add_i32 s12, s8, s12
	s_lshr_b32 s12, s12, s24
	s_mul_i32 s12, s12, s16
	v_lshlrev_b32_e32 v3, 1, v0
	s_add_i32 s13, s6, 1
	v_and_b32_e32 v5, 2, v3
	s_add_i32 s12, s12, s3
	s_mul_i32 s3, s6, s0
	s_mul_i32 s0, s0, s13
	v_and_b32_e32 v3, 1, v0
	v_lshrrev_b16_e32 v2, 1, v2
	s_add_i32 s3, s12, s3
	s_add_i32 s0, s12, s0
	v_lshlrev_b32_e32 v13, 3, v3
	v_mad_u64_u32 v[2:3], s[12:13], v2, 36, s[22:23]
	v_lshlrev_b32_e32 v6, 1, v5
	v_mov_b32_e32 v4, 0
	s_lshl_b32 s15, s1, 1
	s_mul_i32 s16, s1, 3
	s_mov_b64 s[12:13], 0
	v_lshlrev_b32_e32 v14, 1, v6
	v_lshlrev_b32_e32 v15, 2, v5
	v_mov_b32_e32 v5, v4
	v_mov_b32_e32 v6, v4
	;; [unrolled: 1-line block ×7, first 2 shown]
.LBB19_2:                               ; =>This Inner Loop Header: Depth=1
	v_add_co_u32_e32 v16, vcc, v2, v13
	v_addc_co_u32_e32 v17, vcc, 0, v3, vcc
	global_load_dwordx2 v[18:19], v[16:17], off offset:4
	global_load_dwordx2 v[20:21], v[16:17], off offset:20
	global_load_dword v26, v[2:3], off
	v_add_u32_e32 v22, s3, v12
	s_waitcnt vmcnt(0)
	v_cvt_f32_f16_sdwa v16, v26 dst_sel:DWORD dst_unused:UNUSED_PAD src0_sel:WORD_1
	v_mul_f32_e32 v27, 4.0, v16
	v_mad_i64_i32 v[16:17], s[24:25], v22, 18, s[20:21]
	v_add_co_u32_e32 v22, vcc, v16, v14
	v_addc_co_u32_e32 v23, vcc, 0, v17, vcc
	global_load_dwordx2 v[24:25], v[22:23], off offset:2
	global_load_ushort v28, v[16:17], off
	s_waitcnt vmcnt(1)
	v_and_b32_e32 v29, 0xf0f0f0f, v24
	v_lshrrev_b32_e32 v16, 4, v24
	v_and_b32_e32 v30, 0xf0f0f0f, v16
	v_dot4_i32_i8 v16, v29, v18, 0
	v_dot4_i32_i8 v16, v30, v20, v16
	v_and_b32_e32 v31, 0xf0f0f0f, v25
	v_lshrrev_b32_e32 v17, 4, v25
	v_and_b32_e32 v32, 0xf0f0f0f, v17
	v_dot4_i32_i8 v16, v31, v19, v16
	v_dot4_i32_i8 v16, v32, v21, v16
	v_cvt_f32_i32_e32 v16, v16
	v_fma_mix_f32 v16, v16, v26, -v27 op_sel_hi:[0,1,0]
	s_waitcnt vmcnt(0)
	v_fma_mix_f32 v11, v16, v28, v11 op_sel_hi:[0,1,0]
	v_add_u32_e32 v16, s0, v12
	v_mad_i64_i32 v[16:17], s[24:25], v16, 18, s[20:21]
	v_add_co_u32_e32 v22, vcc, v16, v14
	v_addc_co_u32_e32 v23, vcc, 0, v17, vcc
	global_load_dwordx2 v[24:25], v[22:23], off offset:2
	global_load_ushort v33, v[16:17], off
	s_waitcnt vmcnt(1)
	v_and_b32_e32 v34, 0xf0f0f0f, v24
	v_lshrrev_b32_e32 v16, 4, v24
	v_and_b32_e32 v24, 0xf0f0f0f, v16
	v_dot4_i32_i8 v16, v34, v18, 0
	v_dot4_i32_i8 v16, v24, v20, v16
	v_and_b32_e32 v35, 0xf0f0f0f, v25
	v_lshrrev_b32_e32 v17, 4, v25
	v_and_b32_e32 v25, 0xf0f0f0f, v17
	v_dot4_i32_i8 v16, v35, v19, v16
	v_dot4_i32_i8 v16, v25, v21, v16
	v_cvt_f32_i32_e32 v16, v16
	v_fma_mix_f32 v16, v16, v26, -v27 op_sel_hi:[0,1,0]
	s_waitcnt vmcnt(0)
	v_fma_mix_f32 v10, v16, v33, v10 op_sel_hi:[0,1,0]
	v_add_u32_e32 v16, s1, v12
	v_mad_u64_u32 v[16:17], s[24:25], v16, 36, s[22:23]
	v_add_co_u32_e32 v18, vcc, v16, v15
	v_addc_co_u32_e32 v19, vcc, 0, v17, vcc
	global_load_dwordx2 v[20:21], v[18:19], off offset:4
	global_load_dwordx2 v[22:23], v[18:19], off offset:20
	global_load_dword v26, v[16:17], off
	s_waitcnt vmcnt(2)
	v_dot4_i32_i8 v17, v29, v20, 0
	s_waitcnt vmcnt(1)
	v_dot4_i32_i8 v17, v30, v22, v17
	v_dot4_i32_i8 v17, v31, v21, v17
	s_waitcnt vmcnt(0)
	v_cvt_f32_f16_sdwa v16, v26 dst_sel:DWORD dst_unused:UNUSED_PAD src0_sel:WORD_1
	v_dot4_i32_i8 v17, v32, v23, v17
	v_cvt_f32_i32_e32 v17, v17
	v_mul_f32_e32 v16, 4.0, v16
	v_fma_mix_f32 v17, v17, v26, -v16 op_sel_hi:[0,1,0]
	v_fma_mix_f32 v9, v17, v28, v9 op_sel_hi:[0,1,0]
	v_dot4_i32_i8 v17, v34, v20, 0
	v_dot4_i32_i8 v17, v24, v22, v17
	;; [unrolled: 1-line block ×4, first 2 shown]
	v_cvt_f32_i32_e32 v17, v17
	v_fma_mix_f32 v16, v17, v26, -v16 op_sel_hi:[0,1,0]
	v_fma_mix_f32 v8, v16, v33, v8 op_sel_hi:[0,1,0]
	v_add_u32_e32 v16, s15, v12
	v_mad_u64_u32 v[16:17], s[24:25], v16, 36, s[22:23]
	v_add_co_u32_e32 v18, vcc, v16, v15
	v_addc_co_u32_e32 v19, vcc, 0, v17, vcc
	global_load_dwordx2 v[20:21], v[18:19], off offset:4
	global_load_dwordx2 v[22:23], v[18:19], off offset:20
	global_load_dword v26, v[16:17], off
	s_waitcnt vmcnt(2)
	v_dot4_i32_i8 v17, v29, v20, 0
	s_waitcnt vmcnt(1)
	v_dot4_i32_i8 v17, v30, v22, v17
	v_dot4_i32_i8 v17, v31, v21, v17
	s_waitcnt vmcnt(0)
	v_cvt_f32_f16_sdwa v16, v26 dst_sel:DWORD dst_unused:UNUSED_PAD src0_sel:WORD_1
	v_dot4_i32_i8 v17, v32, v23, v17
	v_cvt_f32_i32_e32 v17, v17
	v_mul_f32_e32 v16, 4.0, v16
	v_fma_mix_f32 v17, v17, v26, -v16 op_sel_hi:[0,1,0]
	v_fma_mix_f32 v7, v17, v28, v7 op_sel_hi:[0,1,0]
	v_dot4_i32_i8 v17, v34, v20, 0
	v_dot4_i32_i8 v17, v24, v22, v17
	;; [unrolled: 1-line block ×4, first 2 shown]
	v_cvt_f32_i32_e32 v17, v17
	v_fma_mix_f32 v16, v17, v26, -v16 op_sel_hi:[0,1,0]
	v_fma_mix_f32 v6, v16, v33, v6 op_sel_hi:[0,1,0]
	v_add_u32_e32 v16, s16, v12
	v_mad_u64_u32 v[16:17], s[24:25], v16, 36, s[22:23]
	v_add_u32_e32 v12, 64, v12
	v_add_co_u32_e32 v18, vcc, v16, v15
	v_addc_co_u32_e32 v19, vcc, 0, v17, vcc
	global_load_dwordx2 v[20:21], v[18:19], off offset:4
	global_load_dwordx2 v[22:23], v[18:19], off offset:20
	global_load_dword v26, v[16:17], off
	v_add_co_u32_e32 v2, vcc, 0x900, v2
	v_addc_co_u32_e32 v3, vcc, 0, v3, vcc
	v_cmp_le_u32_e32 vcc, s9, v12
	s_or_b64 s[12:13], vcc, s[12:13]
	s_waitcnt vmcnt(2)
	v_dot4_i32_i8 v17, v29, v20, 0
	s_waitcnt vmcnt(1)
	v_dot4_i32_i8 v17, v30, v22, v17
	v_dot4_i32_i8 v17, v31, v21, v17
	s_waitcnt vmcnt(0)
	v_cvt_f32_f16_sdwa v16, v26 dst_sel:DWORD dst_unused:UNUSED_PAD src0_sel:WORD_1
	v_dot4_i32_i8 v17, v32, v23, v17
	v_cvt_f32_i32_e32 v17, v17
	v_mul_f32_e32 v16, 4.0, v16
	v_fma_mix_f32 v17, v17, v26, -v16 op_sel_hi:[0,1,0]
	v_fma_mix_f32 v5, v17, v28, v5 op_sel_hi:[0,1,0]
	v_dot4_i32_i8 v17, v34, v20, 0
	v_dot4_i32_i8 v17, v24, v22, v17
	v_dot4_i32_i8 v17, v35, v21, v17
	v_dot4_i32_i8 v17, v25, v23, v17
	v_cvt_f32_i32_e32 v17, v17
	v_fma_mix_f32 v16, v17, v26, -v16 op_sel_hi:[0,1,0]
	v_fma_mix_f32 v4, v16, v33, v4 op_sel_hi:[0,1,0]
	s_andn2_b64 exec, exec, s[12:13]
	s_cbranch_execnz .LBB19_2
; %bb.3:
	s_or_b64 exec, exec, s[12:13]
.LBB19_4:
	s_or_b64 exec, exec, s[10:11]
	v_cmp_eq_u32_e32 vcc, 0, v1
	v_cmp_ne_u32_e64 s[0:1], 0, v1
	v_lshlrev_b32_e32 v2, 2, v0
	s_and_saveexec_b64 s[10:11], s[0:1]
	s_cbranch_execz .LBB19_6
; %bb.5:
	v_lshl_or_b32 v1, v1, 11, v2
	v_add_u32_e32 v1, 0xfffff800, v1
	ds_write2st64_b32 v1, v11, v10 offset1:1
	ds_write2st64_b32 v1, v9, v8 offset0:2 offset1:3
	ds_write2st64_b32 v1, v7, v6 offset0:4 offset1:5
	ds_write2st64_b32 v1, v5, v4 offset0:6 offset1:7
.LBB19_6:
	s_or_b64 exec, exec, s[10:11]
	s_waitcnt lgkmcnt(0)
	s_barrier
	s_and_saveexec_b64 s[0:1], vcc
	s_cbranch_execz .LBB19_15
; %bb.7:
	v_mbcnt_lo_u32_b32 v1, -1, 0
	v_mbcnt_hi_u32_b32 v15, -1, v1
	ds_read2st64_b32 v[13:14], v2 offset1:1
	v_and_b32_e32 v1, 64, v15
	v_add_u32_e32 v16, 64, v1
	v_xor_b32_e32 v1, 32, v15
	v_cmp_lt_i32_e32 vcc, v1, v16
	v_cndmask_b32_e32 v1, v15, v1, vcc
	v_lshlrev_b32_e32 v1, 2, v1
	s_waitcnt lgkmcnt(0)
	v_add_f32_e32 v11, v13, v11
	v_add_f32_e32 v14, v14, v10
	ds_bpermute_b32 v13, v1, v11
	ds_bpermute_b32 v18, v1, v14
	v_xor_b32_e32 v3, 16, v15
	v_cmp_lt_i32_e32 vcc, v3, v16
	v_cndmask_b32_e32 v3, v15, v3, vcc
	v_lshlrev_b32_e32 v3, 2, v3
	s_waitcnt lgkmcnt(1)
	v_add_f32_e32 v11, v11, v13
	s_waitcnt lgkmcnt(0)
	v_add_f32_e32 v14, v14, v18
	ds_bpermute_b32 v13, v3, v11
	ds_bpermute_b32 v18, v3, v14
	v_xor_b32_e32 v12, 8, v15
	v_cmp_lt_i32_e32 vcc, v12, v16
	v_cndmask_b32_e32 v12, v15, v12, vcc
	v_lshlrev_b32_e32 v12, 2, v12
	s_waitcnt lgkmcnt(1)
	v_add_f32_e32 v13, v11, v13
	s_waitcnt lgkmcnt(0)
	v_add_f32_e32 v14, v14, v18
	ds_bpermute_b32 v19, v12, v13
	ds_bpermute_b32 v18, v12, v14
	v_xor_b32_e32 v17, 4, v15
	v_cmp_lt_i32_e32 vcc, v17, v16
	v_cndmask_b32_e32 v17, v15, v17, vcc
	v_lshlrev_b32_e32 v10, 2, v17
	s_waitcnt lgkmcnt(1)
	v_add_f32_e32 v13, v13, v19
	s_waitcnt lgkmcnt(0)
	v_add_f32_e32 v14, v14, v18
	ds_bpermute_b32 v19, v10, v13
	ds_bpermute_b32 v18, v10, v14
	v_xor_b32_e32 v17, 2, v15
	v_cmp_lt_i32_e32 vcc, v17, v16
	v_cndmask_b32_e32 v17, v15, v17, vcc
	v_lshlrev_b32_e32 v11, 2, v17
	v_xor_b32_e32 v17, 1, v15
	v_cmp_lt_i32_e32 vcc, v17, v16
	s_waitcnt lgkmcnt(1)
	v_add_f32_e32 v13, v13, v19
	s_waitcnt lgkmcnt(0)
	v_add_f32_e32 v14, v14, v18
	v_cndmask_b32_e32 v15, v15, v17, vcc
	ds_bpermute_b32 v16, v11, v13
	ds_bpermute_b32 v17, v11, v14
	s_load_dwordx2 s[0:1], s[4:5], 0x38
	s_mul_i32 s4, s14, s7
	v_lshlrev_b32_e32 v15, 2, v15
	s_waitcnt lgkmcnt(0)
	v_add_f32_e32 v13, v13, v16
	v_add_f32_e32 v14, v14, v17
	s_mul_i32 s3, s18, s8
	s_add_i32 s4, s4, s6
	ds_bpermute_b32 v16, v15, v13
	ds_bpermute_b32 v17, v15, v14
	s_add_i32 s4, s4, s3
	s_mov_b32 s5, 0
	s_lshl_b64 s[4:5], s[4:5], 2
	s_add_u32 s4, s0, s4
	v_add_u32_e32 v18, s6, v0
	s_addc_u32 s5, s1, s5
	v_cmp_gt_u32_e32 vcc, 2, v0
	v_cmp_gt_u32_e64 s[0:1], s2, v18
	s_and_b64 s[0:1], vcc, s[0:1]
	s_waitcnt lgkmcnt(1)
	v_add_f32_e32 v13, v13, v16
	s_waitcnt lgkmcnt(0)
	v_add_f32_e32 v14, v14, v17
	s_and_saveexec_b64 s[6:7], s[0:1]
	s_cbranch_execz .LBB19_9
; %bb.8:
	v_cmp_eq_u32_e32 vcc, 1, v0
	v_cndmask_b32_e32 v16, v13, v14, vcc
	v_cmp_eq_u32_e32 vcc, 2, v0
	v_cndmask_b32_e32 v16, v16, v9, vcc
	;; [unrolled: 2-line block ×7, first 2 shown]
	global_store_dword v2, v16, s[4:5]
.LBB19_9:
	s_or_b64 exec, exec, s[6:7]
	ds_read2st64_b32 v[16:17], v2 offset0:2 offset1:3
	s_waitcnt lgkmcnt(0)
	v_add_f32_e32 v9, v16, v9
	v_add_f32_e32 v8, v17, v8
	ds_bpermute_b32 v16, v1, v9
	ds_bpermute_b32 v17, v1, v8
	s_waitcnt lgkmcnt(1)
	v_add_f32_e32 v9, v9, v16
	s_waitcnt lgkmcnt(0)
	v_add_f32_e32 v8, v8, v17
	ds_bpermute_b32 v16, v3, v9
	ds_bpermute_b32 v17, v3, v8
	s_waitcnt lgkmcnt(1)
	v_add_f32_e32 v9, v9, v16
	s_waitcnt lgkmcnt(0)
	;; [unrolled: 6-line block ×6, first 2 shown]
	v_add_f32_e32 v8, v8, v17
	s_and_saveexec_b64 s[6:7], s[0:1]
	s_cbranch_execz .LBB19_11
; %bb.10:
	v_add_u32_e32 v16, 2, v0
	v_cmp_eq_u32_e32 vcc, 1, v16
	v_cndmask_b32_e32 v17, v13, v14, vcc
	v_cmp_eq_u32_e32 vcc, 2, v16
	v_cndmask_b32_e32 v17, v17, v9, vcc
	;; [unrolled: 2-line block ×7, first 2 shown]
	v_add_u32_e32 v16, s2, v0
	v_mov_b32_e32 v17, 0
	v_lshlrev_b64 v[16:17], 2, v[16:17]
	v_mov_b32_e32 v19, s5
	v_add_co_u32_e32 v16, vcc, s4, v16
	v_addc_co_u32_e32 v17, vcc, v19, v17, vcc
	global_store_dword v[16:17], v18, off
.LBB19_11:
	s_or_b64 exec, exec, s[6:7]
	ds_read2st64_b32 v[16:17], v2 offset0:4 offset1:5
	s_waitcnt lgkmcnt(0)
	v_add_f32_e32 v7, v16, v7
	v_add_f32_e32 v6, v17, v6
	ds_bpermute_b32 v16, v1, v7
	ds_bpermute_b32 v17, v1, v6
	s_waitcnt lgkmcnt(1)
	v_add_f32_e32 v7, v7, v16
	s_waitcnt lgkmcnt(0)
	v_add_f32_e32 v6, v6, v17
	ds_bpermute_b32 v16, v3, v7
	ds_bpermute_b32 v17, v3, v6
	s_waitcnt lgkmcnt(1)
	v_add_f32_e32 v7, v7, v16
	s_waitcnt lgkmcnt(0)
	;; [unrolled: 6-line block ×6, first 2 shown]
	v_add_f32_e32 v6, v6, v17
	s_and_saveexec_b64 s[6:7], s[0:1]
	s_cbranch_execz .LBB19_13
; %bb.12:
	v_add_u32_e32 v16, 4, v0
	v_cmp_eq_u32_e32 vcc, 1, v16
	v_cndmask_b32_e32 v17, v13, v14, vcc
	v_cmp_eq_u32_e32 vcc, 2, v16
	v_cndmask_b32_e32 v17, v17, v9, vcc
	v_cmp_eq_u32_e32 vcc, 3, v16
	v_cndmask_b32_e32 v17, v17, v8, vcc
	v_cmp_eq_u32_e32 vcc, 4, v16
	v_cndmask_b32_e32 v17, v17, v7, vcc
	v_cmp_eq_u32_e32 vcc, 5, v16
	v_cndmask_b32_e32 v17, v17, v6, vcc
	v_cmp_eq_u32_e32 vcc, 6, v16
	v_cndmask_b32_e32 v17, v17, v5, vcc
	v_cmp_eq_u32_e32 vcc, 7, v16
	v_cndmask_b32_e32 v18, v17, v4, vcc
	v_lshl_or_b32 v16, s2, 1, v0
	v_mov_b32_e32 v17, 0
	v_lshlrev_b64 v[16:17], 2, v[16:17]
	v_mov_b32_e32 v19, s5
	v_add_co_u32_e32 v16, vcc, s4, v16
	v_addc_co_u32_e32 v17, vcc, v19, v17, vcc
	global_store_dword v[16:17], v18, off
.LBB19_13:
	s_or_b64 exec, exec, s[6:7]
	ds_read2st64_b32 v[16:17], v2 offset0:6 offset1:7
	s_waitcnt lgkmcnt(0)
	v_add_f32_e32 v2, v16, v5
	v_add_f32_e32 v4, v17, v4
	ds_bpermute_b32 v5, v1, v2
	ds_bpermute_b32 v1, v1, v4
	s_waitcnt lgkmcnt(1)
	v_add_f32_e32 v2, v2, v5
	s_waitcnt lgkmcnt(0)
	v_add_f32_e32 v1, v4, v1
	ds_bpermute_b32 v4, v3, v2
	ds_bpermute_b32 v3, v3, v1
	s_waitcnt lgkmcnt(1)
	v_add_f32_e32 v2, v2, v4
	s_waitcnt lgkmcnt(0)
	;; [unrolled: 6-line block ×5, first 2 shown]
	v_add_f32_e32 v2, v3, v4
	ds_bpermute_b32 v3, v15, v1
	ds_bpermute_b32 v4, v15, v2
	s_and_b64 exec, exec, s[0:1]
	s_cbranch_execz .LBB19_15
; %bb.14:
	s_waitcnt lgkmcnt(1)
	v_add_f32_e32 v1, v1, v3
	v_add_u32_e32 v3, 6, v0
	v_cmp_eq_u32_e32 vcc, 1, v3
	s_waitcnt lgkmcnt(0)
	v_add_f32_e32 v2, v2, v4
	v_cndmask_b32_e32 v4, v13, v14, vcc
	v_cmp_eq_u32_e32 vcc, 2, v3
	v_cndmask_b32_e32 v4, v4, v9, vcc
	v_cmp_eq_u32_e32 vcc, 3, v3
	;; [unrolled: 2-line block ×5, first 2 shown]
	v_cndmask_b32_e32 v4, v4, v1, vcc
	v_mad_u64_u32 v[0:1], s[0:1], s2, 3, v[0:1]
	v_mov_b32_e32 v1, 0
	v_cmp_eq_u32_e32 vcc, 7, v3
	v_lshlrev_b64 v[0:1], 2, v[0:1]
	v_cndmask_b32_e32 v2, v4, v2, vcc
	v_mov_b32_e32 v3, s5
	v_add_co_u32_e32 v0, vcc, s4, v0
	v_addc_co_u32_e32 v1, vcc, v3, v1, vcc
	global_store_dword v[0:1], v2, off
.LBB19_15:
	s_endpgm
	.section	.rodata,"a",@progbits
	.p2align	6, 0x0
	.amdhsa_kernel _ZL13mul_mat_vec_qIL9ggml_type2ELi4ELb0ELb0EEvPKvS2_PKi31ggml_cuda_mm_fusion_args_devicePfj15HIP_vector_typeIjLj3EEjjjS8_jjjS8_jjjj
		.amdhsa_group_segment_fixed_size 2048
		.amdhsa_private_segment_fixed_size 0
		.amdhsa_kernarg_size 144
		.amdhsa_user_sgpr_count 6
		.amdhsa_user_sgpr_private_segment_buffer 1
		.amdhsa_user_sgpr_dispatch_ptr 0
		.amdhsa_user_sgpr_queue_ptr 0
		.amdhsa_user_sgpr_kernarg_segment_ptr 1
		.amdhsa_user_sgpr_dispatch_id 0
		.amdhsa_user_sgpr_flat_scratch_init 0
		.amdhsa_user_sgpr_private_segment_size 0
		.amdhsa_uses_dynamic_stack 0
		.amdhsa_system_sgpr_private_segment_wavefront_offset 0
		.amdhsa_system_sgpr_workgroup_id_x 1
		.amdhsa_system_sgpr_workgroup_id_y 1
		.amdhsa_system_sgpr_workgroup_id_z 1
		.amdhsa_system_sgpr_workgroup_info 0
		.amdhsa_system_vgpr_workitem_id 1
		.amdhsa_next_free_vgpr 36
		.amdhsa_next_free_sgpr 61
		.amdhsa_reserve_vcc 1
		.amdhsa_reserve_flat_scratch 0
		.amdhsa_float_round_mode_32 0
		.amdhsa_float_round_mode_16_64 0
		.amdhsa_float_denorm_mode_32 3
		.amdhsa_float_denorm_mode_16_64 3
		.amdhsa_dx10_clamp 1
		.amdhsa_ieee_mode 1
		.amdhsa_fp16_overflow 0
		.amdhsa_exception_fp_ieee_invalid_op 0
		.amdhsa_exception_fp_denorm_src 0
		.amdhsa_exception_fp_ieee_div_zero 0
		.amdhsa_exception_fp_ieee_overflow 0
		.amdhsa_exception_fp_ieee_underflow 0
		.amdhsa_exception_fp_ieee_inexact 0
		.amdhsa_exception_int_div_zero 0
	.end_amdhsa_kernel
	.section	.text._ZL13mul_mat_vec_qIL9ggml_type2ELi4ELb0ELb0EEvPKvS2_PKi31ggml_cuda_mm_fusion_args_devicePfj15HIP_vector_typeIjLj3EEjjjS8_jjjS8_jjjj,"axG",@progbits,_ZL13mul_mat_vec_qIL9ggml_type2ELi4ELb0ELb0EEvPKvS2_PKi31ggml_cuda_mm_fusion_args_devicePfj15HIP_vector_typeIjLj3EEjjjS8_jjjS8_jjjj,comdat
.Lfunc_end19:
	.size	_ZL13mul_mat_vec_qIL9ggml_type2ELi4ELb0ELb0EEvPKvS2_PKi31ggml_cuda_mm_fusion_args_devicePfj15HIP_vector_typeIjLj3EEjjjS8_jjjS8_jjjj, .Lfunc_end19-_ZL13mul_mat_vec_qIL9ggml_type2ELi4ELb0ELb0EEvPKvS2_PKi31ggml_cuda_mm_fusion_args_devicePfj15HIP_vector_typeIjLj3EEjjjS8_jjjS8_jjjj
                                        ; -- End function
	.set _ZL13mul_mat_vec_qIL9ggml_type2ELi4ELb0ELb0EEvPKvS2_PKi31ggml_cuda_mm_fusion_args_devicePfj15HIP_vector_typeIjLj3EEjjjS8_jjjS8_jjjj.num_vgpr, 36
	.set _ZL13mul_mat_vec_qIL9ggml_type2ELi4ELb0ELb0EEvPKvS2_PKi31ggml_cuda_mm_fusion_args_devicePfj15HIP_vector_typeIjLj3EEjjjS8_jjjS8_jjjj.num_agpr, 0
	.set _ZL13mul_mat_vec_qIL9ggml_type2ELi4ELb0ELb0EEvPKvS2_PKi31ggml_cuda_mm_fusion_args_devicePfj15HIP_vector_typeIjLj3EEjjjS8_jjjS8_jjjj.numbered_sgpr, 26
	.set _ZL13mul_mat_vec_qIL9ggml_type2ELi4ELb0ELb0EEvPKvS2_PKi31ggml_cuda_mm_fusion_args_devicePfj15HIP_vector_typeIjLj3EEjjjS8_jjjS8_jjjj.num_named_barrier, 0
	.set _ZL13mul_mat_vec_qIL9ggml_type2ELi4ELb0ELb0EEvPKvS2_PKi31ggml_cuda_mm_fusion_args_devicePfj15HIP_vector_typeIjLj3EEjjjS8_jjjS8_jjjj.private_seg_size, 0
	.set _ZL13mul_mat_vec_qIL9ggml_type2ELi4ELb0ELb0EEvPKvS2_PKi31ggml_cuda_mm_fusion_args_devicePfj15HIP_vector_typeIjLj3EEjjjS8_jjjS8_jjjj.uses_vcc, 1
	.set _ZL13mul_mat_vec_qIL9ggml_type2ELi4ELb0ELb0EEvPKvS2_PKi31ggml_cuda_mm_fusion_args_devicePfj15HIP_vector_typeIjLj3EEjjjS8_jjjS8_jjjj.uses_flat_scratch, 0
	.set _ZL13mul_mat_vec_qIL9ggml_type2ELi4ELb0ELb0EEvPKvS2_PKi31ggml_cuda_mm_fusion_args_devicePfj15HIP_vector_typeIjLj3EEjjjS8_jjjS8_jjjj.has_dyn_sized_stack, 0
	.set _ZL13mul_mat_vec_qIL9ggml_type2ELi4ELb0ELb0EEvPKvS2_PKi31ggml_cuda_mm_fusion_args_devicePfj15HIP_vector_typeIjLj3EEjjjS8_jjjS8_jjjj.has_recursion, 0
	.set _ZL13mul_mat_vec_qIL9ggml_type2ELi4ELb0ELb0EEvPKvS2_PKi31ggml_cuda_mm_fusion_args_devicePfj15HIP_vector_typeIjLj3EEjjjS8_jjjS8_jjjj.has_indirect_call, 0
	.section	.AMDGPU.csdata,"",@progbits
; Kernel info:
; codeLenInByte = 2708
; TotalNumSgprs: 30
; NumVgprs: 36
; ScratchSize: 0
; MemoryBound: 0
; FloatMode: 240
; IeeeMode: 1
; LDSByteSize: 2048 bytes/workgroup (compile time only)
; SGPRBlocks: 8
; VGPRBlocks: 8
; NumSGPRsForWavesPerEU: 65
; NumVGPRsForWavesPerEU: 36
; Occupancy: 7
; WaveLimiterHint : 0
; COMPUTE_PGM_RSRC2:SCRATCH_EN: 0
; COMPUTE_PGM_RSRC2:USER_SGPR: 6
; COMPUTE_PGM_RSRC2:TRAP_HANDLER: 0
; COMPUTE_PGM_RSRC2:TGID_X_EN: 1
; COMPUTE_PGM_RSRC2:TGID_Y_EN: 1
; COMPUTE_PGM_RSRC2:TGID_Z_EN: 1
; COMPUTE_PGM_RSRC2:TIDIG_COMP_CNT: 1
	.section	.text._ZL13mul_mat_vec_qIL9ggml_type2ELi5ELb0ELb0EEvPKvS2_PKi31ggml_cuda_mm_fusion_args_devicePfj15HIP_vector_typeIjLj3EEjjjS8_jjjS8_jjjj,"axG",@progbits,_ZL13mul_mat_vec_qIL9ggml_type2ELi5ELb0ELb0EEvPKvS2_PKi31ggml_cuda_mm_fusion_args_devicePfj15HIP_vector_typeIjLj3EEjjjS8_jjjS8_jjjj,comdat
	.globl	_ZL13mul_mat_vec_qIL9ggml_type2ELi5ELb0ELb0EEvPKvS2_PKi31ggml_cuda_mm_fusion_args_devicePfj15HIP_vector_typeIjLj3EEjjjS8_jjjS8_jjjj ; -- Begin function _ZL13mul_mat_vec_qIL9ggml_type2ELi5ELb0ELb0EEvPKvS2_PKi31ggml_cuda_mm_fusion_args_devicePfj15HIP_vector_typeIjLj3EEjjjS8_jjjS8_jjjj
	.p2align	8
	.type	_ZL13mul_mat_vec_qIL9ggml_type2ELi5ELb0ELb0EEvPKvS2_PKi31ggml_cuda_mm_fusion_args_devicePfj15HIP_vector_typeIjLj3EEjjjS8_jjjS8_jjjj,@function
_ZL13mul_mat_vec_qIL9ggml_type2ELi5ELb0ELb0EEvPKvS2_PKi31ggml_cuda_mm_fusion_args_devicePfj15HIP_vector_typeIjLj3EEjjjS8_jjjS8_jjjj: ; @_ZL13mul_mat_vec_qIL9ggml_type2ELi5ELb0ELb0EEvPKvS2_PKi31ggml_cuda_mm_fusion_args_devicePfj15HIP_vector_typeIjLj3EEjjjS8_jjjS8_jjjj
; %bb.0:
	s_load_dword s9, s[4:5], 0x40
	s_load_dwordx4 s[0:3], s[4:5], 0x50
	s_load_dword s25, s[4:5], 0x60
	s_load_dwordx4 s[12:15], s[4:5], 0x68
	;; [unrolled: 2-line block ×3, first 2 shown]
	v_lshl_or_b32 v2, v1, 6, v0
	s_waitcnt lgkmcnt(0)
	s_lshr_b32 s9, s9, 5
	v_lshrrev_b16_e32 v14, 1, v2
	v_mov_b32_e32 v4, 0
	s_lshl_b32 s6, s6, 1
	v_cmp_gt_u32_e32 vcc, s9, v14
	v_mov_b32_e32 v5, v4
	v_mov_b32_e32 v6, v4
	;; [unrolled: 1-line block ×9, first 2 shown]
	s_and_saveexec_b64 s[10:11], vcc
	s_cbranch_execz .LBB20_4
; %bb.1:
	s_load_dwordx4 s[20:23], s[4:5], 0x0
	s_mul_i32 s17, s17, s8
	s_mul_hi_u32 s19, s17, 36
	s_mul_i32 s17, s17, 36
	s_mul_i32 s13, s13, s7
	s_waitcnt lgkmcnt(0)
	s_add_u32 s17, s22, s17
	s_addc_u32 s19, s23, s19
	s_mul_hi_u32 s23, s13, 36
	s_mul_i32 s13, s13, 36
	s_add_u32 s22, s17, s13
	s_mul_hi_u32 s3, s3, s7
	s_addc_u32 s23, s19, s23
	s_add_i32 s3, s7, s3
	s_lshr_b32 s3, s3, s25
	s_mul_i32 s3, s3, s12
	s_mul_hi_u32 s12, s15, s8
	s_add_i32 s12, s8, s12
	s_lshr_b32 s12, s12, s24
	s_mul_i32 s12, s12, s16
	v_lshlrev_b32_e32 v3, 1, v0
	s_add_i32 s13, s6, 1
	v_and_b32_e32 v5, 2, v3
	s_add_i32 s12, s12, s3
	s_mul_i32 s3, s6, s0
	s_mul_i32 s0, s0, s13
	v_and_b32_e32 v3, 1, v0
	v_lshrrev_b32_e32 v2, 1, v2
	s_add_i32 s3, s12, s3
	s_add_i32 s0, s12, s0
	v_lshlrev_b32_e32 v15, 3, v3
	v_mad_u64_u32 v[2:3], s[12:13], v2, 36, s[22:23]
	v_lshlrev_b32_e32 v6, 1, v5
	v_mov_b32_e32 v4, 0
	s_lshl_b32 s15, s1, 1
	s_mul_i32 s16, s1, 3
	s_lshl_b32 s17, s1, 2
	s_mov_b64 s[12:13], 0
	v_lshlrev_b32_e32 v16, 1, v6
	v_lshlrev_b32_e32 v17, 2, v5
	v_mov_b32_e32 v5, v4
	v_mov_b32_e32 v6, v4
	;; [unrolled: 1-line block ×9, first 2 shown]
.LBB20_2:                               ; =>This Inner Loop Header: Depth=1
	v_add_co_u32_e32 v18, vcc, v2, v15
	v_addc_co_u32_e32 v19, vcc, 0, v3, vcc
	global_load_dwordx2 v[20:21], v[18:19], off offset:4
	global_load_dwordx2 v[22:23], v[18:19], off offset:20
	global_load_dword v28, v[2:3], off
	v_add_u32_e32 v24, s3, v14
	s_waitcnt vmcnt(0)
	v_cvt_f32_f16_sdwa v18, v28 dst_sel:DWORD dst_unused:UNUSED_PAD src0_sel:WORD_1
	v_mul_f32_e32 v29, 4.0, v18
	v_mad_i64_i32 v[18:19], s[24:25], v24, 18, s[20:21]
	v_add_co_u32_e32 v24, vcc, v18, v16
	v_addc_co_u32_e32 v25, vcc, 0, v19, vcc
	global_load_dwordx2 v[26:27], v[24:25], off offset:2
	global_load_ushort v30, v[18:19], off
	s_waitcnt vmcnt(1)
	v_and_b32_e32 v31, 0xf0f0f0f, v26
	v_lshrrev_b32_e32 v18, 4, v26
	v_and_b32_e32 v32, 0xf0f0f0f, v18
	v_dot4_i32_i8 v18, v31, v20, 0
	v_dot4_i32_i8 v18, v32, v22, v18
	v_and_b32_e32 v33, 0xf0f0f0f, v27
	v_lshrrev_b32_e32 v19, 4, v27
	v_and_b32_e32 v34, 0xf0f0f0f, v19
	v_dot4_i32_i8 v18, v33, v21, v18
	v_dot4_i32_i8 v18, v34, v23, v18
	v_cvt_f32_i32_e32 v18, v18
	v_fma_mix_f32 v18, v18, v28, -v29 op_sel_hi:[0,1,0]
	s_waitcnt vmcnt(0)
	v_fma_mix_f32 v13, v18, v30, v13 op_sel_hi:[0,1,0]
	v_add_u32_e32 v18, s0, v14
	v_mad_i64_i32 v[18:19], s[24:25], v18, 18, s[20:21]
	v_add_co_u32_e32 v24, vcc, v18, v16
	v_addc_co_u32_e32 v25, vcc, 0, v19, vcc
	global_load_dwordx2 v[26:27], v[24:25], off offset:2
	global_load_ushort v35, v[18:19], off
	s_waitcnt vmcnt(1)
	v_and_b32_e32 v36, 0xf0f0f0f, v26
	v_lshrrev_b32_e32 v18, 4, v26
	v_and_b32_e32 v26, 0xf0f0f0f, v18
	v_dot4_i32_i8 v18, v36, v20, 0
	v_dot4_i32_i8 v18, v26, v22, v18
	v_and_b32_e32 v37, 0xf0f0f0f, v27
	v_lshrrev_b32_e32 v19, 4, v27
	v_and_b32_e32 v27, 0xf0f0f0f, v19
	v_dot4_i32_i8 v18, v37, v21, v18
	v_dot4_i32_i8 v18, v27, v23, v18
	v_cvt_f32_i32_e32 v18, v18
	v_fma_mix_f32 v18, v18, v28, -v29 op_sel_hi:[0,1,0]
	s_waitcnt vmcnt(0)
	v_fma_mix_f32 v12, v18, v35, v12 op_sel_hi:[0,1,0]
	v_add_u32_e32 v18, s1, v14
	v_mad_u64_u32 v[18:19], s[24:25], v18, 36, s[22:23]
	v_add_co_u32_e32 v20, vcc, v18, v17
	v_addc_co_u32_e32 v21, vcc, 0, v19, vcc
	global_load_dwordx2 v[22:23], v[20:21], off offset:4
	global_load_dwordx2 v[24:25], v[20:21], off offset:20
                                        ; kill: killed $vgpr20 killed $vgpr21
	s_nop 0
	global_load_dword v18, v[18:19], off
	s_waitcnt vmcnt(2)
	v_dot4_i32_i8 v20, v31, v22, 0
	s_waitcnt vmcnt(1)
	v_dot4_i32_i8 v20, v32, v24, v20
	v_dot4_i32_i8 v20, v33, v23, v20
	s_waitcnt vmcnt(0)
	v_cvt_f32_f16_sdwa v19, v18 dst_sel:DWORD dst_unused:UNUSED_PAD src0_sel:WORD_1
	v_dot4_i32_i8 v20, v34, v25, v20
	v_cvt_f32_i32_e32 v20, v20
	v_mul_f32_e32 v19, 4.0, v19
	v_fma_mix_f32 v20, v20, v18, -v19 op_sel_hi:[0,1,0]
	v_fma_mix_f32 v11, v20, v30, v11 op_sel_hi:[0,1,0]
	v_dot4_i32_i8 v20, v36, v22, 0
	v_dot4_i32_i8 v20, v26, v24, v20
	v_dot4_i32_i8 v20, v37, v23, v20
	v_dot4_i32_i8 v20, v27, v25, v20
	v_cvt_f32_i32_e32 v20, v20
	v_fma_mix_f32 v18, v20, v18, -v19 op_sel_hi:[0,1,0]
	v_fma_mix_f32 v10, v18, v35, v10 op_sel_hi:[0,1,0]
	v_add_u32_e32 v18, s15, v14
	v_mad_u64_u32 v[18:19], s[24:25], v18, 36, s[22:23]
	v_add_co_u32_e32 v20, vcc, v18, v17
	v_addc_co_u32_e32 v21, vcc, 0, v19, vcc
	global_load_dwordx2 v[22:23], v[20:21], off offset:4
	global_load_dwordx2 v[24:25], v[20:21], off offset:20
                                        ; kill: killed $vgpr20 killed $vgpr21
	s_nop 0
	global_load_dword v18, v[18:19], off
	s_waitcnt vmcnt(2)
	v_dot4_i32_i8 v20, v31, v22, 0
	s_waitcnt vmcnt(1)
	v_dot4_i32_i8 v20, v32, v24, v20
	v_dot4_i32_i8 v20, v33, v23, v20
	s_waitcnt vmcnt(0)
	v_cvt_f32_f16_sdwa v19, v18 dst_sel:DWORD dst_unused:UNUSED_PAD src0_sel:WORD_1
	v_dot4_i32_i8 v20, v34, v25, v20
	v_cvt_f32_i32_e32 v20, v20
	v_mul_f32_e32 v19, 4.0, v19
	v_fma_mix_f32 v20, v20, v18, -v19 op_sel_hi:[0,1,0]
	v_fma_mix_f32 v9, v20, v30, v9 op_sel_hi:[0,1,0]
	v_dot4_i32_i8 v20, v36, v22, 0
	v_dot4_i32_i8 v20, v26, v24, v20
	v_dot4_i32_i8 v20, v37, v23, v20
	v_dot4_i32_i8 v20, v27, v25, v20
	v_cvt_f32_i32_e32 v20, v20
	v_fma_mix_f32 v18, v20, v18, -v19 op_sel_hi:[0,1,0]
	;; [unrolled: 28-line block ×3, first 2 shown]
	v_fma_mix_f32 v6, v18, v35, v6 op_sel_hi:[0,1,0]
	v_add_u32_e32 v18, s17, v14
	v_mad_u64_u32 v[18:19], s[24:25], v18, 36, s[22:23]
	v_add_u32_e32 v14, 32, v14
	v_add_co_u32_e32 v20, vcc, v18, v17
	v_addc_co_u32_e32 v21, vcc, 0, v19, vcc
	global_load_dwordx2 v[22:23], v[20:21], off offset:4
	global_load_dwordx2 v[24:25], v[20:21], off offset:20
                                        ; kill: killed $vgpr20 killed $vgpr21
	s_nop 0
	global_load_dword v18, v[18:19], off
	v_add_co_u32_e32 v2, vcc, 0x480, v2
	v_addc_co_u32_e32 v3, vcc, 0, v3, vcc
	v_cmp_le_u32_e32 vcc, s9, v14
	s_or_b64 s[12:13], vcc, s[12:13]
	s_waitcnt vmcnt(2)
	v_dot4_i32_i8 v20, v31, v22, 0
	s_waitcnt vmcnt(1)
	v_dot4_i32_i8 v20, v32, v24, v20
	v_dot4_i32_i8 v20, v33, v23, v20
	s_waitcnt vmcnt(0)
	v_cvt_f32_f16_sdwa v19, v18 dst_sel:DWORD dst_unused:UNUSED_PAD src0_sel:WORD_1
	v_dot4_i32_i8 v20, v34, v25, v20
	v_cvt_f32_i32_e32 v20, v20
	v_mul_f32_e32 v19, 4.0, v19
	v_fma_mix_f32 v20, v20, v18, -v19 op_sel_hi:[0,1,0]
	v_fma_mix_f32 v5, v20, v30, v5 op_sel_hi:[0,1,0]
	v_dot4_i32_i8 v20, v36, v22, 0
	v_dot4_i32_i8 v20, v26, v24, v20
	;; [unrolled: 1-line block ×4, first 2 shown]
	v_cvt_f32_i32_e32 v20, v20
	v_fma_mix_f32 v18, v20, v18, -v19 op_sel_hi:[0,1,0]
	v_fma_mix_f32 v4, v18, v35, v4 op_sel_hi:[0,1,0]
	s_andn2_b64 exec, exec, s[12:13]
	s_cbranch_execnz .LBB20_2
; %bb.3:
	s_or_b64 exec, exec, s[12:13]
.LBB20_4:
	s_or_b64 exec, exec, s[10:11]
	s_mov_b32 s1, 0
	v_cmp_eq_u32_e32 vcc, 0, v1
	; wave barrier
	s_and_saveexec_b64 s[10:11], vcc
	s_cbranch_execz .LBB20_15
; %bb.5:
	v_mbcnt_lo_u32_b32 v1, -1, 0
	v_mbcnt_hi_u32_b32 v15, -1, v1
	v_and_b32_e32 v1, 64, v15
	v_add_u32_e32 v16, 64, v1
	v_xor_b32_e32 v1, 32, v15
	v_cmp_lt_i32_e32 vcc, v1, v16
	v_cndmask_b32_e32 v1, v15, v1, vcc
	v_lshlrev_b32_e32 v1, 2, v1
	ds_bpermute_b32 v17, v1, v13
	ds_bpermute_b32 v18, v1, v12
	v_xor_b32_e32 v2, 16, v15
	v_cmp_lt_i32_e32 vcc, v2, v16
	v_cndmask_b32_e32 v2, v15, v2, vcc
	v_lshlrev_b32_e32 v2, 2, v2
	s_waitcnt lgkmcnt(1)
	v_add_f32_e32 v13, v13, v17
	s_waitcnt lgkmcnt(0)
	v_add_f32_e32 v12, v12, v18
	ds_bpermute_b32 v17, v2, v13
	ds_bpermute_b32 v18, v2, v12
	v_xor_b32_e32 v3, 8, v15
	v_cmp_lt_i32_e32 vcc, v3, v16
	v_cndmask_b32_e32 v3, v15, v3, vcc
	v_lshlrev_b32_e32 v3, 2, v3
	s_waitcnt lgkmcnt(1)
	v_add_f32_e32 v13, v13, v17
	s_waitcnt lgkmcnt(0)
	v_add_f32_e32 v18, v12, v18
	;; [unrolled: 10-line block ×3, first 2 shown]
	ds_bpermute_b32 v17, v14, v13
	ds_bpermute_b32 v20, v14, v18
	v_xor_b32_e32 v19, 2, v15
	v_cmp_lt_i32_e32 vcc, v19, v16
	v_cndmask_b32_e32 v19, v15, v19, vcc
	v_lshlrev_b32_e32 v12, 2, v19
	v_xor_b32_e32 v19, 1, v15
	v_cmp_lt_i32_e32 vcc, v19, v16
	s_waitcnt lgkmcnt(1)
	v_add_f32_e32 v13, v13, v17
	s_waitcnt lgkmcnt(0)
	v_add_f32_e32 v18, v18, v20
	v_cndmask_b32_e32 v15, v15, v19, vcc
	ds_bpermute_b32 v17, v12, v13
	ds_bpermute_b32 v19, v12, v18
	s_load_dwordx2 s[4:5], s[4:5], 0x38
	s_mul_i32 s3, s14, s7
	v_lshlrev_b32_e32 v16, 2, v15
	s_waitcnt lgkmcnt(0)
	v_add_f32_e32 v13, v13, v17
	v_add_f32_e32 v17, v18, v19
	s_mul_i32 s0, s18, s8
	s_add_i32 s3, s3, s6
	ds_bpermute_b32 v15, v16, v13
	ds_bpermute_b32 v18, v16, v17
	s_add_i32 s0, s3, s0
	s_lshl_b64 s[0:1], s[0:1], 2
	s_add_u32 s4, s4, s0
	v_add_u32_e32 v19, s6, v0
	s_addc_u32 s5, s5, s1
	v_cmp_gt_u32_e32 vcc, 2, v0
	v_cmp_gt_u32_e64 s[0:1], s2, v19
	s_and_b64 s[0:1], vcc, s[0:1]
	s_waitcnt lgkmcnt(1)
	v_add_f32_e32 v13, v13, v15
	s_waitcnt lgkmcnt(0)
	v_add_f32_e32 v15, v17, v18
	s_and_saveexec_b64 s[6:7], s[0:1]
	s_cbranch_execz .LBB20_7
; %bb.6:
	v_cmp_eq_u32_e32 vcc, 1, v0
	v_cndmask_b32_e32 v17, v13, v15, vcc
	v_cmp_eq_u32_e32 vcc, 2, v0
	v_cndmask_b32_e32 v17, v17, v11, vcc
	;; [unrolled: 2-line block ×9, first 2 shown]
	v_lshlrev_b32_e32 v18, 2, v0
	global_store_dword v18, v17, s[4:5]
.LBB20_7:
	s_or_b64 exec, exec, s[6:7]
	ds_bpermute_b32 v17, v1, v11
	ds_bpermute_b32 v18, v1, v10
	s_waitcnt lgkmcnt(1)
	v_add_f32_e32 v11, v11, v17
	s_waitcnt lgkmcnt(0)
	v_add_f32_e32 v10, v10, v18
	ds_bpermute_b32 v17, v2, v11
	ds_bpermute_b32 v18, v2, v10
	s_waitcnt lgkmcnt(1)
	v_add_f32_e32 v11, v11, v17
	s_waitcnt lgkmcnt(0)
	v_add_f32_e32 v10, v10, v18
	;; [unrolled: 6-line block ×6, first 2 shown]
	s_and_saveexec_b64 s[6:7], s[0:1]
	s_cbranch_execz .LBB20_9
; %bb.8:
	v_add_u32_e32 v17, 2, v0
	v_cmp_eq_u32_e32 vcc, 1, v17
	v_cndmask_b32_e32 v18, v13, v15, vcc
	v_cmp_eq_u32_e32 vcc, 2, v17
	v_cndmask_b32_e32 v18, v18, v11, vcc
	;; [unrolled: 2-line block ×9, first 2 shown]
	v_add_u32_e32 v17, s2, v0
	v_mov_b32_e32 v18, 0
	v_lshlrev_b64 v[17:18], 2, v[17:18]
	v_mov_b32_e32 v20, s5
	v_add_co_u32_e32 v17, vcc, s4, v17
	v_addc_co_u32_e32 v18, vcc, v20, v18, vcc
	global_store_dword v[17:18], v19, off
.LBB20_9:
	s_or_b64 exec, exec, s[6:7]
	ds_bpermute_b32 v17, v1, v9
	ds_bpermute_b32 v18, v1, v8
	s_waitcnt lgkmcnt(1)
	v_add_f32_e32 v9, v9, v17
	s_waitcnt lgkmcnt(0)
	v_add_f32_e32 v8, v8, v18
	ds_bpermute_b32 v17, v2, v9
	ds_bpermute_b32 v18, v2, v8
	s_waitcnt lgkmcnt(1)
	v_add_f32_e32 v9, v9, v17
	s_waitcnt lgkmcnt(0)
	v_add_f32_e32 v8, v8, v18
	;; [unrolled: 6-line block ×6, first 2 shown]
	s_and_saveexec_b64 s[6:7], s[0:1]
	s_cbranch_execz .LBB20_11
; %bb.10:
	v_add_u32_e32 v17, 4, v0
	v_cmp_eq_u32_e32 vcc, 1, v17
	v_cndmask_b32_e32 v18, v13, v15, vcc
	v_cmp_eq_u32_e32 vcc, 2, v17
	v_cndmask_b32_e32 v18, v18, v11, vcc
	;; [unrolled: 2-line block ×9, first 2 shown]
	v_lshl_or_b32 v17, s2, 1, v0
	v_mov_b32_e32 v18, 0
	v_lshlrev_b64 v[17:18], 2, v[17:18]
	v_mov_b32_e32 v20, s5
	v_add_co_u32_e32 v17, vcc, s4, v17
	v_addc_co_u32_e32 v18, vcc, v20, v18, vcc
	global_store_dword v[17:18], v19, off
.LBB20_11:
	s_or_b64 exec, exec, s[6:7]
	ds_bpermute_b32 v17, v1, v7
	ds_bpermute_b32 v18, v1, v6
	s_waitcnt lgkmcnt(1)
	v_add_f32_e32 v7, v7, v17
	s_waitcnt lgkmcnt(0)
	v_add_f32_e32 v6, v6, v18
	ds_bpermute_b32 v17, v2, v7
	ds_bpermute_b32 v18, v2, v6
	s_waitcnt lgkmcnt(1)
	v_add_f32_e32 v7, v7, v17
	s_waitcnt lgkmcnt(0)
	v_add_f32_e32 v6, v6, v18
	;; [unrolled: 6-line block ×6, first 2 shown]
	s_and_saveexec_b64 s[6:7], s[0:1]
	s_cbranch_execz .LBB20_13
; %bb.12:
	v_add_u32_e32 v19, 6, v0
	v_cmp_eq_u32_e32 vcc, 1, v19
	v_cndmask_b32_e32 v17, v13, v15, vcc
	v_cmp_eq_u32_e32 vcc, 2, v19
	v_cndmask_b32_e32 v17, v17, v11, vcc
	;; [unrolled: 2-line block ×8, first 2 shown]
	v_mad_u64_u32 v[17:18], s[8:9], s2, 3, v[0:1]
	v_mov_b32_e32 v18, 0
	v_cmp_eq_u32_e32 vcc, 9, v19
	v_lshlrev_b64 v[17:18], 2, v[17:18]
	v_cndmask_b32_e32 v19, v20, v4, vcc
	v_mov_b32_e32 v20, s5
	v_add_co_u32_e32 v17, vcc, s4, v17
	v_addc_co_u32_e32 v18, vcc, v20, v18, vcc
	global_store_dword v[17:18], v19, off
.LBB20_13:
	s_or_b64 exec, exec, s[6:7]
	ds_bpermute_b32 v17, v1, v5
	ds_bpermute_b32 v1, v1, v4
	s_waitcnt lgkmcnt(1)
	v_add_f32_e32 v5, v5, v17
	s_waitcnt lgkmcnt(0)
	v_add_f32_e32 v1, v4, v1
	ds_bpermute_b32 v4, v2, v5
	ds_bpermute_b32 v2, v2, v1
	s_waitcnt lgkmcnt(1)
	v_add_f32_e32 v4, v5, v4
	s_waitcnt lgkmcnt(0)
	v_add_f32_e32 v1, v1, v2
	;; [unrolled: 6-line block ×5, first 2 shown]
	ds_bpermute_b32 v3, v16, v1
	ds_bpermute_b32 v4, v16, v2
	s_and_b64 exec, exec, s[0:1]
	s_cbranch_execz .LBB20_15
; %bb.14:
	s_waitcnt lgkmcnt(1)
	v_add_f32_e32 v1, v1, v3
	v_add_u32_e32 v3, 8, v0
	v_cmp_eq_u32_e32 vcc, 1, v3
	s_waitcnt lgkmcnt(0)
	v_add_f32_e32 v2, v2, v4
	v_cndmask_b32_e32 v4, v13, v15, vcc
	v_cmp_eq_u32_e32 vcc, 2, v3
	v_cndmask_b32_e32 v4, v4, v11, vcc
	v_cmp_eq_u32_e32 vcc, 3, v3
	;; [unrolled: 2-line block ×8, first 2 shown]
	v_cndmask_b32_e32 v2, v1, v2, vcc
	v_lshl_or_b32 v0, s2, 2, v0
	v_mov_b32_e32 v1, 0
	v_lshlrev_b64 v[0:1], 2, v[0:1]
	v_mov_b32_e32 v3, s5
	v_add_co_u32_e32 v0, vcc, s4, v0
	v_addc_co_u32_e32 v1, vcc, v3, v1, vcc
	global_store_dword v[0:1], v2, off
.LBB20_15:
	s_endpgm
	.section	.rodata,"a",@progbits
	.p2align	6, 0x0
	.amdhsa_kernel _ZL13mul_mat_vec_qIL9ggml_type2ELi5ELb0ELb0EEvPKvS2_PKi31ggml_cuda_mm_fusion_args_devicePfj15HIP_vector_typeIjLj3EEjjjS8_jjjS8_jjjj
		.amdhsa_group_segment_fixed_size 0
		.amdhsa_private_segment_fixed_size 0
		.amdhsa_kernarg_size 144
		.amdhsa_user_sgpr_count 6
		.amdhsa_user_sgpr_private_segment_buffer 1
		.amdhsa_user_sgpr_dispatch_ptr 0
		.amdhsa_user_sgpr_queue_ptr 0
		.amdhsa_user_sgpr_kernarg_segment_ptr 1
		.amdhsa_user_sgpr_dispatch_id 0
		.amdhsa_user_sgpr_flat_scratch_init 0
		.amdhsa_user_sgpr_private_segment_size 0
		.amdhsa_uses_dynamic_stack 0
		.amdhsa_system_sgpr_private_segment_wavefront_offset 0
		.amdhsa_system_sgpr_workgroup_id_x 1
		.amdhsa_system_sgpr_workgroup_id_y 1
		.amdhsa_system_sgpr_workgroup_id_z 1
		.amdhsa_system_sgpr_workgroup_info 0
		.amdhsa_system_vgpr_workitem_id 1
		.amdhsa_next_free_vgpr 38
		.amdhsa_next_free_sgpr 26
		.amdhsa_reserve_vcc 1
		.amdhsa_reserve_flat_scratch 0
		.amdhsa_float_round_mode_32 0
		.amdhsa_float_round_mode_16_64 0
		.amdhsa_float_denorm_mode_32 3
		.amdhsa_float_denorm_mode_16_64 3
		.amdhsa_dx10_clamp 1
		.amdhsa_ieee_mode 1
		.amdhsa_fp16_overflow 0
		.amdhsa_exception_fp_ieee_invalid_op 0
		.amdhsa_exception_fp_denorm_src 0
		.amdhsa_exception_fp_ieee_div_zero 0
		.amdhsa_exception_fp_ieee_overflow 0
		.amdhsa_exception_fp_ieee_underflow 0
		.amdhsa_exception_fp_ieee_inexact 0
		.amdhsa_exception_int_div_zero 0
	.end_amdhsa_kernel
	.section	.text._ZL13mul_mat_vec_qIL9ggml_type2ELi5ELb0ELb0EEvPKvS2_PKi31ggml_cuda_mm_fusion_args_devicePfj15HIP_vector_typeIjLj3EEjjjS8_jjjS8_jjjj,"axG",@progbits,_ZL13mul_mat_vec_qIL9ggml_type2ELi5ELb0ELb0EEvPKvS2_PKi31ggml_cuda_mm_fusion_args_devicePfj15HIP_vector_typeIjLj3EEjjjS8_jjjS8_jjjj,comdat
.Lfunc_end20:
	.size	_ZL13mul_mat_vec_qIL9ggml_type2ELi5ELb0ELb0EEvPKvS2_PKi31ggml_cuda_mm_fusion_args_devicePfj15HIP_vector_typeIjLj3EEjjjS8_jjjS8_jjjj, .Lfunc_end20-_ZL13mul_mat_vec_qIL9ggml_type2ELi5ELb0ELb0EEvPKvS2_PKi31ggml_cuda_mm_fusion_args_devicePfj15HIP_vector_typeIjLj3EEjjjS8_jjjS8_jjjj
                                        ; -- End function
	.set _ZL13mul_mat_vec_qIL9ggml_type2ELi5ELb0ELb0EEvPKvS2_PKi31ggml_cuda_mm_fusion_args_devicePfj15HIP_vector_typeIjLj3EEjjjS8_jjjS8_jjjj.num_vgpr, 38
	.set _ZL13mul_mat_vec_qIL9ggml_type2ELi5ELb0ELb0EEvPKvS2_PKi31ggml_cuda_mm_fusion_args_devicePfj15HIP_vector_typeIjLj3EEjjjS8_jjjS8_jjjj.num_agpr, 0
	.set _ZL13mul_mat_vec_qIL9ggml_type2ELi5ELb0ELb0EEvPKvS2_PKi31ggml_cuda_mm_fusion_args_devicePfj15HIP_vector_typeIjLj3EEjjjS8_jjjS8_jjjj.numbered_sgpr, 26
	.set _ZL13mul_mat_vec_qIL9ggml_type2ELi5ELb0ELb0EEvPKvS2_PKi31ggml_cuda_mm_fusion_args_devicePfj15HIP_vector_typeIjLj3EEjjjS8_jjjS8_jjjj.num_named_barrier, 0
	.set _ZL13mul_mat_vec_qIL9ggml_type2ELi5ELb0ELb0EEvPKvS2_PKi31ggml_cuda_mm_fusion_args_devicePfj15HIP_vector_typeIjLj3EEjjjS8_jjjS8_jjjj.private_seg_size, 0
	.set _ZL13mul_mat_vec_qIL9ggml_type2ELi5ELb0ELb0EEvPKvS2_PKi31ggml_cuda_mm_fusion_args_devicePfj15HIP_vector_typeIjLj3EEjjjS8_jjjS8_jjjj.uses_vcc, 1
	.set _ZL13mul_mat_vec_qIL9ggml_type2ELi5ELb0ELb0EEvPKvS2_PKi31ggml_cuda_mm_fusion_args_devicePfj15HIP_vector_typeIjLj3EEjjjS8_jjjS8_jjjj.uses_flat_scratch, 0
	.set _ZL13mul_mat_vec_qIL9ggml_type2ELi5ELb0ELb0EEvPKvS2_PKi31ggml_cuda_mm_fusion_args_devicePfj15HIP_vector_typeIjLj3EEjjjS8_jjjS8_jjjj.has_dyn_sized_stack, 0
	.set _ZL13mul_mat_vec_qIL9ggml_type2ELi5ELb0ELb0EEvPKvS2_PKi31ggml_cuda_mm_fusion_args_devicePfj15HIP_vector_typeIjLj3EEjjjS8_jjjS8_jjjj.has_recursion, 0
	.set _ZL13mul_mat_vec_qIL9ggml_type2ELi5ELb0ELb0EEvPKvS2_PKi31ggml_cuda_mm_fusion_args_devicePfj15HIP_vector_typeIjLj3EEjjjS8_jjjS8_jjjj.has_indirect_call, 0
	.section	.AMDGPU.csdata,"",@progbits
; Kernel info:
; codeLenInByte = 3144
; TotalNumSgprs: 30
; NumVgprs: 38
; ScratchSize: 0
; MemoryBound: 0
; FloatMode: 240
; IeeeMode: 1
; LDSByteSize: 0 bytes/workgroup (compile time only)
; SGPRBlocks: 3
; VGPRBlocks: 9
; NumSGPRsForWavesPerEU: 30
; NumVGPRsForWavesPerEU: 38
; Occupancy: 6
; WaveLimiterHint : 0
; COMPUTE_PGM_RSRC2:SCRATCH_EN: 0
; COMPUTE_PGM_RSRC2:USER_SGPR: 6
; COMPUTE_PGM_RSRC2:TRAP_HANDLER: 0
; COMPUTE_PGM_RSRC2:TGID_X_EN: 1
; COMPUTE_PGM_RSRC2:TGID_Y_EN: 1
; COMPUTE_PGM_RSRC2:TGID_Z_EN: 1
; COMPUTE_PGM_RSRC2:TIDIG_COMP_CNT: 1
	.section	.text._ZL13mul_mat_vec_qIL9ggml_type2ELi6ELb0ELb0EEvPKvS2_PKi31ggml_cuda_mm_fusion_args_devicePfj15HIP_vector_typeIjLj3EEjjjS8_jjjS8_jjjj,"axG",@progbits,_ZL13mul_mat_vec_qIL9ggml_type2ELi6ELb0ELb0EEvPKvS2_PKi31ggml_cuda_mm_fusion_args_devicePfj15HIP_vector_typeIjLj3EEjjjS8_jjjS8_jjjj,comdat
	.globl	_ZL13mul_mat_vec_qIL9ggml_type2ELi6ELb0ELb0EEvPKvS2_PKi31ggml_cuda_mm_fusion_args_devicePfj15HIP_vector_typeIjLj3EEjjjS8_jjjS8_jjjj ; -- Begin function _ZL13mul_mat_vec_qIL9ggml_type2ELi6ELb0ELb0EEvPKvS2_PKi31ggml_cuda_mm_fusion_args_devicePfj15HIP_vector_typeIjLj3EEjjjS8_jjjS8_jjjj
	.p2align	8
	.type	_ZL13mul_mat_vec_qIL9ggml_type2ELi6ELb0ELb0EEvPKvS2_PKi31ggml_cuda_mm_fusion_args_devicePfj15HIP_vector_typeIjLj3EEjjjS8_jjjS8_jjjj,@function
_ZL13mul_mat_vec_qIL9ggml_type2ELi6ELb0ELb0EEvPKvS2_PKi31ggml_cuda_mm_fusion_args_devicePfj15HIP_vector_typeIjLj3EEjjjS8_jjjS8_jjjj: ; @_ZL13mul_mat_vec_qIL9ggml_type2ELi6ELb0ELb0EEvPKvS2_PKi31ggml_cuda_mm_fusion_args_devicePfj15HIP_vector_typeIjLj3EEjjjS8_jjjS8_jjjj
; %bb.0:
	s_load_dword s9, s[4:5], 0x40
	s_load_dwordx4 s[0:3], s[4:5], 0x50
	s_load_dword s25, s[4:5], 0x60
	s_load_dwordx4 s[12:15], s[4:5], 0x68
	;; [unrolled: 2-line block ×3, first 2 shown]
	v_lshl_or_b32 v2, v1, 6, v0
	s_waitcnt lgkmcnt(0)
	s_lshr_b32 s9, s9, 5
	v_lshrrev_b16_e32 v16, 1, v2
	v_mov_b32_e32 v4, 0
	s_lshl_b32 s6, s6, 1
	v_cmp_gt_u32_e32 vcc, s9, v16
	v_mov_b32_e32 v5, v4
	v_mov_b32_e32 v6, v4
	;; [unrolled: 1-line block ×11, first 2 shown]
	s_and_saveexec_b64 s[10:11], vcc
	s_cbranch_execz .LBB21_4
; %bb.1:
	s_load_dwordx4 s[20:23], s[4:5], 0x0
	s_mul_i32 s17, s17, s8
	s_mul_hi_u32 s19, s17, 36
	s_mul_i32 s17, s17, 36
	s_mul_i32 s13, s13, s7
	s_waitcnt lgkmcnt(0)
	s_add_u32 s17, s22, s17
	s_addc_u32 s19, s23, s19
	s_mul_hi_u32 s23, s13, 36
	s_mul_i32 s13, s13, 36
	s_add_u32 s22, s17, s13
	s_mul_hi_u32 s3, s3, s7
	s_addc_u32 s23, s19, s23
	s_add_i32 s3, s7, s3
	s_lshr_b32 s3, s3, s25
	s_mul_i32 s3, s3, s12
	s_mul_hi_u32 s12, s15, s8
	s_add_i32 s12, s8, s12
	s_lshr_b32 s12, s12, s24
	s_mul_i32 s12, s12, s16
	v_lshlrev_b32_e32 v3, 1, v0
	s_add_i32 s13, s6, 1
	v_and_b32_e32 v5, 2, v3
	s_add_i32 s12, s12, s3
	s_mul_i32 s3, s6, s0
	s_mul_i32 s0, s0, s13
	v_and_b32_e32 v3, 1, v0
	v_lshrrev_b32_e32 v2, 1, v2
	s_add_i32 s3, s12, s3
	s_add_i32 s0, s12, s0
	v_lshlrev_b32_e32 v17, 3, v3
	v_mad_u64_u32 v[2:3], s[12:13], v2, 36, s[22:23]
	v_lshlrev_b32_e32 v6, 1, v5
	v_mov_b32_e32 v4, 0
	s_lshl_b32 s15, s1, 1
	s_mul_i32 s16, s1, 3
	s_lshl_b32 s17, s1, 2
	s_mul_i32 s19, s1, 5
	s_mov_b64 s[12:13], 0
	v_lshlrev_b32_e32 v18, 1, v6
	v_lshlrev_b32_e32 v19, 2, v5
	v_mov_b32_e32 v5, v4
	v_mov_b32_e32 v6, v4
	v_mov_b32_e32 v7, v4
	v_mov_b32_e32 v8, v4
	v_mov_b32_e32 v9, v4
	v_mov_b32_e32 v10, v4
	v_mov_b32_e32 v11, v4
	v_mov_b32_e32 v12, v4
	v_mov_b32_e32 v13, v4
	v_mov_b32_e32 v14, v4
	v_mov_b32_e32 v15, v4
.LBB21_2:                               ; =>This Inner Loop Header: Depth=1
	v_add_co_u32_e32 v20, vcc, v2, v17
	v_addc_co_u32_e32 v21, vcc, 0, v3, vcc
	global_load_dwordx2 v[26:27], v[20:21], off offset:4
	global_load_dwordx2 v[28:29], v[20:21], off offset:20
	global_load_dword v36, v[2:3], off
	v_add_u32_e32 v22, s3, v16
	v_mad_i64_i32 v[21:22], s[24:25], v22, 18, s[20:21]
	v_add_co_u32_e32 v23, vcc, v21, v18
	v_addc_co_u32_e32 v24, vcc, 0, v22, vcc
	s_waitcnt vmcnt(0)
	v_cvt_f32_f16_sdwa v20, v36 dst_sel:DWORD dst_unused:UNUSED_PAD src0_sel:WORD_1
	v_mul_f32_e32 v37, 4.0, v20
	global_load_dwordx2 v[30:31], v[23:24], off offset:2
	global_load_ushort v20, v[21:22], off
	s_waitcnt vmcnt(1)
	v_and_b32_e32 v21, 0xf0f0f0f, v30
	v_lshrrev_b32_e32 v22, 4, v30
	v_and_b32_e32 v22, 0xf0f0f0f, v22
	v_dot4_i32_i8 v23, v21, v26, 0
	v_dot4_i32_i8 v25, v22, v28, v23
	v_and_b32_e32 v23, 0xf0f0f0f, v31
	v_lshrrev_b32_e32 v24, 4, v31
	v_and_b32_e32 v24, 0xf0f0f0f, v24
	v_dot4_i32_i8 v25, v23, v27, v25
	v_dot4_i32_i8 v25, v24, v29, v25
	v_cvt_f32_i32_e32 v25, v25
	v_fma_mix_f32 v25, v25, v36, -v37 op_sel_hi:[0,1,0]
	s_waitcnt vmcnt(0)
	v_fma_mix_f32 v15, v25, v20, v15 op_sel_hi:[0,1,0]
	v_add_u32_e32 v25, s0, v16
	v_mad_i64_i32 v[30:31], s[24:25], v25, 18, s[20:21]
	v_add_co_u32_e32 v32, vcc, v30, v18
	v_addc_co_u32_e32 v33, vcc, 0, v31, vcc
	global_load_dwordx2 v[34:35], v[32:33], off offset:2
	global_load_ushort v25, v[30:31], off
	s_waitcnt vmcnt(1)
	v_and_b32_e32 v38, 0xf0f0f0f, v34
	v_lshrrev_b32_e32 v30, 4, v34
	v_and_b32_e32 v34, 0xf0f0f0f, v30
	v_dot4_i32_i8 v26, v38, v26, 0
	v_dot4_i32_i8 v26, v34, v28, v26
	v_and_b32_e32 v39, 0xf0f0f0f, v35
	v_lshrrev_b32_e32 v28, 4, v35
	v_and_b32_e32 v35, 0xf0f0f0f, v28
	v_dot4_i32_i8 v26, v39, v27, v26
	v_dot4_i32_i8 v26, v35, v29, v26
	v_cvt_f32_i32_e32 v26, v26
	v_fma_mix_f32 v26, v26, v36, -v37 op_sel_hi:[0,1,0]
	s_waitcnt vmcnt(0)
	v_fma_mix_f32 v14, v26, v25, v14 op_sel_hi:[0,1,0]
	v_add_u32_e32 v26, s1, v16
	v_mad_u64_u32 v[26:27], s[24:25], v26, 36, s[22:23]
	v_add_co_u32_e32 v28, vcc, v26, v19
	v_addc_co_u32_e32 v29, vcc, 0, v27, vcc
	global_load_dwordx2 v[30:31], v[28:29], off offset:4
	global_load_dwordx2 v[32:33], v[28:29], off offset:20
	global_load_dword v36, v[26:27], off
	s_waitcnt vmcnt(2)
	v_dot4_i32_i8 v27, v21, v30, 0
	s_waitcnt vmcnt(1)
	v_dot4_i32_i8 v27, v22, v32, v27
	v_dot4_i32_i8 v27, v23, v31, v27
	s_waitcnt vmcnt(0)
	v_cvt_f32_f16_sdwa v26, v36 dst_sel:DWORD dst_unused:UNUSED_PAD src0_sel:WORD_1
	v_dot4_i32_i8 v27, v24, v33, v27
	v_cvt_f32_i32_e32 v27, v27
	v_mul_f32_e32 v26, 4.0, v26
	v_fma_mix_f32 v27, v27, v36, -v26 op_sel_hi:[0,1,0]
	v_fma_mix_f32 v13, v27, v20, v13 op_sel_hi:[0,1,0]
	v_dot4_i32_i8 v27, v38, v30, 0
	v_dot4_i32_i8 v27, v34, v32, v27
	v_dot4_i32_i8 v27, v39, v31, v27
	v_dot4_i32_i8 v27, v35, v33, v27
	v_cvt_f32_i32_e32 v27, v27
	v_fma_mix_f32 v26, v27, v36, -v26 op_sel_hi:[0,1,0]
	v_fma_mix_f32 v12, v26, v25, v12 op_sel_hi:[0,1,0]
	v_add_u32_e32 v26, s15, v16
	v_mad_u64_u32 v[26:27], s[24:25], v26, 36, s[22:23]
	v_add_co_u32_e32 v28, vcc, v26, v19
	v_addc_co_u32_e32 v29, vcc, 0, v27, vcc
	global_load_dwordx2 v[30:31], v[28:29], off offset:4
	global_load_dwordx2 v[32:33], v[28:29], off offset:20
	global_load_dword v36, v[26:27], off
	s_waitcnt vmcnt(2)
	v_dot4_i32_i8 v27, v21, v30, 0
	s_waitcnt vmcnt(1)
	v_dot4_i32_i8 v27, v22, v32, v27
	v_dot4_i32_i8 v27, v23, v31, v27
	s_waitcnt vmcnt(0)
	v_cvt_f32_f16_sdwa v26, v36 dst_sel:DWORD dst_unused:UNUSED_PAD src0_sel:WORD_1
	v_dot4_i32_i8 v27, v24, v33, v27
	v_cvt_f32_i32_e32 v27, v27
	v_mul_f32_e32 v26, 4.0, v26
	v_fma_mix_f32 v27, v27, v36, -v26 op_sel_hi:[0,1,0]
	v_fma_mix_f32 v11, v27, v20, v11 op_sel_hi:[0,1,0]
	v_dot4_i32_i8 v27, v38, v30, 0
	v_dot4_i32_i8 v27, v34, v32, v27
	v_dot4_i32_i8 v27, v39, v31, v27
	v_dot4_i32_i8 v27, v35, v33, v27
	v_cvt_f32_i32_e32 v27, v27
	v_fma_mix_f32 v26, v27, v36, -v26 op_sel_hi:[0,1,0]
	;; [unrolled: 26-line block ×4, first 2 shown]
	v_fma_mix_f32 v6, v26, v25, v6 op_sel_hi:[0,1,0]
	v_add_u32_e32 v26, s19, v16
	v_mad_u64_u32 v[26:27], s[24:25], v26, 36, s[22:23]
	v_add_u32_e32 v16, 32, v16
	v_add_co_u32_e32 v28, vcc, v26, v19
	v_addc_co_u32_e32 v29, vcc, 0, v27, vcc
	global_load_dwordx2 v[30:31], v[28:29], off offset:4
	global_load_dwordx2 v[32:33], v[28:29], off offset:20
	global_load_dword v36, v[26:27], off
	v_add_co_u32_e32 v2, vcc, 0x480, v2
	v_addc_co_u32_e32 v3, vcc, 0, v3, vcc
	v_cmp_le_u32_e32 vcc, s9, v16
	s_or_b64 s[12:13], vcc, s[12:13]
	s_waitcnt vmcnt(2)
	v_dot4_i32_i8 v21, v21, v30, 0
	s_waitcnt vmcnt(1)
	v_dot4_i32_i8 v21, v22, v32, v21
	v_dot4_i32_i8 v21, v23, v31, v21
	s_waitcnt vmcnt(0)
	v_cvt_f32_f16_sdwa v26, v36 dst_sel:DWORD dst_unused:UNUSED_PAD src0_sel:WORD_1
	v_dot4_i32_i8 v21, v24, v33, v21
	v_cvt_f32_i32_e32 v21, v21
	v_mul_f32_e32 v26, 4.0, v26
	v_fma_mix_f32 v21, v21, v36, -v26 op_sel_hi:[0,1,0]
	v_fma_mix_f32 v5, v21, v20, v5 op_sel_hi:[0,1,0]
	v_dot4_i32_i8 v20, v38, v30, 0
	v_dot4_i32_i8 v20, v34, v32, v20
	;; [unrolled: 1-line block ×4, first 2 shown]
	v_cvt_f32_i32_e32 v20, v20
	v_fma_mix_f32 v20, v20, v36, -v26 op_sel_hi:[0,1,0]
	v_fma_mix_f32 v4, v20, v25, v4 op_sel_hi:[0,1,0]
	s_andn2_b64 exec, exec, s[12:13]
	s_cbranch_execnz .LBB21_2
; %bb.3:
	s_or_b64 exec, exec, s[12:13]
.LBB21_4:
	s_or_b64 exec, exec, s[10:11]
	s_mov_b32 s1, 0
	v_cmp_eq_u32_e32 vcc, 0, v1
	; wave barrier
	s_and_saveexec_b64 s[10:11], vcc
	s_cbranch_execz .LBB21_17
; %bb.5:
	v_mbcnt_lo_u32_b32 v1, -1, 0
	v_mbcnt_hi_u32_b32 v17, -1, v1
	v_and_b32_e32 v1, 64, v17
	v_add_u32_e32 v18, 64, v1
	v_xor_b32_e32 v1, 32, v17
	v_cmp_lt_i32_e32 vcc, v1, v18
	v_cndmask_b32_e32 v1, v17, v1, vcc
	v_lshlrev_b32_e32 v1, 2, v1
	ds_bpermute_b32 v19, v1, v15
	ds_bpermute_b32 v20, v1, v14
	v_xor_b32_e32 v2, 16, v17
	v_cmp_lt_i32_e32 vcc, v2, v18
	v_cndmask_b32_e32 v2, v17, v2, vcc
	v_lshlrev_b32_e32 v2, 2, v2
	s_waitcnt lgkmcnt(1)
	v_add_f32_e32 v15, v15, v19
	s_waitcnt lgkmcnt(0)
	v_add_f32_e32 v14, v14, v20
	ds_bpermute_b32 v19, v2, v15
	ds_bpermute_b32 v20, v2, v14
	v_xor_b32_e32 v3, 8, v17
	v_cmp_lt_i32_e32 vcc, v3, v18
	v_cndmask_b32_e32 v3, v17, v3, vcc
	v_lshlrev_b32_e32 v3, 2, v3
	s_waitcnt lgkmcnt(1)
	v_add_f32_e32 v15, v15, v19
	s_waitcnt lgkmcnt(0)
	v_add_f32_e32 v20, v14, v20
	;; [unrolled: 10-line block ×3, first 2 shown]
	ds_bpermute_b32 v19, v16, v15
	ds_bpermute_b32 v22, v16, v20
	v_xor_b32_e32 v21, 2, v17
	v_cmp_lt_i32_e32 vcc, v21, v18
	v_cndmask_b32_e32 v21, v17, v21, vcc
	v_lshlrev_b32_e32 v14, 2, v21
	v_xor_b32_e32 v21, 1, v17
	v_cmp_lt_i32_e32 vcc, v21, v18
	s_waitcnt lgkmcnt(1)
	v_add_f32_e32 v15, v15, v19
	s_waitcnt lgkmcnt(0)
	v_add_f32_e32 v20, v20, v22
	v_cndmask_b32_e32 v17, v17, v21, vcc
	ds_bpermute_b32 v19, v14, v15
	ds_bpermute_b32 v21, v14, v20
	s_load_dwordx2 s[4:5], s[4:5], 0x38
	s_mul_i32 s3, s14, s7
	v_lshlrev_b32_e32 v18, 2, v17
	s_waitcnt lgkmcnt(0)
	v_add_f32_e32 v15, v15, v19
	v_add_f32_e32 v19, v20, v21
	s_mul_i32 s0, s18, s8
	s_add_i32 s3, s3, s6
	ds_bpermute_b32 v17, v18, v15
	ds_bpermute_b32 v20, v18, v19
	s_add_i32 s0, s3, s0
	s_lshl_b64 s[0:1], s[0:1], 2
	s_add_u32 s4, s4, s0
	v_add_u32_e32 v21, s6, v0
	s_addc_u32 s5, s5, s1
	v_cmp_gt_u32_e32 vcc, 2, v0
	v_cmp_gt_u32_e64 s[0:1], s2, v21
	s_and_b64 s[0:1], vcc, s[0:1]
	s_waitcnt lgkmcnt(1)
	v_add_f32_e32 v15, v15, v17
	s_waitcnt lgkmcnt(0)
	v_add_f32_e32 v17, v19, v20
	s_and_saveexec_b64 s[6:7], s[0:1]
	s_cbranch_execz .LBB21_7
; %bb.6:
	v_cmp_eq_u32_e32 vcc, 1, v0
	v_cndmask_b32_e32 v19, v15, v17, vcc
	v_cmp_eq_u32_e32 vcc, 2, v0
	v_cndmask_b32_e32 v19, v19, v13, vcc
	;; [unrolled: 2-line block ×11, first 2 shown]
	v_lshlrev_b32_e32 v20, 2, v0
	global_store_dword v20, v19, s[4:5]
.LBB21_7:
	s_or_b64 exec, exec, s[6:7]
	ds_bpermute_b32 v19, v1, v13
	ds_bpermute_b32 v20, v1, v12
	s_waitcnt lgkmcnt(1)
	v_add_f32_e32 v13, v13, v19
	s_waitcnt lgkmcnt(0)
	v_add_f32_e32 v12, v12, v20
	ds_bpermute_b32 v19, v2, v13
	ds_bpermute_b32 v20, v2, v12
	s_waitcnt lgkmcnt(1)
	v_add_f32_e32 v13, v13, v19
	s_waitcnt lgkmcnt(0)
	v_add_f32_e32 v12, v12, v20
	;; [unrolled: 6-line block ×6, first 2 shown]
	s_and_saveexec_b64 s[6:7], s[0:1]
	s_cbranch_execz .LBB21_9
; %bb.8:
	v_add_u32_e32 v19, 2, v0
	v_cmp_eq_u32_e32 vcc, 1, v19
	v_cndmask_b32_e32 v20, v15, v17, vcc
	v_cmp_eq_u32_e32 vcc, 2, v19
	v_cndmask_b32_e32 v20, v20, v13, vcc
	;; [unrolled: 2-line block ×11, first 2 shown]
	v_add_u32_e32 v19, s2, v0
	v_mov_b32_e32 v20, 0
	v_lshlrev_b64 v[19:20], 2, v[19:20]
	v_mov_b32_e32 v22, s5
	v_add_co_u32_e32 v19, vcc, s4, v19
	v_addc_co_u32_e32 v20, vcc, v22, v20, vcc
	global_store_dword v[19:20], v21, off
.LBB21_9:
	s_or_b64 exec, exec, s[6:7]
	ds_bpermute_b32 v19, v1, v11
	ds_bpermute_b32 v20, v1, v10
	s_waitcnt lgkmcnt(1)
	v_add_f32_e32 v11, v11, v19
	s_waitcnt lgkmcnt(0)
	v_add_f32_e32 v10, v10, v20
	ds_bpermute_b32 v19, v2, v11
	ds_bpermute_b32 v20, v2, v10
	s_waitcnt lgkmcnt(1)
	v_add_f32_e32 v11, v11, v19
	s_waitcnt lgkmcnt(0)
	v_add_f32_e32 v10, v10, v20
	;; [unrolled: 6-line block ×6, first 2 shown]
	s_and_saveexec_b64 s[6:7], s[0:1]
	s_cbranch_execz .LBB21_11
; %bb.10:
	v_add_u32_e32 v19, 4, v0
	v_cmp_eq_u32_e32 vcc, 1, v19
	v_cndmask_b32_e32 v20, v15, v17, vcc
	v_cmp_eq_u32_e32 vcc, 2, v19
	v_cndmask_b32_e32 v20, v20, v13, vcc
	v_cmp_eq_u32_e32 vcc, 3, v19
	v_cndmask_b32_e32 v20, v20, v12, vcc
	v_cmp_eq_u32_e32 vcc, 4, v19
	v_cndmask_b32_e32 v20, v20, v11, vcc
	v_cmp_eq_u32_e32 vcc, 5, v19
	v_cndmask_b32_e32 v20, v20, v10, vcc
	v_cmp_eq_u32_e32 vcc, 6, v19
	v_cndmask_b32_e32 v20, v20, v9, vcc
	v_cmp_eq_u32_e32 vcc, 7, v19
	v_cndmask_b32_e32 v20, v20, v8, vcc
	v_cmp_eq_u32_e32 vcc, 8, v19
	v_cndmask_b32_e32 v20, v20, v7, vcc
	v_cmp_eq_u32_e32 vcc, 9, v19
	v_cndmask_b32_e32 v20, v20, v6, vcc
	v_cmp_eq_u32_e32 vcc, 10, v19
	v_cndmask_b32_e32 v20, v20, v5, vcc
	v_cmp_eq_u32_e32 vcc, 11, v19
	v_cndmask_b32_e32 v21, v20, v4, vcc
	v_lshl_or_b32 v19, s2, 1, v0
	v_mov_b32_e32 v20, 0
	v_lshlrev_b64 v[19:20], 2, v[19:20]
	v_mov_b32_e32 v22, s5
	v_add_co_u32_e32 v19, vcc, s4, v19
	v_addc_co_u32_e32 v20, vcc, v22, v20, vcc
	global_store_dword v[19:20], v21, off
.LBB21_11:
	s_or_b64 exec, exec, s[6:7]
	ds_bpermute_b32 v19, v1, v9
	ds_bpermute_b32 v20, v1, v8
	s_waitcnt lgkmcnt(1)
	v_add_f32_e32 v9, v9, v19
	s_waitcnt lgkmcnt(0)
	v_add_f32_e32 v8, v8, v20
	ds_bpermute_b32 v19, v2, v9
	ds_bpermute_b32 v20, v2, v8
	s_waitcnt lgkmcnt(1)
	v_add_f32_e32 v9, v9, v19
	s_waitcnt lgkmcnt(0)
	v_add_f32_e32 v8, v8, v20
	;; [unrolled: 6-line block ×6, first 2 shown]
	s_and_saveexec_b64 s[6:7], s[0:1]
	s_cbranch_execz .LBB21_13
; %bb.12:
	v_add_u32_e32 v21, 6, v0
	v_cmp_eq_u32_e32 vcc, 1, v21
	v_cndmask_b32_e32 v19, v15, v17, vcc
	v_cmp_eq_u32_e32 vcc, 2, v21
	v_cndmask_b32_e32 v19, v19, v13, vcc
	;; [unrolled: 2-line block ×10, first 2 shown]
	v_mad_u64_u32 v[19:20], s[8:9], s2, 3, v[0:1]
	v_mov_b32_e32 v20, 0
	v_cmp_eq_u32_e32 vcc, 11, v21
	v_lshlrev_b64 v[19:20], 2, v[19:20]
	v_cndmask_b32_e32 v21, v22, v4, vcc
	v_mov_b32_e32 v22, s5
	v_add_co_u32_e32 v19, vcc, s4, v19
	v_addc_co_u32_e32 v20, vcc, v22, v20, vcc
	global_store_dword v[19:20], v21, off
.LBB21_13:
	s_or_b64 exec, exec, s[6:7]
	ds_bpermute_b32 v19, v1, v7
	ds_bpermute_b32 v20, v1, v6
	s_waitcnt lgkmcnt(1)
	v_add_f32_e32 v7, v7, v19
	s_waitcnt lgkmcnt(0)
	v_add_f32_e32 v6, v6, v20
	ds_bpermute_b32 v19, v2, v7
	ds_bpermute_b32 v20, v2, v6
	s_waitcnt lgkmcnt(1)
	v_add_f32_e32 v7, v7, v19
	s_waitcnt lgkmcnt(0)
	v_add_f32_e32 v6, v6, v20
	;; [unrolled: 6-line block ×6, first 2 shown]
	s_and_saveexec_b64 s[6:7], s[0:1]
	s_cbranch_execz .LBB21_15
; %bb.14:
	v_add_u32_e32 v19, 8, v0
	v_cmp_eq_u32_e32 vcc, 1, v19
	v_cndmask_b32_e32 v20, v15, v17, vcc
	v_cmp_eq_u32_e32 vcc, 2, v19
	v_cndmask_b32_e32 v20, v20, v13, vcc
	;; [unrolled: 2-line block ×11, first 2 shown]
	v_lshl_or_b32 v19, s2, 2, v0
	v_mov_b32_e32 v20, 0
	v_lshlrev_b64 v[19:20], 2, v[19:20]
	v_mov_b32_e32 v22, s5
	v_add_co_u32_e32 v19, vcc, s4, v19
	v_addc_co_u32_e32 v20, vcc, v22, v20, vcc
	global_store_dword v[19:20], v21, off
.LBB21_15:
	s_or_b64 exec, exec, s[6:7]
	ds_bpermute_b32 v19, v1, v5
	ds_bpermute_b32 v1, v1, v4
	s_waitcnt lgkmcnt(1)
	v_add_f32_e32 v5, v5, v19
	s_waitcnt lgkmcnt(0)
	v_add_f32_e32 v1, v4, v1
	ds_bpermute_b32 v4, v2, v5
	ds_bpermute_b32 v2, v2, v1
	s_waitcnt lgkmcnt(1)
	v_add_f32_e32 v4, v5, v4
	s_waitcnt lgkmcnt(0)
	v_add_f32_e32 v1, v1, v2
	;; [unrolled: 6-line block ×5, first 2 shown]
	ds_bpermute_b32 v3, v18, v1
	ds_bpermute_b32 v4, v18, v2
	s_and_b64 exec, exec, s[0:1]
	s_cbranch_execz .LBB21_17
; %bb.16:
	s_waitcnt lgkmcnt(1)
	v_add_f32_e32 v1, v1, v3
	v_add_u32_e32 v3, 10, v0
	v_cmp_eq_u32_e32 vcc, 1, v3
	s_waitcnt lgkmcnt(0)
	v_add_f32_e32 v2, v2, v4
	v_cndmask_b32_e32 v4, v15, v17, vcc
	v_cmp_eq_u32_e32 vcc, 2, v3
	v_cndmask_b32_e32 v4, v4, v13, vcc
	v_cmp_eq_u32_e32 vcc, 3, v3
	;; [unrolled: 2-line block ×9, first 2 shown]
	v_cndmask_b32_e32 v4, v4, v1, vcc
	v_mad_u64_u32 v[0:1], s[0:1], s2, 5, v[0:1]
	v_mov_b32_e32 v1, 0
	v_cmp_eq_u32_e32 vcc, 11, v3
	v_lshlrev_b64 v[0:1], 2, v[0:1]
	v_cndmask_b32_e32 v2, v4, v2, vcc
	v_mov_b32_e32 v3, s5
	v_add_co_u32_e32 v0, vcc, s4, v0
	v_addc_co_u32_e32 v1, vcc, v3, v1, vcc
	global_store_dword v[0:1], v2, off
.LBB21_17:
	s_endpgm
	.section	.rodata,"a",@progbits
	.p2align	6, 0x0
	.amdhsa_kernel _ZL13mul_mat_vec_qIL9ggml_type2ELi6ELb0ELb0EEvPKvS2_PKi31ggml_cuda_mm_fusion_args_devicePfj15HIP_vector_typeIjLj3EEjjjS8_jjjS8_jjjj
		.amdhsa_group_segment_fixed_size 0
		.amdhsa_private_segment_fixed_size 0
		.amdhsa_kernarg_size 144
		.amdhsa_user_sgpr_count 6
		.amdhsa_user_sgpr_private_segment_buffer 1
		.amdhsa_user_sgpr_dispatch_ptr 0
		.amdhsa_user_sgpr_queue_ptr 0
		.amdhsa_user_sgpr_kernarg_segment_ptr 1
		.amdhsa_user_sgpr_dispatch_id 0
		.amdhsa_user_sgpr_flat_scratch_init 0
		.amdhsa_user_sgpr_private_segment_size 0
		.amdhsa_uses_dynamic_stack 0
		.amdhsa_system_sgpr_private_segment_wavefront_offset 0
		.amdhsa_system_sgpr_workgroup_id_x 1
		.amdhsa_system_sgpr_workgroup_id_y 1
		.amdhsa_system_sgpr_workgroup_id_z 1
		.amdhsa_system_sgpr_workgroup_info 0
		.amdhsa_system_vgpr_workitem_id 1
		.amdhsa_next_free_vgpr 40
		.amdhsa_next_free_sgpr 26
		.amdhsa_reserve_vcc 1
		.amdhsa_reserve_flat_scratch 0
		.amdhsa_float_round_mode_32 0
		.amdhsa_float_round_mode_16_64 0
		.amdhsa_float_denorm_mode_32 3
		.amdhsa_float_denorm_mode_16_64 3
		.amdhsa_dx10_clamp 1
		.amdhsa_ieee_mode 1
		.amdhsa_fp16_overflow 0
		.amdhsa_exception_fp_ieee_invalid_op 0
		.amdhsa_exception_fp_denorm_src 0
		.amdhsa_exception_fp_ieee_div_zero 0
		.amdhsa_exception_fp_ieee_overflow 0
		.amdhsa_exception_fp_ieee_underflow 0
		.amdhsa_exception_fp_ieee_inexact 0
		.amdhsa_exception_int_div_zero 0
	.end_amdhsa_kernel
	.section	.text._ZL13mul_mat_vec_qIL9ggml_type2ELi6ELb0ELb0EEvPKvS2_PKi31ggml_cuda_mm_fusion_args_devicePfj15HIP_vector_typeIjLj3EEjjjS8_jjjS8_jjjj,"axG",@progbits,_ZL13mul_mat_vec_qIL9ggml_type2ELi6ELb0ELb0EEvPKvS2_PKi31ggml_cuda_mm_fusion_args_devicePfj15HIP_vector_typeIjLj3EEjjjS8_jjjS8_jjjj,comdat
.Lfunc_end21:
	.size	_ZL13mul_mat_vec_qIL9ggml_type2ELi6ELb0ELb0EEvPKvS2_PKi31ggml_cuda_mm_fusion_args_devicePfj15HIP_vector_typeIjLj3EEjjjS8_jjjS8_jjjj, .Lfunc_end21-_ZL13mul_mat_vec_qIL9ggml_type2ELi6ELb0ELb0EEvPKvS2_PKi31ggml_cuda_mm_fusion_args_devicePfj15HIP_vector_typeIjLj3EEjjjS8_jjjS8_jjjj
                                        ; -- End function
	.set _ZL13mul_mat_vec_qIL9ggml_type2ELi6ELb0ELb0EEvPKvS2_PKi31ggml_cuda_mm_fusion_args_devicePfj15HIP_vector_typeIjLj3EEjjjS8_jjjS8_jjjj.num_vgpr, 40
	.set _ZL13mul_mat_vec_qIL9ggml_type2ELi6ELb0ELb0EEvPKvS2_PKi31ggml_cuda_mm_fusion_args_devicePfj15HIP_vector_typeIjLj3EEjjjS8_jjjS8_jjjj.num_agpr, 0
	.set _ZL13mul_mat_vec_qIL9ggml_type2ELi6ELb0ELb0EEvPKvS2_PKi31ggml_cuda_mm_fusion_args_devicePfj15HIP_vector_typeIjLj3EEjjjS8_jjjS8_jjjj.numbered_sgpr, 26
	.set _ZL13mul_mat_vec_qIL9ggml_type2ELi6ELb0ELb0EEvPKvS2_PKi31ggml_cuda_mm_fusion_args_devicePfj15HIP_vector_typeIjLj3EEjjjS8_jjjS8_jjjj.num_named_barrier, 0
	.set _ZL13mul_mat_vec_qIL9ggml_type2ELi6ELb0ELb0EEvPKvS2_PKi31ggml_cuda_mm_fusion_args_devicePfj15HIP_vector_typeIjLj3EEjjjS8_jjjS8_jjjj.private_seg_size, 0
	.set _ZL13mul_mat_vec_qIL9ggml_type2ELi6ELb0ELb0EEvPKvS2_PKi31ggml_cuda_mm_fusion_args_devicePfj15HIP_vector_typeIjLj3EEjjjS8_jjjS8_jjjj.uses_vcc, 1
	.set _ZL13mul_mat_vec_qIL9ggml_type2ELi6ELb0ELb0EEvPKvS2_PKi31ggml_cuda_mm_fusion_args_devicePfj15HIP_vector_typeIjLj3EEjjjS8_jjjS8_jjjj.uses_flat_scratch, 0
	.set _ZL13mul_mat_vec_qIL9ggml_type2ELi6ELb0ELb0EEvPKvS2_PKi31ggml_cuda_mm_fusion_args_devicePfj15HIP_vector_typeIjLj3EEjjjS8_jjjS8_jjjj.has_dyn_sized_stack, 0
	.set _ZL13mul_mat_vec_qIL9ggml_type2ELi6ELb0ELb0EEvPKvS2_PKi31ggml_cuda_mm_fusion_args_devicePfj15HIP_vector_typeIjLj3EEjjjS8_jjjS8_jjjj.has_recursion, 0
	.set _ZL13mul_mat_vec_qIL9ggml_type2ELi6ELb0ELb0EEvPKvS2_PKi31ggml_cuda_mm_fusion_args_devicePfj15HIP_vector_typeIjLj3EEjjjS8_jjjS8_jjjj.has_indirect_call, 0
	.section	.AMDGPU.csdata,"",@progbits
; Kernel info:
; codeLenInByte = 3736
; TotalNumSgprs: 30
; NumVgprs: 40
; ScratchSize: 0
; MemoryBound: 0
; FloatMode: 240
; IeeeMode: 1
; LDSByteSize: 0 bytes/workgroup (compile time only)
; SGPRBlocks: 3
; VGPRBlocks: 9
; NumSGPRsForWavesPerEU: 30
; NumVGPRsForWavesPerEU: 40
; Occupancy: 6
; WaveLimiterHint : 0
; COMPUTE_PGM_RSRC2:SCRATCH_EN: 0
; COMPUTE_PGM_RSRC2:USER_SGPR: 6
; COMPUTE_PGM_RSRC2:TRAP_HANDLER: 0
; COMPUTE_PGM_RSRC2:TGID_X_EN: 1
; COMPUTE_PGM_RSRC2:TGID_Y_EN: 1
; COMPUTE_PGM_RSRC2:TGID_Z_EN: 1
; COMPUTE_PGM_RSRC2:TIDIG_COMP_CNT: 1
	.section	.text._ZL13mul_mat_vec_qIL9ggml_type2ELi7ELb0ELb0EEvPKvS2_PKi31ggml_cuda_mm_fusion_args_devicePfj15HIP_vector_typeIjLj3EEjjjS8_jjjS8_jjjj,"axG",@progbits,_ZL13mul_mat_vec_qIL9ggml_type2ELi7ELb0ELb0EEvPKvS2_PKi31ggml_cuda_mm_fusion_args_devicePfj15HIP_vector_typeIjLj3EEjjjS8_jjjS8_jjjj,comdat
	.globl	_ZL13mul_mat_vec_qIL9ggml_type2ELi7ELb0ELb0EEvPKvS2_PKi31ggml_cuda_mm_fusion_args_devicePfj15HIP_vector_typeIjLj3EEjjjS8_jjjS8_jjjj ; -- Begin function _ZL13mul_mat_vec_qIL9ggml_type2ELi7ELb0ELb0EEvPKvS2_PKi31ggml_cuda_mm_fusion_args_devicePfj15HIP_vector_typeIjLj3EEjjjS8_jjjS8_jjjj
	.p2align	8
	.type	_ZL13mul_mat_vec_qIL9ggml_type2ELi7ELb0ELb0EEvPKvS2_PKi31ggml_cuda_mm_fusion_args_devicePfj15HIP_vector_typeIjLj3EEjjjS8_jjjS8_jjjj,@function
_ZL13mul_mat_vec_qIL9ggml_type2ELi7ELb0ELb0EEvPKvS2_PKi31ggml_cuda_mm_fusion_args_devicePfj15HIP_vector_typeIjLj3EEjjjS8_jjjS8_jjjj: ; @_ZL13mul_mat_vec_qIL9ggml_type2ELi7ELb0ELb0EEvPKvS2_PKi31ggml_cuda_mm_fusion_args_devicePfj15HIP_vector_typeIjLj3EEjjjS8_jjjS8_jjjj
; %bb.0:
	s_load_dword s9, s[4:5], 0x40
	s_load_dwordx4 s[0:3], s[4:5], 0x50
	s_load_dword s25, s[4:5], 0x60
	s_load_dwordx4 s[12:15], s[4:5], 0x68
	;; [unrolled: 2-line block ×3, first 2 shown]
	v_lshl_or_b32 v2, v1, 6, v0
	s_waitcnt lgkmcnt(0)
	s_lshr_b32 s9, s9, 5
	v_lshrrev_b16_e32 v18, 1, v2
	s_lshl_b32 s6, s6, 1
	v_cmp_gt_u32_e32 vcc, s9, v18
	v_mov_b32_e32 v4, 0
	v_mov_b32_e32 v5, 0
	;; [unrolled: 1-line block ×14, first 2 shown]
	s_and_saveexec_b64 s[10:11], vcc
	s_cbranch_execz .LBB22_4
; %bb.1:
	s_load_dwordx4 s[20:23], s[4:5], 0x0
	s_mul_i32 s17, s17, s8
	s_mul_hi_u32 s19, s17, 36
	s_mul_i32 s17, s17, 36
	s_mul_i32 s13, s13, s7
	s_waitcnt lgkmcnt(0)
	s_add_u32 s17, s22, s17
	s_addc_u32 s19, s23, s19
	s_mul_hi_u32 s23, s13, 36
	s_mul_i32 s13, s13, 36
	s_add_u32 s22, s17, s13
	s_mul_hi_u32 s3, s3, s7
	s_addc_u32 s23, s19, s23
	s_add_i32 s3, s7, s3
	s_lshr_b32 s3, s3, s25
	s_mul_i32 s3, s3, s12
	s_mul_hi_u32 s12, s15, s8
	s_add_i32 s12, s8, s12
	s_lshr_b32 s12, s12, s24
	s_mul_i32 s12, s12, s16
	v_lshlrev_b32_e32 v3, 1, v0
	s_add_i32 s13, s6, 1
	v_and_b32_e32 v5, 2, v3
	s_add_i32 s12, s12, s3
	s_mul_i32 s3, s6, s0
	s_mul_i32 s0, s0, s13
	v_and_b32_e32 v3, 1, v0
	v_lshrrev_b32_e32 v2, 1, v2
	s_add_i32 s3, s12, s3
	s_add_i32 s0, s12, s0
	v_lshlrev_b32_e32 v19, 3, v3
	v_mad_u64_u32 v[2:3], s[12:13], v2, 36, s[22:23]
	v_lshlrev_b32_e32 v6, 1, v5
	v_mov_b32_e32 v4, 0
	s_lshl_b32 s15, s1, 1
	s_mul_i32 s16, s1, 3
	s_lshl_b32 s17, s1, 2
	s_mul_i32 s19, s1, 5
	s_mul_i32 s24, s1, 6
	s_mov_b64 s[12:13], 0
	v_lshlrev_b32_e32 v20, 1, v6
	v_lshlrev_b32_e32 v21, 2, v5
	v_mov_b32_e32 v5, 0
	v_mov_b32_e32 v6, 0
	;; [unrolled: 1-line block ×13, first 2 shown]
.LBB22_2:                               ; =>This Inner Loop Header: Depth=1
	v_add_u32_e32 v24, s3, v18
	v_add_co_u32_e32 v22, vcc, v2, v19
	v_addc_co_u32_e32 v23, vcc, 0, v3, vcc
	v_mad_i64_i32 v[24:25], s[26:27], v24, 18, s[20:21]
	global_load_dwordx2 v[31:32], v[22:23], off offset:4
	global_load_dwordx2 v[33:34], v[22:23], off offset:20
	global_load_dword v39, v[2:3], off
	v_add_co_u32_e32 v26, vcc, v24, v20
	v_addc_co_u32_e32 v27, vcc, 0, v25, vcc
	global_load_dwordx2 v[28:29], v[26:27], off offset:2
	global_load_ushort v23, v[24:25], off
	s_waitcnt vmcnt(2)
	v_cvt_f32_f16_sdwa v22, v39 dst_sel:DWORD dst_unused:UNUSED_PAD src0_sel:WORD_1
	v_mul_f32_e32 v40, 4.0, v22
	s_waitcnt vmcnt(1)
	v_and_b32_e32 v24, 0xf0f0f0f, v28
	v_lshrrev_b32_e32 v22, 4, v28
	v_and_b32_e32 v25, 0xf0f0f0f, v22
	v_dot4_i32_i8 v22, v24, v31, 0
	v_dot4_i32_i8 v22, v25, v33, v22
	v_and_b32_e32 v26, 0xf0f0f0f, v29
	v_lshrrev_b32_e32 v27, 4, v29
	v_and_b32_e32 v27, 0xf0f0f0f, v27
	v_dot4_i32_i8 v22, v26, v32, v22
	v_dot4_i32_i8 v22, v27, v34, v22
	v_cvt_f32_i32_e32 v22, v22
	v_fma_mix_f32 v22, v22, v39, -v40 op_sel_hi:[0,1,0]
	s_waitcnt vmcnt(0)
	v_fma_mix_f32 v17, v22, v23, v17 op_sel_hi:[0,1,0]
	v_add_u32_e32 v22, s0, v18
	v_mad_i64_i32 v[28:29], s[26:27], v22, 18, s[20:21]
	v_add_co_u32_e32 v35, vcc, v28, v20
	v_addc_co_u32_e32 v36, vcc, 0, v29, vcc
	global_load_dwordx2 v[37:38], v[35:36], off offset:2
	global_load_ushort v22, v[28:29], off
	s_waitcnt vmcnt(1)
	v_and_b32_e32 v29, 0xf0f0f0f, v37
	v_lshrrev_b32_e32 v28, 4, v37
	v_and_b32_e32 v30, 0xf0f0f0f, v28
	v_dot4_i32_i8 v28, v29, v31, 0
	v_dot4_i32_i8 v33, v30, v33, v28
	v_and_b32_e32 v31, 0xf0f0f0f, v38
	v_lshrrev_b32_e32 v28, 4, v38
	v_and_b32_e32 v28, 0xf0f0f0f, v28
	v_dot4_i32_i8 v32, v31, v32, v33
	v_dot4_i32_i8 v32, v28, v34, v32
	v_cvt_f32_i32_e32 v32, v32
	v_fma_mix_f32 v32, v32, v39, -v40 op_sel_hi:[0,1,0]
	s_waitcnt vmcnt(0)
	v_fma_mix_f32 v16, v32, v22, v16 op_sel_hi:[0,1,0]
	v_add_u32_e32 v32, s1, v18
	v_mad_u64_u32 v[32:33], s[26:27], v32, 36, s[22:23]
	v_add_co_u32_e32 v34, vcc, v32, v21
	v_addc_co_u32_e32 v35, vcc, 0, v33, vcc
	global_load_dwordx2 v[36:37], v[34:35], off offset:4
	global_load_dwordx2 v[38:39], v[34:35], off offset:20
                                        ; kill: killed $vgpr34 killed $vgpr35
	s_nop 0
	global_load_dword v32, v[32:33], off
	s_waitcnt vmcnt(2)
	v_dot4_i32_i8 v34, v24, v36, 0
	s_waitcnt vmcnt(1)
	v_dot4_i32_i8 v34, v25, v38, v34
	v_dot4_i32_i8 v34, v26, v37, v34
	s_waitcnt vmcnt(0)
	v_cvt_f32_f16_sdwa v33, v32 dst_sel:DWORD dst_unused:UNUSED_PAD src0_sel:WORD_1
	v_dot4_i32_i8 v34, v27, v39, v34
	v_cvt_f32_i32_e32 v34, v34
	v_mul_f32_e32 v33, 4.0, v33
	v_fma_mix_f32 v34, v34, v32, -v33 op_sel_hi:[0,1,0]
	v_fma_mix_f32 v15, v34, v23, v15 op_sel_hi:[0,1,0]
	v_dot4_i32_i8 v34, v29, v36, 0
	v_dot4_i32_i8 v34, v30, v38, v34
	v_dot4_i32_i8 v34, v31, v37, v34
	v_dot4_i32_i8 v34, v28, v39, v34
	v_cvt_f32_i32_e32 v34, v34
	v_fma_mix_f32 v32, v34, v32, -v33 op_sel_hi:[0,1,0]
	v_fma_mix_f32 v14, v32, v22, v14 op_sel_hi:[0,1,0]
	v_add_u32_e32 v32, s15, v18
	v_mad_u64_u32 v[32:33], s[26:27], v32, 36, s[22:23]
	v_add_co_u32_e32 v34, vcc, v32, v21
	v_addc_co_u32_e32 v35, vcc, 0, v33, vcc
	global_load_dwordx2 v[36:37], v[34:35], off offset:4
	global_load_dwordx2 v[38:39], v[34:35], off offset:20
                                        ; kill: killed $vgpr34 killed $vgpr35
	s_nop 0
	global_load_dword v32, v[32:33], off
	s_waitcnt vmcnt(2)
	v_dot4_i32_i8 v34, v24, v36, 0
	s_waitcnt vmcnt(1)
	v_dot4_i32_i8 v34, v25, v38, v34
	v_dot4_i32_i8 v34, v26, v37, v34
	s_waitcnt vmcnt(0)
	v_cvt_f32_f16_sdwa v33, v32 dst_sel:DWORD dst_unused:UNUSED_PAD src0_sel:WORD_1
	v_dot4_i32_i8 v34, v27, v39, v34
	v_cvt_f32_i32_e32 v34, v34
	v_mul_f32_e32 v33, 4.0, v33
	v_fma_mix_f32 v34, v34, v32, -v33 op_sel_hi:[0,1,0]
	v_fma_mix_f32 v13, v34, v23, v13 op_sel_hi:[0,1,0]
	v_dot4_i32_i8 v34, v29, v36, 0
	v_dot4_i32_i8 v34, v30, v38, v34
	v_dot4_i32_i8 v34, v31, v37, v34
	v_dot4_i32_i8 v34, v28, v39, v34
	v_cvt_f32_i32_e32 v34, v34
	v_fma_mix_f32 v32, v34, v32, -v33 op_sel_hi:[0,1,0]
	;; [unrolled: 28-line block ×5, first 2 shown]
	v_fma_mix_f32 v6, v32, v22, v6 op_sel_hi:[0,1,0]
	v_add_u32_e32 v32, s24, v18
	v_mad_u64_u32 v[32:33], s[26:27], v32, 36, s[22:23]
	v_add_u32_e32 v18, 32, v18
	v_add_co_u32_e32 v34, vcc, v32, v21
	v_addc_co_u32_e32 v35, vcc, 0, v33, vcc
	global_load_dwordx2 v[36:37], v[34:35], off offset:4
	global_load_dwordx2 v[38:39], v[34:35], off offset:20
                                        ; kill: killed $vgpr34 killed $vgpr35
	s_nop 0
	global_load_dword v32, v[32:33], off
	v_add_co_u32_e32 v2, vcc, 0x480, v2
	v_addc_co_u32_e32 v3, vcc, 0, v3, vcc
	v_cmp_le_u32_e32 vcc, s9, v18
	s_or_b64 s[12:13], vcc, s[12:13]
	s_waitcnt vmcnt(2)
	v_dot4_i32_i8 v24, v24, v36, 0
	s_waitcnt vmcnt(1)
	v_dot4_i32_i8 v24, v25, v38, v24
	v_dot4_i32_i8 v24, v26, v37, v24
	s_waitcnt vmcnt(0)
	v_cvt_f32_f16_sdwa v33, v32 dst_sel:DWORD dst_unused:UNUSED_PAD src0_sel:WORD_1
	v_dot4_i32_i8 v24, v27, v39, v24
	v_cvt_f32_i32_e32 v24, v24
	v_mul_f32_e32 v33, 4.0, v33
	v_fma_mix_f32 v24, v24, v32, -v33 op_sel_hi:[0,1,0]
	v_fma_mix_f32 v5, v24, v23, v5 op_sel_hi:[0,1,0]
	v_dot4_i32_i8 v23, v29, v36, 0
	v_dot4_i32_i8 v23, v30, v38, v23
	v_dot4_i32_i8 v23, v31, v37, v23
	v_dot4_i32_i8 v23, v28, v39, v23
	v_cvt_f32_i32_e32 v23, v23
	v_fma_mix_f32 v23, v23, v32, -v33 op_sel_hi:[0,1,0]
	v_fma_mix_f32 v4, v23, v22, v4 op_sel_hi:[0,1,0]
	s_andn2_b64 exec, exec, s[12:13]
	s_cbranch_execnz .LBB22_2
; %bb.3:
	s_or_b64 exec, exec, s[12:13]
.LBB22_4:
	s_or_b64 exec, exec, s[10:11]
	s_mov_b32 s1, 0
	v_cmp_eq_u32_e32 vcc, 0, v1
	; wave barrier
	s_and_saveexec_b64 s[10:11], vcc
	s_cbranch_execz .LBB22_19
; %bb.5:
	v_mbcnt_lo_u32_b32 v1, -1, 0
	v_mbcnt_hi_u32_b32 v19, -1, v1
	v_and_b32_e32 v1, 64, v19
	v_add_u32_e32 v20, 64, v1
	v_xor_b32_e32 v1, 32, v19
	v_cmp_lt_i32_e32 vcc, v1, v20
	v_cndmask_b32_e32 v1, v19, v1, vcc
	v_lshlrev_b32_e32 v1, 2, v1
	ds_bpermute_b32 v21, v1, v17
	ds_bpermute_b32 v22, v1, v16
	v_xor_b32_e32 v2, 16, v19
	v_cmp_lt_i32_e32 vcc, v2, v20
	v_cndmask_b32_e32 v2, v19, v2, vcc
	v_lshlrev_b32_e32 v2, 2, v2
	s_waitcnt lgkmcnt(1)
	v_add_f32_e32 v17, v17, v21
	s_waitcnt lgkmcnt(0)
	v_add_f32_e32 v16, v16, v22
	ds_bpermute_b32 v21, v2, v17
	ds_bpermute_b32 v22, v2, v16
	v_xor_b32_e32 v3, 8, v19
	v_cmp_lt_i32_e32 vcc, v3, v20
	v_cndmask_b32_e32 v3, v19, v3, vcc
	v_lshlrev_b32_e32 v3, 2, v3
	s_waitcnt lgkmcnt(1)
	v_add_f32_e32 v17, v17, v21
	s_waitcnt lgkmcnt(0)
	v_add_f32_e32 v22, v16, v22
	;; [unrolled: 10-line block ×3, first 2 shown]
	ds_bpermute_b32 v21, v18, v17
	ds_bpermute_b32 v24, v18, v22
	v_xor_b32_e32 v23, 2, v19
	v_cmp_lt_i32_e32 vcc, v23, v20
	v_cndmask_b32_e32 v23, v19, v23, vcc
	v_lshlrev_b32_e32 v16, 2, v23
	v_xor_b32_e32 v23, 1, v19
	v_cmp_lt_i32_e32 vcc, v23, v20
	s_waitcnt lgkmcnt(1)
	v_add_f32_e32 v17, v17, v21
	s_waitcnt lgkmcnt(0)
	v_add_f32_e32 v22, v22, v24
	v_cndmask_b32_e32 v19, v19, v23, vcc
	ds_bpermute_b32 v21, v16, v17
	ds_bpermute_b32 v23, v16, v22
	s_load_dwordx2 s[4:5], s[4:5], 0x38
	s_mul_i32 s3, s14, s7
	v_lshlrev_b32_e32 v20, 2, v19
	s_waitcnt lgkmcnt(0)
	v_add_f32_e32 v17, v17, v21
	v_add_f32_e32 v21, v22, v23
	s_mul_i32 s0, s18, s8
	s_add_i32 s3, s3, s6
	ds_bpermute_b32 v19, v20, v17
	ds_bpermute_b32 v22, v20, v21
	s_add_i32 s0, s3, s0
	s_lshl_b64 s[0:1], s[0:1], 2
	s_add_u32 s4, s4, s0
	v_add_u32_e32 v23, s6, v0
	s_addc_u32 s5, s5, s1
	v_cmp_gt_u32_e32 vcc, 2, v0
	v_cmp_gt_u32_e64 s[0:1], s2, v23
	s_and_b64 s[0:1], vcc, s[0:1]
	s_waitcnt lgkmcnt(1)
	v_add_f32_e32 v17, v17, v19
	s_waitcnt lgkmcnt(0)
	v_add_f32_e32 v19, v21, v22
	s_and_saveexec_b64 s[6:7], s[0:1]
	s_cbranch_execz .LBB22_7
; %bb.6:
	v_cmp_eq_u32_e32 vcc, 1, v0
	v_cndmask_b32_e32 v21, v17, v19, vcc
	v_cmp_eq_u32_e32 vcc, 2, v0
	v_cndmask_b32_e32 v21, v21, v15, vcc
	;; [unrolled: 2-line block ×13, first 2 shown]
	v_lshlrev_b32_e32 v22, 2, v0
	global_store_dword v22, v21, s[4:5]
.LBB22_7:
	s_or_b64 exec, exec, s[6:7]
	ds_bpermute_b32 v21, v1, v15
	ds_bpermute_b32 v22, v1, v14
	s_waitcnt lgkmcnt(1)
	v_add_f32_e32 v15, v15, v21
	s_waitcnt lgkmcnt(0)
	v_add_f32_e32 v14, v14, v22
	ds_bpermute_b32 v21, v2, v15
	ds_bpermute_b32 v22, v2, v14
	s_waitcnt lgkmcnt(1)
	v_add_f32_e32 v15, v15, v21
	s_waitcnt lgkmcnt(0)
	v_add_f32_e32 v14, v14, v22
	;; [unrolled: 6-line block ×6, first 2 shown]
	s_and_saveexec_b64 s[6:7], s[0:1]
	s_cbranch_execz .LBB22_9
; %bb.8:
	v_add_u32_e32 v21, 2, v0
	v_cmp_eq_u32_e32 vcc, 1, v21
	v_cndmask_b32_e32 v22, v17, v19, vcc
	v_cmp_eq_u32_e32 vcc, 2, v21
	v_cndmask_b32_e32 v22, v22, v15, vcc
	;; [unrolled: 2-line block ×13, first 2 shown]
	v_add_u32_e32 v21, s2, v0
	v_mov_b32_e32 v22, 0
	v_lshlrev_b64 v[21:22], 2, v[21:22]
	v_mov_b32_e32 v24, s5
	v_add_co_u32_e32 v21, vcc, s4, v21
	v_addc_co_u32_e32 v22, vcc, v24, v22, vcc
	global_store_dword v[21:22], v23, off
.LBB22_9:
	s_or_b64 exec, exec, s[6:7]
	ds_bpermute_b32 v21, v1, v13
	ds_bpermute_b32 v22, v1, v12
	s_waitcnt lgkmcnt(1)
	v_add_f32_e32 v13, v13, v21
	s_waitcnt lgkmcnt(0)
	v_add_f32_e32 v12, v12, v22
	ds_bpermute_b32 v21, v2, v13
	ds_bpermute_b32 v22, v2, v12
	s_waitcnt lgkmcnt(1)
	v_add_f32_e32 v13, v13, v21
	s_waitcnt lgkmcnt(0)
	v_add_f32_e32 v12, v12, v22
	;; [unrolled: 6-line block ×6, first 2 shown]
	s_and_saveexec_b64 s[6:7], s[0:1]
	s_cbranch_execz .LBB22_11
; %bb.10:
	v_add_u32_e32 v21, 4, v0
	v_cmp_eq_u32_e32 vcc, 1, v21
	v_cndmask_b32_e32 v22, v17, v19, vcc
	v_cmp_eq_u32_e32 vcc, 2, v21
	v_cndmask_b32_e32 v22, v22, v15, vcc
	;; [unrolled: 2-line block ×13, first 2 shown]
	v_lshl_or_b32 v21, s2, 1, v0
	v_mov_b32_e32 v22, 0
	v_lshlrev_b64 v[21:22], 2, v[21:22]
	v_mov_b32_e32 v24, s5
	v_add_co_u32_e32 v21, vcc, s4, v21
	v_addc_co_u32_e32 v22, vcc, v24, v22, vcc
	global_store_dword v[21:22], v23, off
.LBB22_11:
	s_or_b64 exec, exec, s[6:7]
	ds_bpermute_b32 v21, v1, v11
	ds_bpermute_b32 v22, v1, v10
	s_waitcnt lgkmcnt(1)
	v_add_f32_e32 v11, v11, v21
	s_waitcnt lgkmcnt(0)
	v_add_f32_e32 v10, v10, v22
	ds_bpermute_b32 v21, v2, v11
	ds_bpermute_b32 v22, v2, v10
	s_waitcnt lgkmcnt(1)
	v_add_f32_e32 v11, v11, v21
	s_waitcnt lgkmcnt(0)
	v_add_f32_e32 v10, v10, v22
	ds_bpermute_b32 v21, v3, v11
	ds_bpermute_b32 v22, v3, v10
	s_waitcnt lgkmcnt(1)
	v_add_f32_e32 v11, v11, v21
	s_waitcnt lgkmcnt(0)
	v_add_f32_e32 v10, v10, v22
	ds_bpermute_b32 v21, v18, v11
	ds_bpermute_b32 v22, v18, v10
	s_waitcnt lgkmcnt(1)
	v_add_f32_e32 v11, v11, v21
	s_waitcnt lgkmcnt(0)
	v_add_f32_e32 v10, v10, v22
	ds_bpermute_b32 v21, v16, v11
	ds_bpermute_b32 v22, v16, v10
	s_waitcnt lgkmcnt(1)
	v_add_f32_e32 v11, v11, v21
	s_waitcnt lgkmcnt(0)
	v_add_f32_e32 v10, v10, v22
	ds_bpermute_b32 v21, v20, v11
	ds_bpermute_b32 v22, v20, v10
	s_waitcnt lgkmcnt(1)
	v_add_f32_e32 v11, v11, v21
	s_waitcnt lgkmcnt(0)
	v_add_f32_e32 v10, v10, v22
	s_and_saveexec_b64 s[6:7], s[0:1]
	s_cbranch_execz .LBB22_13
; %bb.12:
	v_add_u32_e32 v23, 6, v0
	v_cmp_eq_u32_e32 vcc, 1, v23
	v_cndmask_b32_e32 v21, v17, v19, vcc
	v_cmp_eq_u32_e32 vcc, 2, v23
	v_cndmask_b32_e32 v21, v21, v15, vcc
	v_cmp_eq_u32_e32 vcc, 3, v23
	v_cndmask_b32_e32 v21, v21, v14, vcc
	v_cmp_eq_u32_e32 vcc, 4, v23
	v_cndmask_b32_e32 v21, v21, v13, vcc
	v_cmp_eq_u32_e32 vcc, 5, v23
	v_cndmask_b32_e32 v21, v21, v12, vcc
	v_cmp_eq_u32_e32 vcc, 6, v23
	v_cndmask_b32_e32 v21, v21, v11, vcc
	v_cmp_eq_u32_e32 vcc, 7, v23
	v_cndmask_b32_e32 v21, v21, v10, vcc
	v_cmp_eq_u32_e32 vcc, 8, v23
	v_cndmask_b32_e32 v21, v21, v9, vcc
	v_cmp_eq_u32_e32 vcc, 9, v23
	v_cndmask_b32_e32 v21, v21, v8, vcc
	v_cmp_eq_u32_e32 vcc, 10, v23
	v_cndmask_b32_e32 v21, v21, v7, vcc
	v_cmp_eq_u32_e32 vcc, 11, v23
	v_cndmask_b32_e32 v21, v21, v6, vcc
	v_cmp_eq_u32_e32 vcc, 12, v23
	v_cndmask_b32_e32 v24, v21, v5, vcc
	v_mad_u64_u32 v[21:22], s[8:9], s2, 3, v[0:1]
	v_mov_b32_e32 v22, 0
	v_cmp_eq_u32_e32 vcc, 13, v23
	v_lshlrev_b64 v[21:22], 2, v[21:22]
	v_cndmask_b32_e32 v23, v24, v4, vcc
	v_mov_b32_e32 v24, s5
	v_add_co_u32_e32 v21, vcc, s4, v21
	v_addc_co_u32_e32 v22, vcc, v24, v22, vcc
	global_store_dword v[21:22], v23, off
.LBB22_13:
	s_or_b64 exec, exec, s[6:7]
	ds_bpermute_b32 v21, v1, v9
	ds_bpermute_b32 v22, v1, v8
	s_waitcnt lgkmcnt(1)
	v_add_f32_e32 v9, v9, v21
	s_waitcnt lgkmcnt(0)
	v_add_f32_e32 v8, v8, v22
	ds_bpermute_b32 v21, v2, v9
	ds_bpermute_b32 v22, v2, v8
	s_waitcnt lgkmcnt(1)
	v_add_f32_e32 v9, v9, v21
	s_waitcnt lgkmcnt(0)
	v_add_f32_e32 v8, v8, v22
	;; [unrolled: 6-line block ×6, first 2 shown]
	s_and_saveexec_b64 s[6:7], s[0:1]
	s_cbranch_execz .LBB22_15
; %bb.14:
	v_add_u32_e32 v21, 8, v0
	v_cmp_eq_u32_e32 vcc, 1, v21
	v_cndmask_b32_e32 v22, v17, v19, vcc
	v_cmp_eq_u32_e32 vcc, 2, v21
	v_cndmask_b32_e32 v22, v22, v15, vcc
	;; [unrolled: 2-line block ×13, first 2 shown]
	v_lshl_or_b32 v21, s2, 2, v0
	v_mov_b32_e32 v22, 0
	v_lshlrev_b64 v[21:22], 2, v[21:22]
	v_mov_b32_e32 v24, s5
	v_add_co_u32_e32 v21, vcc, s4, v21
	v_addc_co_u32_e32 v22, vcc, v24, v22, vcc
	global_store_dword v[21:22], v23, off
.LBB22_15:
	s_or_b64 exec, exec, s[6:7]
	ds_bpermute_b32 v21, v1, v7
	ds_bpermute_b32 v22, v1, v6
	s_waitcnt lgkmcnt(1)
	v_add_f32_e32 v7, v7, v21
	s_waitcnt lgkmcnt(0)
	v_add_f32_e32 v6, v6, v22
	ds_bpermute_b32 v21, v2, v7
	ds_bpermute_b32 v22, v2, v6
	s_waitcnt lgkmcnt(1)
	v_add_f32_e32 v7, v7, v21
	s_waitcnt lgkmcnt(0)
	v_add_f32_e32 v6, v6, v22
	;; [unrolled: 6-line block ×6, first 2 shown]
	s_and_saveexec_b64 s[6:7], s[0:1]
	s_cbranch_execz .LBB22_17
; %bb.16:
	v_add_u32_e32 v23, 10, v0
	v_cmp_eq_u32_e32 vcc, 1, v23
	v_cndmask_b32_e32 v21, v17, v19, vcc
	v_cmp_eq_u32_e32 vcc, 2, v23
	v_cndmask_b32_e32 v21, v21, v15, vcc
	;; [unrolled: 2-line block ×12, first 2 shown]
	v_mad_u64_u32 v[21:22], s[8:9], s2, 5, v[0:1]
	v_mov_b32_e32 v22, 0
	v_cmp_eq_u32_e32 vcc, 13, v23
	v_lshlrev_b64 v[21:22], 2, v[21:22]
	v_cndmask_b32_e32 v23, v24, v4, vcc
	v_mov_b32_e32 v24, s5
	v_add_co_u32_e32 v21, vcc, s4, v21
	v_addc_co_u32_e32 v22, vcc, v24, v22, vcc
	global_store_dword v[21:22], v23, off
.LBB22_17:
	s_or_b64 exec, exec, s[6:7]
	ds_bpermute_b32 v21, v1, v5
	ds_bpermute_b32 v1, v1, v4
	s_waitcnt lgkmcnt(1)
	v_add_f32_e32 v5, v5, v21
	s_waitcnt lgkmcnt(0)
	v_add_f32_e32 v1, v4, v1
	ds_bpermute_b32 v4, v2, v5
	ds_bpermute_b32 v2, v2, v1
	s_waitcnt lgkmcnt(1)
	v_add_f32_e32 v4, v5, v4
	s_waitcnt lgkmcnt(0)
	v_add_f32_e32 v1, v1, v2
	;; [unrolled: 6-line block ×5, first 2 shown]
	ds_bpermute_b32 v3, v20, v1
	ds_bpermute_b32 v4, v20, v2
	s_and_b64 exec, exec, s[0:1]
	s_cbranch_execz .LBB22_19
; %bb.18:
	s_waitcnt lgkmcnt(1)
	v_add_f32_e32 v1, v1, v3
	v_add_u32_e32 v3, 12, v0
	v_cmp_eq_u32_e32 vcc, 1, v3
	s_waitcnt lgkmcnt(0)
	v_add_f32_e32 v2, v2, v4
	v_cndmask_b32_e32 v4, v17, v19, vcc
	v_cmp_eq_u32_e32 vcc, 2, v3
	v_cndmask_b32_e32 v4, v4, v15, vcc
	v_cmp_eq_u32_e32 vcc, 3, v3
	v_cndmask_b32_e32 v4, v4, v14, vcc
	v_cmp_eq_u32_e32 vcc, 4, v3
	v_cndmask_b32_e32 v4, v4, v13, vcc
	v_cmp_eq_u32_e32 vcc, 5, v3
	v_cndmask_b32_e32 v4, v4, v12, vcc
	v_cmp_eq_u32_e32 vcc, 6, v3
	v_cndmask_b32_e32 v4, v4, v11, vcc
	v_cmp_eq_u32_e32 vcc, 7, v3
	v_cndmask_b32_e32 v4, v4, v10, vcc
	v_cmp_eq_u32_e32 vcc, 8, v3
	v_cndmask_b32_e32 v4, v4, v9, vcc
	v_cmp_eq_u32_e32 vcc, 9, v3
	v_cndmask_b32_e32 v4, v4, v8, vcc
	v_cmp_eq_u32_e32 vcc, 10, v3
	v_cndmask_b32_e32 v4, v4, v7, vcc
	v_cmp_eq_u32_e32 vcc, 11, v3
	v_cndmask_b32_e32 v4, v4, v6, vcc
	v_cmp_eq_u32_e32 vcc, 12, v3
	v_cndmask_b32_e32 v1, v4, v1, vcc
	v_cmp_eq_u32_e32 vcc, 13, v3
	s_mul_i32 s0, s2, 6
	v_cndmask_b32_e32 v2, v1, v2, vcc
	v_or_b32_e32 v0, s0, v0
	v_mov_b32_e32 v1, 0
	v_lshlrev_b64 v[0:1], 2, v[0:1]
	v_mov_b32_e32 v3, s5
	v_add_co_u32_e32 v0, vcc, s4, v0
	v_addc_co_u32_e32 v1, vcc, v3, v1, vcc
	global_store_dword v[0:1], v2, off
.LBB22_19:
	s_endpgm
	.section	.rodata,"a",@progbits
	.p2align	6, 0x0
	.amdhsa_kernel _ZL13mul_mat_vec_qIL9ggml_type2ELi7ELb0ELb0EEvPKvS2_PKi31ggml_cuda_mm_fusion_args_devicePfj15HIP_vector_typeIjLj3EEjjjS8_jjjS8_jjjj
		.amdhsa_group_segment_fixed_size 0
		.amdhsa_private_segment_fixed_size 0
		.amdhsa_kernarg_size 144
		.amdhsa_user_sgpr_count 6
		.amdhsa_user_sgpr_private_segment_buffer 1
		.amdhsa_user_sgpr_dispatch_ptr 0
		.amdhsa_user_sgpr_queue_ptr 0
		.amdhsa_user_sgpr_kernarg_segment_ptr 1
		.amdhsa_user_sgpr_dispatch_id 0
		.amdhsa_user_sgpr_flat_scratch_init 0
		.amdhsa_user_sgpr_private_segment_size 0
		.amdhsa_uses_dynamic_stack 0
		.amdhsa_system_sgpr_private_segment_wavefront_offset 0
		.amdhsa_system_sgpr_workgroup_id_x 1
		.amdhsa_system_sgpr_workgroup_id_y 1
		.amdhsa_system_sgpr_workgroup_id_z 1
		.amdhsa_system_sgpr_workgroup_info 0
		.amdhsa_system_vgpr_workitem_id 1
		.amdhsa_next_free_vgpr 41
		.amdhsa_next_free_sgpr 28
		.amdhsa_reserve_vcc 1
		.amdhsa_reserve_flat_scratch 0
		.amdhsa_float_round_mode_32 0
		.amdhsa_float_round_mode_16_64 0
		.amdhsa_float_denorm_mode_32 3
		.amdhsa_float_denorm_mode_16_64 3
		.amdhsa_dx10_clamp 1
		.amdhsa_ieee_mode 1
		.amdhsa_fp16_overflow 0
		.amdhsa_exception_fp_ieee_invalid_op 0
		.amdhsa_exception_fp_denorm_src 0
		.amdhsa_exception_fp_ieee_div_zero 0
		.amdhsa_exception_fp_ieee_overflow 0
		.amdhsa_exception_fp_ieee_underflow 0
		.amdhsa_exception_fp_ieee_inexact 0
		.amdhsa_exception_int_div_zero 0
	.end_amdhsa_kernel
	.section	.text._ZL13mul_mat_vec_qIL9ggml_type2ELi7ELb0ELb0EEvPKvS2_PKi31ggml_cuda_mm_fusion_args_devicePfj15HIP_vector_typeIjLj3EEjjjS8_jjjS8_jjjj,"axG",@progbits,_ZL13mul_mat_vec_qIL9ggml_type2ELi7ELb0ELb0EEvPKvS2_PKi31ggml_cuda_mm_fusion_args_devicePfj15HIP_vector_typeIjLj3EEjjjS8_jjjS8_jjjj,comdat
.Lfunc_end22:
	.size	_ZL13mul_mat_vec_qIL9ggml_type2ELi7ELb0ELb0EEvPKvS2_PKi31ggml_cuda_mm_fusion_args_devicePfj15HIP_vector_typeIjLj3EEjjjS8_jjjS8_jjjj, .Lfunc_end22-_ZL13mul_mat_vec_qIL9ggml_type2ELi7ELb0ELb0EEvPKvS2_PKi31ggml_cuda_mm_fusion_args_devicePfj15HIP_vector_typeIjLj3EEjjjS8_jjjS8_jjjj
                                        ; -- End function
	.set _ZL13mul_mat_vec_qIL9ggml_type2ELi7ELb0ELb0EEvPKvS2_PKi31ggml_cuda_mm_fusion_args_devicePfj15HIP_vector_typeIjLj3EEjjjS8_jjjS8_jjjj.num_vgpr, 41
	.set _ZL13mul_mat_vec_qIL9ggml_type2ELi7ELb0ELb0EEvPKvS2_PKi31ggml_cuda_mm_fusion_args_devicePfj15HIP_vector_typeIjLj3EEjjjS8_jjjS8_jjjj.num_agpr, 0
	.set _ZL13mul_mat_vec_qIL9ggml_type2ELi7ELb0ELb0EEvPKvS2_PKi31ggml_cuda_mm_fusion_args_devicePfj15HIP_vector_typeIjLj3EEjjjS8_jjjS8_jjjj.numbered_sgpr, 28
	.set _ZL13mul_mat_vec_qIL9ggml_type2ELi7ELb0ELb0EEvPKvS2_PKi31ggml_cuda_mm_fusion_args_devicePfj15HIP_vector_typeIjLj3EEjjjS8_jjjS8_jjjj.num_named_barrier, 0
	.set _ZL13mul_mat_vec_qIL9ggml_type2ELi7ELb0ELb0EEvPKvS2_PKi31ggml_cuda_mm_fusion_args_devicePfj15HIP_vector_typeIjLj3EEjjjS8_jjjS8_jjjj.private_seg_size, 0
	.set _ZL13mul_mat_vec_qIL9ggml_type2ELi7ELb0ELb0EEvPKvS2_PKi31ggml_cuda_mm_fusion_args_devicePfj15HIP_vector_typeIjLj3EEjjjS8_jjjS8_jjjj.uses_vcc, 1
	.set _ZL13mul_mat_vec_qIL9ggml_type2ELi7ELb0ELb0EEvPKvS2_PKi31ggml_cuda_mm_fusion_args_devicePfj15HIP_vector_typeIjLj3EEjjjS8_jjjS8_jjjj.uses_flat_scratch, 0
	.set _ZL13mul_mat_vec_qIL9ggml_type2ELi7ELb0ELb0EEvPKvS2_PKi31ggml_cuda_mm_fusion_args_devicePfj15HIP_vector_typeIjLj3EEjjjS8_jjjS8_jjjj.has_dyn_sized_stack, 0
	.set _ZL13mul_mat_vec_qIL9ggml_type2ELi7ELb0ELb0EEvPKvS2_PKi31ggml_cuda_mm_fusion_args_devicePfj15HIP_vector_typeIjLj3EEjjjS8_jjjS8_jjjj.has_recursion, 0
	.set _ZL13mul_mat_vec_qIL9ggml_type2ELi7ELb0ELb0EEvPKvS2_PKi31ggml_cuda_mm_fusion_args_devicePfj15HIP_vector_typeIjLj3EEjjjS8_jjjS8_jjjj.has_indirect_call, 0
	.section	.AMDGPU.csdata,"",@progbits
; Kernel info:
; codeLenInByte = 4400
; TotalNumSgprs: 32
; NumVgprs: 41
; ScratchSize: 0
; MemoryBound: 0
; FloatMode: 240
; IeeeMode: 1
; LDSByteSize: 0 bytes/workgroup (compile time only)
; SGPRBlocks: 3
; VGPRBlocks: 10
; NumSGPRsForWavesPerEU: 32
; NumVGPRsForWavesPerEU: 41
; Occupancy: 5
; WaveLimiterHint : 0
; COMPUTE_PGM_RSRC2:SCRATCH_EN: 0
; COMPUTE_PGM_RSRC2:USER_SGPR: 6
; COMPUTE_PGM_RSRC2:TRAP_HANDLER: 0
; COMPUTE_PGM_RSRC2:TGID_X_EN: 1
; COMPUTE_PGM_RSRC2:TGID_Y_EN: 1
; COMPUTE_PGM_RSRC2:TGID_Z_EN: 1
; COMPUTE_PGM_RSRC2:TIDIG_COMP_CNT: 1
	.section	.text._ZL13mul_mat_vec_qIL9ggml_type2ELi8ELb0ELb0EEvPKvS2_PKi31ggml_cuda_mm_fusion_args_devicePfj15HIP_vector_typeIjLj3EEjjjS8_jjjS8_jjjj,"axG",@progbits,_ZL13mul_mat_vec_qIL9ggml_type2ELi8ELb0ELb0EEvPKvS2_PKi31ggml_cuda_mm_fusion_args_devicePfj15HIP_vector_typeIjLj3EEjjjS8_jjjS8_jjjj,comdat
	.globl	_ZL13mul_mat_vec_qIL9ggml_type2ELi8ELb0ELb0EEvPKvS2_PKi31ggml_cuda_mm_fusion_args_devicePfj15HIP_vector_typeIjLj3EEjjjS8_jjjS8_jjjj ; -- Begin function _ZL13mul_mat_vec_qIL9ggml_type2ELi8ELb0ELb0EEvPKvS2_PKi31ggml_cuda_mm_fusion_args_devicePfj15HIP_vector_typeIjLj3EEjjjS8_jjjS8_jjjj
	.p2align	8
	.type	_ZL13mul_mat_vec_qIL9ggml_type2ELi8ELb0ELb0EEvPKvS2_PKi31ggml_cuda_mm_fusion_args_devicePfj15HIP_vector_typeIjLj3EEjjjS8_jjjS8_jjjj,@function
_ZL13mul_mat_vec_qIL9ggml_type2ELi8ELb0ELb0EEvPKvS2_PKi31ggml_cuda_mm_fusion_args_devicePfj15HIP_vector_typeIjLj3EEjjjS8_jjjS8_jjjj: ; @_ZL13mul_mat_vec_qIL9ggml_type2ELi8ELb0ELb0EEvPKvS2_PKi31ggml_cuda_mm_fusion_args_devicePfj15HIP_vector_typeIjLj3EEjjjS8_jjjS8_jjjj
; %bb.0:
	s_load_dword s9, s[4:5], 0x40
	s_load_dwordx4 s[0:3], s[4:5], 0x50
	s_load_dword s25, s[4:5], 0x60
	s_load_dwordx4 s[12:15], s[4:5], 0x68
	;; [unrolled: 2-line block ×3, first 2 shown]
	v_lshl_or_b32 v2, v1, 6, v0
	s_waitcnt lgkmcnt(0)
	s_lshr_b32 s9, s9, 5
	v_lshrrev_b16_e32 v20, 1, v2
	v_mov_b32_e32 v4, 0
	s_lshl_b32 s6, s6, 1
	v_cmp_gt_u32_e32 vcc, s9, v20
	v_mov_b32_e32 v5, v4
	v_mov_b32_e32 v6, v4
	;; [unrolled: 1-line block ×15, first 2 shown]
	s_and_saveexec_b64 s[10:11], vcc
	s_cbranch_execz .LBB23_4
; %bb.1:
	s_load_dwordx4 s[20:23], s[4:5], 0x0
	s_mul_i32 s17, s17, s8
	s_mul_hi_u32 s19, s17, 36
	s_mul_i32 s17, s17, 36
	s_mul_i32 s13, s13, s7
	s_waitcnt lgkmcnt(0)
	s_add_u32 s17, s22, s17
	s_addc_u32 s19, s23, s19
	s_mul_hi_u32 s23, s13, 36
	s_mul_i32 s13, s13, 36
	s_add_u32 s22, s17, s13
	s_mul_hi_u32 s3, s3, s7
	s_addc_u32 s23, s19, s23
	s_add_i32 s3, s7, s3
	s_lshr_b32 s3, s3, s25
	s_mul_i32 s3, s3, s12
	s_mul_hi_u32 s12, s15, s8
	s_add_i32 s12, s8, s12
	s_lshr_b32 s12, s12, s24
	s_mul_i32 s12, s12, s16
	v_lshlrev_b32_e32 v3, 1, v0
	s_add_i32 s13, s6, 1
	v_and_b32_e32 v5, 2, v3
	s_add_i32 s12, s12, s3
	s_mul_i32 s3, s6, s0
	s_mul_i32 s0, s0, s13
	v_and_b32_e32 v3, 1, v0
	v_lshrrev_b32_e32 v2, 1, v2
	s_add_i32 s3, s12, s3
	s_add_i32 s0, s12, s0
	v_lshlrev_b32_e32 v21, 3, v3
	v_mad_u64_u32 v[2:3], s[12:13], v2, 36, s[22:23]
	v_lshlrev_b32_e32 v6, 1, v5
	v_mov_b32_e32 v4, 0
	s_lshl_b32 s15, s1, 1
	s_mul_i32 s16, s1, 3
	s_lshl_b32 s17, s1, 2
	s_mul_i32 s19, s1, 5
	s_mul_i32 s24, s1, 6
	;; [unrolled: 1-line block ×3, first 2 shown]
	s_mov_b64 s[12:13], 0
	v_lshlrev_b32_e32 v22, 1, v6
	v_lshlrev_b32_e32 v23, 2, v5
	v_mov_b32_e32 v5, v4
	v_mov_b32_e32 v6, v4
	;; [unrolled: 1-line block ×15, first 2 shown]
.LBB23_2:                               ; =>This Inner Loop Header: Depth=1
	v_add_co_u32_e32 v24, vcc, v2, v21
	v_addc_co_u32_e32 v25, vcc, 0, v3, vcc
	global_load_dwordx2 v[34:35], v[24:25], off offset:4
	global_load_dwordx2 v[36:37], v[24:25], off offset:20
	global_load_dword v40, v[2:3], off
	v_add_u32_e32 v26, s3, v20
	v_mad_i64_i32 v[25:26], s[26:27], v26, 18, s[20:21]
	v_add_co_u32_e32 v27, vcc, v25, v22
	v_addc_co_u32_e32 v28, vcc, 0, v26, vcc
	s_waitcnt vmcnt(0)
	v_cvt_f32_f16_sdwa v24, v40 dst_sel:DWORD dst_unused:UNUSED_PAD src0_sel:WORD_1
	v_mul_f32_e32 v41, 4.0, v24
	global_load_dwordx2 v[29:30], v[27:28], off offset:2
	global_load_ushort v24, v[25:26], off
	s_waitcnt vmcnt(1)
	v_and_b32_e32 v25, 0xf0f0f0f, v29
	v_lshrrev_b32_e32 v26, 4, v29
	v_and_b32_e32 v26, 0xf0f0f0f, v26
	v_dot4_i32_i8 v27, v25, v34, 0
	v_dot4_i32_i8 v29, v26, v36, v27
	v_and_b32_e32 v27, 0xf0f0f0f, v30
	v_lshrrev_b32_e32 v28, 4, v30
	v_and_b32_e32 v28, 0xf0f0f0f, v28
	v_dot4_i32_i8 v29, v27, v35, v29
	v_dot4_i32_i8 v29, v28, v37, v29
	v_cvt_f32_i32_e32 v29, v29
	v_fma_mix_f32 v29, v29, v40, -v41 op_sel_hi:[0,1,0]
	s_waitcnt vmcnt(0)
	v_fma_mix_f32 v19, v29, v24, v19 op_sel_hi:[0,1,0]
	v_add_u32_e32 v29, s0, v20
	v_mad_i64_i32 v[30:31], s[26:27], v29, 18, s[20:21]
	v_add_co_u32_e32 v32, vcc, v30, v22
	v_addc_co_u32_e32 v33, vcc, 0, v31, vcc
	global_load_dwordx2 v[38:39], v[32:33], off offset:2
	global_load_ushort v29, v[30:31], off
	s_waitcnt vmcnt(1)
	v_and_b32_e32 v31, 0xf0f0f0f, v38
	v_lshrrev_b32_e32 v30, 4, v38
	v_and_b32_e32 v33, 0xf0f0f0f, v30
	v_dot4_i32_i8 v30, v31, v34, 0
	v_dot4_i32_i8 v34, v33, v36, v30
	v_and_b32_e32 v32, 0xf0f0f0f, v39
	v_lshrrev_b32_e32 v30, 4, v39
	v_and_b32_e32 v30, 0xf0f0f0f, v30
	v_dot4_i32_i8 v34, v32, v35, v34
	v_dot4_i32_i8 v34, v30, v37, v34
	v_cvt_f32_i32_e32 v34, v34
	v_fma_mix_f32 v34, v34, v40, -v41 op_sel_hi:[0,1,0]
	s_waitcnt vmcnt(0)
	v_fma_mix_f32 v18, v34, v29, v18 op_sel_hi:[0,1,0]
	v_add_u32_e32 v34, s1, v20
	v_mad_u64_u32 v[34:35], s[26:27], v34, 36, s[22:23]
	v_add_co_u32_e32 v36, vcc, v34, v23
	v_addc_co_u32_e32 v37, vcc, 0, v35, vcc
	global_load_dwordx2 v[38:39], v[36:37], off offset:4
	global_load_dwordx2 v[40:41], v[36:37], off offset:20
	global_load_dword v42, v[34:35], off
	s_waitcnt vmcnt(2)
	v_dot4_i32_i8 v35, v25, v38, 0
	s_waitcnt vmcnt(1)
	v_dot4_i32_i8 v35, v26, v40, v35
	v_dot4_i32_i8 v35, v27, v39, v35
	s_waitcnt vmcnt(0)
	v_cvt_f32_f16_sdwa v34, v42 dst_sel:DWORD dst_unused:UNUSED_PAD src0_sel:WORD_1
	v_dot4_i32_i8 v35, v28, v41, v35
	v_cvt_f32_i32_e32 v35, v35
	v_mul_f32_e32 v34, 4.0, v34
	v_fma_mix_f32 v35, v35, v42, -v34 op_sel_hi:[0,1,0]
	v_fma_mix_f32 v17, v35, v24, v17 op_sel_hi:[0,1,0]
	v_dot4_i32_i8 v35, v31, v38, 0
	v_dot4_i32_i8 v35, v33, v40, v35
	v_dot4_i32_i8 v35, v32, v39, v35
	v_dot4_i32_i8 v35, v30, v41, v35
	v_cvt_f32_i32_e32 v35, v35
	v_fma_mix_f32 v34, v35, v42, -v34 op_sel_hi:[0,1,0]
	v_fma_mix_f32 v16, v34, v29, v16 op_sel_hi:[0,1,0]
	v_add_u32_e32 v34, s15, v20
	v_mad_u64_u32 v[34:35], s[26:27], v34, 36, s[22:23]
	v_add_co_u32_e32 v36, vcc, v34, v23
	v_addc_co_u32_e32 v37, vcc, 0, v35, vcc
	global_load_dwordx2 v[38:39], v[36:37], off offset:4
	global_load_dwordx2 v[40:41], v[36:37], off offset:20
	global_load_dword v42, v[34:35], off
	s_waitcnt vmcnt(2)
	v_dot4_i32_i8 v35, v25, v38, 0
	s_waitcnt vmcnt(1)
	v_dot4_i32_i8 v35, v26, v40, v35
	v_dot4_i32_i8 v35, v27, v39, v35
	s_waitcnt vmcnt(0)
	v_cvt_f32_f16_sdwa v34, v42 dst_sel:DWORD dst_unused:UNUSED_PAD src0_sel:WORD_1
	v_dot4_i32_i8 v35, v28, v41, v35
	v_cvt_f32_i32_e32 v35, v35
	v_mul_f32_e32 v34, 4.0, v34
	v_fma_mix_f32 v35, v35, v42, -v34 op_sel_hi:[0,1,0]
	v_fma_mix_f32 v15, v35, v24, v15 op_sel_hi:[0,1,0]
	v_dot4_i32_i8 v35, v31, v38, 0
	v_dot4_i32_i8 v35, v33, v40, v35
	v_dot4_i32_i8 v35, v32, v39, v35
	v_dot4_i32_i8 v35, v30, v41, v35
	v_cvt_f32_i32_e32 v35, v35
	v_fma_mix_f32 v34, v35, v42, -v34 op_sel_hi:[0,1,0]
	;; [unrolled: 26-line block ×6, first 2 shown]
	v_fma_mix_f32 v6, v34, v29, v6 op_sel_hi:[0,1,0]
	v_add_u32_e32 v34, s25, v20
	v_mad_u64_u32 v[34:35], s[26:27], v34, 36, s[22:23]
	v_add_u32_e32 v20, 32, v20
	v_add_co_u32_e32 v36, vcc, v34, v23
	v_addc_co_u32_e32 v37, vcc, 0, v35, vcc
	global_load_dwordx2 v[38:39], v[36:37], off offset:4
	global_load_dwordx2 v[40:41], v[36:37], off offset:20
	global_load_dword v42, v[34:35], off
	v_add_co_u32_e32 v2, vcc, 0x480, v2
	v_addc_co_u32_e32 v3, vcc, 0, v3, vcc
	v_cmp_le_u32_e32 vcc, s9, v20
	s_or_b64 s[12:13], vcc, s[12:13]
	s_waitcnt vmcnt(2)
	v_dot4_i32_i8 v25, v25, v38, 0
	s_waitcnt vmcnt(1)
	v_dot4_i32_i8 v25, v26, v40, v25
	v_dot4_i32_i8 v25, v27, v39, v25
	s_waitcnt vmcnt(0)
	v_cvt_f32_f16_sdwa v34, v42 dst_sel:DWORD dst_unused:UNUSED_PAD src0_sel:WORD_1
	v_dot4_i32_i8 v25, v28, v41, v25
	v_cvt_f32_i32_e32 v25, v25
	v_mul_f32_e32 v34, 4.0, v34
	v_fma_mix_f32 v25, v25, v42, -v34 op_sel_hi:[0,1,0]
	v_fma_mix_f32 v5, v25, v24, v5 op_sel_hi:[0,1,0]
	v_dot4_i32_i8 v24, v31, v38, 0
	v_dot4_i32_i8 v24, v33, v40, v24
	;; [unrolled: 1-line block ×4, first 2 shown]
	v_cvt_f32_i32_e32 v24, v24
	v_fma_mix_f32 v24, v24, v42, -v34 op_sel_hi:[0,1,0]
	v_fma_mix_f32 v4, v24, v29, v4 op_sel_hi:[0,1,0]
	s_andn2_b64 exec, exec, s[12:13]
	s_cbranch_execnz .LBB23_2
; %bb.3:
	s_or_b64 exec, exec, s[12:13]
.LBB23_4:
	s_or_b64 exec, exec, s[10:11]
	s_mov_b32 s1, 0
	v_cmp_eq_u32_e32 vcc, 0, v1
	; wave barrier
	s_and_saveexec_b64 s[10:11], vcc
	s_cbranch_execz .LBB23_21
; %bb.5:
	v_mbcnt_lo_u32_b32 v1, -1, 0
	v_mbcnt_hi_u32_b32 v21, -1, v1
	v_and_b32_e32 v1, 64, v21
	v_add_u32_e32 v22, 64, v1
	v_xor_b32_e32 v1, 32, v21
	v_cmp_lt_i32_e32 vcc, v1, v22
	v_cndmask_b32_e32 v1, v21, v1, vcc
	v_lshlrev_b32_e32 v1, 2, v1
	ds_bpermute_b32 v23, v1, v19
	ds_bpermute_b32 v24, v1, v18
	v_xor_b32_e32 v2, 16, v21
	v_cmp_lt_i32_e32 vcc, v2, v22
	v_cndmask_b32_e32 v2, v21, v2, vcc
	v_lshlrev_b32_e32 v2, 2, v2
	s_waitcnt lgkmcnt(1)
	v_add_f32_e32 v19, v19, v23
	s_waitcnt lgkmcnt(0)
	v_add_f32_e32 v18, v18, v24
	ds_bpermute_b32 v23, v2, v19
	ds_bpermute_b32 v24, v2, v18
	v_xor_b32_e32 v3, 8, v21
	v_cmp_lt_i32_e32 vcc, v3, v22
	v_cndmask_b32_e32 v3, v21, v3, vcc
	v_lshlrev_b32_e32 v3, 2, v3
	s_waitcnt lgkmcnt(1)
	v_add_f32_e32 v19, v19, v23
	s_waitcnt lgkmcnt(0)
	v_add_f32_e32 v24, v18, v24
	;; [unrolled: 10-line block ×3, first 2 shown]
	ds_bpermute_b32 v23, v20, v19
	ds_bpermute_b32 v26, v20, v24
	v_xor_b32_e32 v25, 2, v21
	v_cmp_lt_i32_e32 vcc, v25, v22
	v_cndmask_b32_e32 v25, v21, v25, vcc
	v_lshlrev_b32_e32 v18, 2, v25
	v_xor_b32_e32 v25, 1, v21
	v_cmp_lt_i32_e32 vcc, v25, v22
	s_waitcnt lgkmcnt(1)
	v_add_f32_e32 v19, v19, v23
	s_waitcnt lgkmcnt(0)
	v_add_f32_e32 v24, v24, v26
	v_cndmask_b32_e32 v21, v21, v25, vcc
	ds_bpermute_b32 v23, v18, v19
	ds_bpermute_b32 v25, v18, v24
	s_load_dwordx2 s[4:5], s[4:5], 0x38
	s_mul_i32 s3, s14, s7
	v_lshlrev_b32_e32 v22, 2, v21
	s_waitcnt lgkmcnt(0)
	v_add_f32_e32 v19, v19, v23
	v_add_f32_e32 v23, v24, v25
	s_mul_i32 s0, s18, s8
	s_add_i32 s3, s3, s6
	ds_bpermute_b32 v21, v22, v19
	ds_bpermute_b32 v24, v22, v23
	s_add_i32 s0, s3, s0
	s_lshl_b64 s[0:1], s[0:1], 2
	s_add_u32 s4, s4, s0
	v_add_u32_e32 v25, s6, v0
	s_addc_u32 s5, s5, s1
	v_cmp_gt_u32_e32 vcc, 2, v0
	v_cmp_gt_u32_e64 s[0:1], s2, v25
	s_and_b64 s[0:1], vcc, s[0:1]
	s_waitcnt lgkmcnt(1)
	v_add_f32_e32 v19, v19, v21
	s_waitcnt lgkmcnt(0)
	v_add_f32_e32 v21, v23, v24
	s_and_saveexec_b64 s[6:7], s[0:1]
	s_cbranch_execz .LBB23_7
; %bb.6:
	v_cmp_eq_u32_e32 vcc, 1, v0
	v_cndmask_b32_e32 v23, v19, v21, vcc
	v_cmp_eq_u32_e32 vcc, 2, v0
	v_cndmask_b32_e32 v23, v23, v17, vcc
	;; [unrolled: 2-line block ×15, first 2 shown]
	v_lshlrev_b32_e32 v24, 2, v0
	global_store_dword v24, v23, s[4:5]
.LBB23_7:
	s_or_b64 exec, exec, s[6:7]
	ds_bpermute_b32 v23, v1, v17
	ds_bpermute_b32 v24, v1, v16
	s_waitcnt lgkmcnt(1)
	v_add_f32_e32 v17, v17, v23
	s_waitcnt lgkmcnt(0)
	v_add_f32_e32 v16, v16, v24
	ds_bpermute_b32 v23, v2, v17
	ds_bpermute_b32 v24, v2, v16
	s_waitcnt lgkmcnt(1)
	v_add_f32_e32 v17, v17, v23
	s_waitcnt lgkmcnt(0)
	v_add_f32_e32 v16, v16, v24
	;; [unrolled: 6-line block ×6, first 2 shown]
	s_and_saveexec_b64 s[6:7], s[0:1]
	s_cbranch_execz .LBB23_9
; %bb.8:
	v_add_u32_e32 v23, 2, v0
	v_cmp_eq_u32_e32 vcc, 1, v23
	v_cndmask_b32_e32 v24, v19, v21, vcc
	v_cmp_eq_u32_e32 vcc, 2, v23
	v_cndmask_b32_e32 v24, v24, v17, vcc
	;; [unrolled: 2-line block ×15, first 2 shown]
	v_add_u32_e32 v23, s2, v0
	v_mov_b32_e32 v24, 0
	v_lshlrev_b64 v[23:24], 2, v[23:24]
	v_mov_b32_e32 v26, s5
	v_add_co_u32_e32 v23, vcc, s4, v23
	v_addc_co_u32_e32 v24, vcc, v26, v24, vcc
	global_store_dword v[23:24], v25, off
.LBB23_9:
	s_or_b64 exec, exec, s[6:7]
	ds_bpermute_b32 v23, v1, v15
	ds_bpermute_b32 v24, v1, v14
	s_waitcnt lgkmcnt(1)
	v_add_f32_e32 v15, v15, v23
	s_waitcnt lgkmcnt(0)
	v_add_f32_e32 v14, v14, v24
	ds_bpermute_b32 v23, v2, v15
	ds_bpermute_b32 v24, v2, v14
	s_waitcnt lgkmcnt(1)
	v_add_f32_e32 v15, v15, v23
	s_waitcnt lgkmcnt(0)
	v_add_f32_e32 v14, v14, v24
	;; [unrolled: 6-line block ×6, first 2 shown]
	s_and_saveexec_b64 s[6:7], s[0:1]
	s_cbranch_execz .LBB23_11
; %bb.10:
	v_add_u32_e32 v23, 4, v0
	v_cmp_eq_u32_e32 vcc, 1, v23
	v_cndmask_b32_e32 v24, v19, v21, vcc
	v_cmp_eq_u32_e32 vcc, 2, v23
	v_cndmask_b32_e32 v24, v24, v17, vcc
	;; [unrolled: 2-line block ×15, first 2 shown]
	v_lshl_or_b32 v23, s2, 1, v0
	v_mov_b32_e32 v24, 0
	v_lshlrev_b64 v[23:24], 2, v[23:24]
	v_mov_b32_e32 v26, s5
	v_add_co_u32_e32 v23, vcc, s4, v23
	v_addc_co_u32_e32 v24, vcc, v26, v24, vcc
	global_store_dword v[23:24], v25, off
.LBB23_11:
	s_or_b64 exec, exec, s[6:7]
	ds_bpermute_b32 v23, v1, v13
	ds_bpermute_b32 v24, v1, v12
	s_waitcnt lgkmcnt(1)
	v_add_f32_e32 v13, v13, v23
	s_waitcnt lgkmcnt(0)
	v_add_f32_e32 v12, v12, v24
	ds_bpermute_b32 v23, v2, v13
	ds_bpermute_b32 v24, v2, v12
	s_waitcnt lgkmcnt(1)
	v_add_f32_e32 v13, v13, v23
	s_waitcnt lgkmcnt(0)
	v_add_f32_e32 v12, v12, v24
	ds_bpermute_b32 v23, v3, v13
	ds_bpermute_b32 v24, v3, v12
	s_waitcnt lgkmcnt(1)
	v_add_f32_e32 v13, v13, v23
	s_waitcnt lgkmcnt(0)
	v_add_f32_e32 v12, v12, v24
	ds_bpermute_b32 v23, v20, v13
	ds_bpermute_b32 v24, v20, v12
	s_waitcnt lgkmcnt(1)
	v_add_f32_e32 v13, v13, v23
	s_waitcnt lgkmcnt(0)
	v_add_f32_e32 v12, v12, v24
	ds_bpermute_b32 v23, v18, v13
	ds_bpermute_b32 v24, v18, v12
	s_waitcnt lgkmcnt(1)
	v_add_f32_e32 v13, v13, v23
	s_waitcnt lgkmcnt(0)
	v_add_f32_e32 v12, v12, v24
	ds_bpermute_b32 v23, v22, v13
	ds_bpermute_b32 v24, v22, v12
	s_waitcnt lgkmcnt(1)
	v_add_f32_e32 v13, v13, v23
	s_waitcnt lgkmcnt(0)
	v_add_f32_e32 v12, v12, v24
	s_and_saveexec_b64 s[6:7], s[0:1]
	s_cbranch_execz .LBB23_13
; %bb.12:
	v_add_u32_e32 v25, 6, v0
	v_cmp_eq_u32_e32 vcc, 1, v25
	v_cndmask_b32_e32 v23, v19, v21, vcc
	v_cmp_eq_u32_e32 vcc, 2, v25
	v_cndmask_b32_e32 v23, v23, v17, vcc
	;; [unrolled: 2-line block ×14, first 2 shown]
	v_mad_u64_u32 v[23:24], s[8:9], s2, 3, v[0:1]
	v_mov_b32_e32 v24, 0
	v_cmp_eq_u32_e32 vcc, 15, v25
	v_lshlrev_b64 v[23:24], 2, v[23:24]
	v_cndmask_b32_e32 v25, v26, v4, vcc
	v_mov_b32_e32 v26, s5
	v_add_co_u32_e32 v23, vcc, s4, v23
	v_addc_co_u32_e32 v24, vcc, v26, v24, vcc
	global_store_dword v[23:24], v25, off
.LBB23_13:
	s_or_b64 exec, exec, s[6:7]
	ds_bpermute_b32 v23, v1, v11
	ds_bpermute_b32 v24, v1, v10
	s_waitcnt lgkmcnt(1)
	v_add_f32_e32 v11, v11, v23
	s_waitcnt lgkmcnt(0)
	v_add_f32_e32 v10, v10, v24
	ds_bpermute_b32 v23, v2, v11
	ds_bpermute_b32 v24, v2, v10
	s_waitcnt lgkmcnt(1)
	v_add_f32_e32 v11, v11, v23
	s_waitcnt lgkmcnt(0)
	v_add_f32_e32 v10, v10, v24
	;; [unrolled: 6-line block ×6, first 2 shown]
	s_and_saveexec_b64 s[6:7], s[0:1]
	s_cbranch_execz .LBB23_15
; %bb.14:
	v_add_u32_e32 v23, 8, v0
	v_cmp_eq_u32_e32 vcc, 1, v23
	v_cndmask_b32_e32 v24, v19, v21, vcc
	v_cmp_eq_u32_e32 vcc, 2, v23
	v_cndmask_b32_e32 v24, v24, v17, vcc
	;; [unrolled: 2-line block ×15, first 2 shown]
	v_lshl_or_b32 v23, s2, 2, v0
	v_mov_b32_e32 v24, 0
	v_lshlrev_b64 v[23:24], 2, v[23:24]
	v_mov_b32_e32 v26, s5
	v_add_co_u32_e32 v23, vcc, s4, v23
	v_addc_co_u32_e32 v24, vcc, v26, v24, vcc
	global_store_dword v[23:24], v25, off
.LBB23_15:
	s_or_b64 exec, exec, s[6:7]
	ds_bpermute_b32 v23, v1, v9
	ds_bpermute_b32 v24, v1, v8
	s_waitcnt lgkmcnt(1)
	v_add_f32_e32 v9, v9, v23
	s_waitcnt lgkmcnt(0)
	v_add_f32_e32 v8, v8, v24
	ds_bpermute_b32 v23, v2, v9
	ds_bpermute_b32 v24, v2, v8
	s_waitcnt lgkmcnt(1)
	v_add_f32_e32 v9, v9, v23
	s_waitcnt lgkmcnt(0)
	v_add_f32_e32 v8, v8, v24
	;; [unrolled: 6-line block ×6, first 2 shown]
	s_and_saveexec_b64 s[6:7], s[0:1]
	s_cbranch_execz .LBB23_17
; %bb.16:
	v_add_u32_e32 v25, 10, v0
	v_cmp_eq_u32_e32 vcc, 1, v25
	v_cndmask_b32_e32 v23, v19, v21, vcc
	v_cmp_eq_u32_e32 vcc, 2, v25
	v_cndmask_b32_e32 v23, v23, v17, vcc
	;; [unrolled: 2-line block ×14, first 2 shown]
	v_mad_u64_u32 v[23:24], s[8:9], s2, 5, v[0:1]
	v_mov_b32_e32 v24, 0
	v_cmp_eq_u32_e32 vcc, 15, v25
	v_lshlrev_b64 v[23:24], 2, v[23:24]
	v_cndmask_b32_e32 v25, v26, v4, vcc
	v_mov_b32_e32 v26, s5
	v_add_co_u32_e32 v23, vcc, s4, v23
	v_addc_co_u32_e32 v24, vcc, v26, v24, vcc
	global_store_dword v[23:24], v25, off
.LBB23_17:
	s_or_b64 exec, exec, s[6:7]
	ds_bpermute_b32 v23, v1, v7
	ds_bpermute_b32 v24, v1, v6
	s_waitcnt lgkmcnt(1)
	v_add_f32_e32 v7, v7, v23
	s_waitcnt lgkmcnt(0)
	v_add_f32_e32 v6, v6, v24
	ds_bpermute_b32 v23, v2, v7
	ds_bpermute_b32 v24, v2, v6
	s_waitcnt lgkmcnt(1)
	v_add_f32_e32 v7, v7, v23
	s_waitcnt lgkmcnt(0)
	v_add_f32_e32 v6, v6, v24
	;; [unrolled: 6-line block ×6, first 2 shown]
	s_and_saveexec_b64 s[6:7], s[0:1]
	s_cbranch_execz .LBB23_19
; %bb.18:
	v_add_u32_e32 v23, 12, v0
	v_cmp_eq_u32_e32 vcc, 1, v23
	v_cndmask_b32_e32 v24, v19, v21, vcc
	v_cmp_eq_u32_e32 vcc, 2, v23
	v_cndmask_b32_e32 v24, v24, v17, vcc
	;; [unrolled: 2-line block ×14, first 2 shown]
	v_cmp_eq_u32_e32 vcc, 15, v23
	s_mul_i32 s3, s2, 6
	v_cndmask_b32_e32 v25, v24, v4, vcc
	v_or_b32_e32 v23, s3, v0
	v_mov_b32_e32 v24, 0
	v_lshlrev_b64 v[23:24], 2, v[23:24]
	v_mov_b32_e32 v26, s5
	v_add_co_u32_e32 v23, vcc, s4, v23
	v_addc_co_u32_e32 v24, vcc, v26, v24, vcc
	global_store_dword v[23:24], v25, off
.LBB23_19:
	s_or_b64 exec, exec, s[6:7]
	ds_bpermute_b32 v23, v1, v5
	ds_bpermute_b32 v1, v1, v4
	s_waitcnt lgkmcnt(1)
	v_add_f32_e32 v5, v5, v23
	s_waitcnt lgkmcnt(0)
	v_add_f32_e32 v1, v4, v1
	ds_bpermute_b32 v4, v2, v5
	ds_bpermute_b32 v2, v2, v1
	s_waitcnt lgkmcnt(1)
	v_add_f32_e32 v4, v5, v4
	s_waitcnt lgkmcnt(0)
	v_add_f32_e32 v1, v1, v2
	;; [unrolled: 6-line block ×5, first 2 shown]
	ds_bpermute_b32 v3, v22, v1
	ds_bpermute_b32 v4, v22, v2
	s_and_b64 exec, exec, s[0:1]
	s_cbranch_execz .LBB23_21
; %bb.20:
	s_waitcnt lgkmcnt(1)
	v_add_f32_e32 v1, v1, v3
	v_add_u32_e32 v3, 14, v0
	v_cmp_eq_u32_e32 vcc, 1, v3
	s_waitcnt lgkmcnt(0)
	v_add_f32_e32 v2, v2, v4
	v_cndmask_b32_e32 v4, v19, v21, vcc
	v_cmp_eq_u32_e32 vcc, 2, v3
	v_cndmask_b32_e32 v4, v4, v17, vcc
	v_cmp_eq_u32_e32 vcc, 3, v3
	;; [unrolled: 2-line block ×13, first 2 shown]
	v_cndmask_b32_e32 v4, v4, v1, vcc
	v_mad_u64_u32 v[0:1], s[0:1], s2, 7, v[0:1]
	v_mov_b32_e32 v1, 0
	v_cmp_eq_u32_e32 vcc, 15, v3
	v_lshlrev_b64 v[0:1], 2, v[0:1]
	v_cndmask_b32_e32 v2, v4, v2, vcc
	v_mov_b32_e32 v3, s5
	v_add_co_u32_e32 v0, vcc, s4, v0
	v_addc_co_u32_e32 v1, vcc, v3, v1, vcc
	global_store_dword v[0:1], v2, off
.LBB23_21:
	s_endpgm
	.section	.rodata,"a",@progbits
	.p2align	6, 0x0
	.amdhsa_kernel _ZL13mul_mat_vec_qIL9ggml_type2ELi8ELb0ELb0EEvPKvS2_PKi31ggml_cuda_mm_fusion_args_devicePfj15HIP_vector_typeIjLj3EEjjjS8_jjjS8_jjjj
		.amdhsa_group_segment_fixed_size 0
		.amdhsa_private_segment_fixed_size 0
		.amdhsa_kernarg_size 144
		.amdhsa_user_sgpr_count 6
		.amdhsa_user_sgpr_private_segment_buffer 1
		.amdhsa_user_sgpr_dispatch_ptr 0
		.amdhsa_user_sgpr_queue_ptr 0
		.amdhsa_user_sgpr_kernarg_segment_ptr 1
		.amdhsa_user_sgpr_dispatch_id 0
		.amdhsa_user_sgpr_flat_scratch_init 0
		.amdhsa_user_sgpr_private_segment_size 0
		.amdhsa_uses_dynamic_stack 0
		.amdhsa_system_sgpr_private_segment_wavefront_offset 0
		.amdhsa_system_sgpr_workgroup_id_x 1
		.amdhsa_system_sgpr_workgroup_id_y 1
		.amdhsa_system_sgpr_workgroup_id_z 1
		.amdhsa_system_sgpr_workgroup_info 0
		.amdhsa_system_vgpr_workitem_id 1
		.amdhsa_next_free_vgpr 43
		.amdhsa_next_free_sgpr 28
		.amdhsa_reserve_vcc 1
		.amdhsa_reserve_flat_scratch 0
		.amdhsa_float_round_mode_32 0
		.amdhsa_float_round_mode_16_64 0
		.amdhsa_float_denorm_mode_32 3
		.amdhsa_float_denorm_mode_16_64 3
		.amdhsa_dx10_clamp 1
		.amdhsa_ieee_mode 1
		.amdhsa_fp16_overflow 0
		.amdhsa_exception_fp_ieee_invalid_op 0
		.amdhsa_exception_fp_denorm_src 0
		.amdhsa_exception_fp_ieee_div_zero 0
		.amdhsa_exception_fp_ieee_overflow 0
		.amdhsa_exception_fp_ieee_underflow 0
		.amdhsa_exception_fp_ieee_inexact 0
		.amdhsa_exception_int_div_zero 0
	.end_amdhsa_kernel
	.section	.text._ZL13mul_mat_vec_qIL9ggml_type2ELi8ELb0ELb0EEvPKvS2_PKi31ggml_cuda_mm_fusion_args_devicePfj15HIP_vector_typeIjLj3EEjjjS8_jjjS8_jjjj,"axG",@progbits,_ZL13mul_mat_vec_qIL9ggml_type2ELi8ELb0ELb0EEvPKvS2_PKi31ggml_cuda_mm_fusion_args_devicePfj15HIP_vector_typeIjLj3EEjjjS8_jjjS8_jjjj,comdat
.Lfunc_end23:
	.size	_ZL13mul_mat_vec_qIL9ggml_type2ELi8ELb0ELb0EEvPKvS2_PKi31ggml_cuda_mm_fusion_args_devicePfj15HIP_vector_typeIjLj3EEjjjS8_jjjS8_jjjj, .Lfunc_end23-_ZL13mul_mat_vec_qIL9ggml_type2ELi8ELb0ELb0EEvPKvS2_PKi31ggml_cuda_mm_fusion_args_devicePfj15HIP_vector_typeIjLj3EEjjjS8_jjjS8_jjjj
                                        ; -- End function
	.set _ZL13mul_mat_vec_qIL9ggml_type2ELi8ELb0ELb0EEvPKvS2_PKi31ggml_cuda_mm_fusion_args_devicePfj15HIP_vector_typeIjLj3EEjjjS8_jjjS8_jjjj.num_vgpr, 43
	.set _ZL13mul_mat_vec_qIL9ggml_type2ELi8ELb0ELb0EEvPKvS2_PKi31ggml_cuda_mm_fusion_args_devicePfj15HIP_vector_typeIjLj3EEjjjS8_jjjS8_jjjj.num_agpr, 0
	.set _ZL13mul_mat_vec_qIL9ggml_type2ELi8ELb0ELb0EEvPKvS2_PKi31ggml_cuda_mm_fusion_args_devicePfj15HIP_vector_typeIjLj3EEjjjS8_jjjS8_jjjj.numbered_sgpr, 28
	.set _ZL13mul_mat_vec_qIL9ggml_type2ELi8ELb0ELb0EEvPKvS2_PKi31ggml_cuda_mm_fusion_args_devicePfj15HIP_vector_typeIjLj3EEjjjS8_jjjS8_jjjj.num_named_barrier, 0
	.set _ZL13mul_mat_vec_qIL9ggml_type2ELi8ELb0ELb0EEvPKvS2_PKi31ggml_cuda_mm_fusion_args_devicePfj15HIP_vector_typeIjLj3EEjjjS8_jjjS8_jjjj.private_seg_size, 0
	.set _ZL13mul_mat_vec_qIL9ggml_type2ELi8ELb0ELb0EEvPKvS2_PKi31ggml_cuda_mm_fusion_args_devicePfj15HIP_vector_typeIjLj3EEjjjS8_jjjS8_jjjj.uses_vcc, 1
	.set _ZL13mul_mat_vec_qIL9ggml_type2ELi8ELb0ELb0EEvPKvS2_PKi31ggml_cuda_mm_fusion_args_devicePfj15HIP_vector_typeIjLj3EEjjjS8_jjjS8_jjjj.uses_flat_scratch, 0
	.set _ZL13mul_mat_vec_qIL9ggml_type2ELi8ELb0ELb0EEvPKvS2_PKi31ggml_cuda_mm_fusion_args_devicePfj15HIP_vector_typeIjLj3EEjjjS8_jjjS8_jjjj.has_dyn_sized_stack, 0
	.set _ZL13mul_mat_vec_qIL9ggml_type2ELi8ELb0ELb0EEvPKvS2_PKi31ggml_cuda_mm_fusion_args_devicePfj15HIP_vector_typeIjLj3EEjjjS8_jjjS8_jjjj.has_recursion, 0
	.set _ZL13mul_mat_vec_qIL9ggml_type2ELi8ELb0ELb0EEvPKvS2_PKi31ggml_cuda_mm_fusion_args_devicePfj15HIP_vector_typeIjLj3EEjjjS8_jjjS8_jjjj.has_indirect_call, 0
	.section	.AMDGPU.csdata,"",@progbits
; Kernel info:
; codeLenInByte = 5048
; TotalNumSgprs: 32
; NumVgprs: 43
; ScratchSize: 0
; MemoryBound: 0
; FloatMode: 240
; IeeeMode: 1
; LDSByteSize: 0 bytes/workgroup (compile time only)
; SGPRBlocks: 3
; VGPRBlocks: 10
; NumSGPRsForWavesPerEU: 32
; NumVGPRsForWavesPerEU: 43
; Occupancy: 5
; WaveLimiterHint : 0
; COMPUTE_PGM_RSRC2:SCRATCH_EN: 0
; COMPUTE_PGM_RSRC2:USER_SGPR: 6
; COMPUTE_PGM_RSRC2:TRAP_HANDLER: 0
; COMPUTE_PGM_RSRC2:TGID_X_EN: 1
; COMPUTE_PGM_RSRC2:TGID_Y_EN: 1
; COMPUTE_PGM_RSRC2:TGID_Z_EN: 1
; COMPUTE_PGM_RSRC2:TIDIG_COMP_CNT: 1
	.section	.text._ZL17mul_mat_vec_q_moeIL9ggml_type3ELi2EEvPKvS2_PKiPfj15HIP_vector_typeIjLj3EEjjjjjjjjj,"axG",@progbits,_ZL17mul_mat_vec_q_moeIL9ggml_type3ELi2EEvPKvS2_PKiPfj15HIP_vector_typeIjLj3EEjjjjjjjjj,comdat
	.globl	_ZL17mul_mat_vec_q_moeIL9ggml_type3ELi2EEvPKvS2_PKiPfj15HIP_vector_typeIjLj3EEjjjjjjjjj ; -- Begin function _ZL17mul_mat_vec_q_moeIL9ggml_type3ELi2EEvPKvS2_PKiPfj15HIP_vector_typeIjLj3EEjjjjjjjjj
	.p2align	8
	.type	_ZL17mul_mat_vec_q_moeIL9ggml_type3ELi2EEvPKvS2_PKiPfj15HIP_vector_typeIjLj3EEjjjjjjjjj,@function
_ZL17mul_mat_vec_q_moeIL9ggml_type3ELi2EEvPKvS2_PKiPfj15HIP_vector_typeIjLj3EEjjjjjjjjj: ; @_ZL17mul_mat_vec_q_moeIL9ggml_type3ELi2EEvPKvS2_PKiPfj15HIP_vector_typeIjLj3EEjjjjjjjjj
; %bb.0:
	s_load_dwordx8 s[8:15], s[4:5], 0x30
	s_waitcnt lgkmcnt(0)
	v_cmp_gt_u32_e32 vcc, s15, v1
	s_and_saveexec_b64 s[0:1], vcc
	s_cbranch_execz .LBB24_7
; %bb.1:
	s_load_dword s0, s[4:5], 0x20
	s_load_dword s2, s[4:5], 0x50
	s_load_dwordx8 s[16:23], s[4:5], 0x0
	v_lshrrev_b32_e32 v6, 1, v0
	s_lshl_b32 s6, s6, 1
	s_waitcnt lgkmcnt(0)
	s_lshr_b32 s15, s0, 5
	v_cmp_gt_u32_e32 vcc, s15, v6
	v_mov_b32_e32 v2, 0
	v_mov_b32_e32 v3, 0
	s_and_saveexec_b64 s[0:1], vcc
	s_cbranch_execz .LBB24_5
; %bb.2:
	v_mul_lo_u32 v2, s2, v1
	v_mov_b32_e32 v3, 0
	v_mov_b32_e32 v7, s21
	s_load_dwordx4 s[24:27], s[4:5], 0x24
	v_add_u32_e32 v2, s7, v2
	v_lshlrev_b64 v[4:5], 2, v[2:3]
	s_add_i32 s4, s6, 1
	v_add_co_u32_e32 v4, vcc, s20, v4
	v_addc_co_u32_e32 v5, vcc, v7, v5, vcc
	global_load_dword v2, v[4:5], off
	v_mul_lo_u32 v4, s10, v1
	v_lshlrev_b32_e32 v5, 1, v0
	v_and_b32_e32 v5, 2, v5
	s_mul_i32 s10, s6, s9
	s_mul_i32 s9, s9, s4
	v_lshlrev_b32_e32 v8, 2, v5
	v_mad_u64_u32 v[4:5], s[4:5], v4, 36, 0
	s_waitcnt lgkmcnt(0)
	s_mul_hi_u32 s4, s24, s7
	s_add_i32 s4, s7, s4
	v_lshrrev_b32_e32 v9, 1, v0
	s_lshr_b32 s4, s4, s25
	s_mul_i32 s20, s4, s26
	v_mad_u64_u32 v[4:5], s[4:5], v9, 36, v[4:5]
	s_sub_i32 s4, s7, s20
	s_mul_i32 s4, s4, s13
	s_mul_hi_u32 s5, s4, 36
	s_mul_i32 s4, s4, 36
	s_add_u32 s4, s18, s4
	s_addc_u32 s5, s19, s5
	v_and_b32_e32 v7, 1, v0
	v_mov_b32_e32 v9, s5
	v_add_co_u32_e32 v4, vcc, s4, v4
	s_mov_b64 s[2:3], 0
	v_lshlrev_b32_e32 v7, 3, v7
	v_addc_co_u32_e32 v5, vcc, v9, v5, vcc
	s_waitcnt vmcnt(0)
	v_mul_lo_u32 v2, v2, s12
	v_add_u32_e32 v9, s10, v2
	v_add_u32_e32 v10, s9, v2
	v_mov_b32_e32 v2, v3
.LBB24_3:                               ; =>This Inner Loop Header: Depth=1
	v_add_u32_e32 v13, v9, v6
	v_add_u32_e32 v15, v10, v6
	v_mad_i64_i32 v[13:14], s[4:5], v13, 20, s[16:17]
	v_mad_i64_i32 v[15:16], s[4:5], v15, 20, s[16:17]
	v_add_co_u32_e32 v11, vcc, v4, v7
	v_addc_co_u32_e32 v12, vcc, 0, v5, vcc
	v_add_co_u32_e32 v17, vcc, v13, v8
	v_addc_co_u32_e32 v18, vcc, 0, v14, vcc
	global_load_dword v27, v[15:16], off
	global_load_dword v28, v[13:14], off
	global_load_dwordx2 v[21:22], v[11:12], off offset:4
	global_load_dwordx2 v[23:24], v[11:12], off offset:20
	;; [unrolled: 1-line block ×3, first 2 shown]
	v_add_co_u32_e32 v19, vcc, v15, v8
	v_addc_co_u32_e32 v20, vcc, 0, v16, vcc
	global_load_dword v15, v[4:5], off
	v_add_co_u32_e32 v4, vcc, 0x480, v4
	v_add_u32_e32 v6, 32, v6
	v_addc_co_u32_e32 v5, vcc, 0, v5, vcc
	v_cmp_le_u32_e32 vcc, s15, v6
	s_or_b64 s[2:3], vcc, s[2:3]
	s_waitcnt vmcnt(1)
	v_lshrrev_b32_e32 v11, 4, v25
	v_and_b32_e32 v12, 0xf0f0f0f, v25
	v_and_b32_e32 v11, 0xf0f0f0f, v11
	v_dot4_i32_i8 v12, v12, v21, 0
	v_dot4_i32_i8 v13, v11, v23, v12
	global_load_dwordx2 v[11:12], v[19:20], off offset:4
	s_waitcnt vmcnt(1)
	v_pk_mul_f16 v16, v28, v15
	v_pk_mul_f16 v15, v27, v15
	v_cvt_f32_f16_sdwa v17, v16 dst_sel:DWORD dst_unused:UNUSED_PAD src0_sel:WORD_1
	v_cvt_f32_f16_sdwa v18, v15 dst_sel:DWORD dst_unused:UNUSED_PAD src0_sel:WORD_1
	s_waitcnt vmcnt(0)
	v_lshrrev_b32_e32 v14, 4, v11
	v_and_b32_e32 v11, 0xf0f0f0f, v11
	v_and_b32_e32 v14, 0xf0f0f0f, v14
	v_dot4_i32_i8 v11, v11, v21, 0
	v_dot4_i32_i8 v11, v14, v23, v11
	v_and_b32_e32 v14, 0xf0f0f0f, v26
	v_dot4_i32_i8 v13, v14, v22, v13
	v_and_b32_e32 v14, 0xf0f0f0f, v12
	v_dot4_i32_i8 v11, v14, v22, v11
	v_lshrrev_b32_e32 v14, 4, v26
	v_lshrrev_b32_e32 v12, 4, v12
	v_and_b32_e32 v14, 0xf0f0f0f, v14
	v_and_b32_e32 v12, 0xf0f0f0f, v12
	v_dot4_i32_i8 v13, v14, v24, v13
	v_dot4_i32_i8 v11, v12, v24, v11
	v_cvt_f32_i32_e32 v12, v13
	v_cvt_f32_i32_e32 v11, v11
	v_mul_f32_e32 v13, 0.5, v17
	v_mul_f32_e32 v14, 0.5, v18
	v_fma_mix_f32 v12, v12, v16, v13 op_sel_hi:[0,1,0]
	v_fma_mix_f32 v11, v11, v15, v14 op_sel_hi:[0,1,0]
	v_add_f32_e32 v3, v3, v12
	v_add_f32_e32 v2, v2, v11
	s_andn2_b64 exec, exec, s[2:3]
	s_cbranch_execnz .LBB24_3
; %bb.4:
	s_or_b64 exec, exec, s[2:3]
.LBB24_5:
	s_or_b64 exec, exec, s[0:1]
	v_mbcnt_lo_u32_b32 v4, -1, 0
	v_mbcnt_hi_u32_b32 v4, -1, v4
	v_and_b32_e32 v5, 64, v4
	v_add_u32_e32 v5, 64, v5
	v_xor_b32_e32 v6, 32, v4
	v_cmp_lt_i32_e32 vcc, v6, v5
	v_cndmask_b32_e32 v6, v4, v6, vcc
	v_lshlrev_b32_e32 v6, 2, v6
	ds_bpermute_b32 v9, v6, v3
	ds_bpermute_b32 v6, v6, v2
	v_xor_b32_e32 v7, 16, v4
	v_cmp_lt_i32_e32 vcc, v7, v5
	v_cndmask_b32_e32 v7, v4, v7, vcc
	v_lshlrev_b32_e32 v7, 2, v7
	s_waitcnt lgkmcnt(1)
	v_add_f32_e32 v3, v3, v9
	s_waitcnt lgkmcnt(0)
	v_add_f32_e32 v2, v2, v6
	ds_bpermute_b32 v9, v7, v3
	ds_bpermute_b32 v6, v7, v2
	v_xor_b32_e32 v8, 8, v4
	v_cmp_lt_i32_e32 vcc, v8, v5
	v_cndmask_b32_e32 v8, v4, v8, vcc
	v_lshlrev_b32_e32 v8, 2, v8
	s_waitcnt lgkmcnt(1)
	v_add_f32_e32 v3, v3, v9
	s_waitcnt lgkmcnt(0)
	v_add_f32_e32 v2, v2, v6
	ds_bpermute_b32 v9, v8, v3
	ds_bpermute_b32 v6, v8, v2
	v_xor_b32_e32 v10, 4, v4
	v_cmp_lt_i32_e32 vcc, v10, v5
	v_cndmask_b32_e32 v10, v4, v10, vcc
	v_lshlrev_b32_e32 v7, 2, v10
	s_waitcnt lgkmcnt(1)
	v_add_f32_e32 v3, v3, v9
	s_waitcnt lgkmcnt(0)
	v_add_f32_e32 v2, v2, v6
	ds_bpermute_b32 v9, v7, v3
	ds_bpermute_b32 v6, v7, v2
	v_xor_b32_e32 v10, 2, v4
	v_cmp_lt_i32_e32 vcc, v10, v5
	v_cndmask_b32_e32 v8, v4, v10, vcc
	v_lshlrev_b32_e32 v7, 2, v8
	s_waitcnt lgkmcnt(1)
	v_add_f32_e32 v3, v3, v9
	s_waitcnt lgkmcnt(0)
	v_add_f32_e32 v6, v2, v6
	ds_bpermute_b32 v9, v7, v3
	ds_bpermute_b32 v7, v7, v6
	v_xor_b32_e32 v8, 1, v4
	v_cmp_lt_i32_e32 vcc, v8, v5
	v_cndmask_b32_e32 v2, v4, v8, vcc
	v_lshlrev_b32_e32 v5, 2, v2
	s_waitcnt lgkmcnt(1)
	v_add_f32_e32 v2, v3, v9
	s_waitcnt lgkmcnt(0)
	v_add_f32_e32 v4, v6, v7
	ds_bpermute_b32 v3, v5, v2
	ds_bpermute_b32 v5, v5, v4
	v_add_u32_e32 v6, s6, v0
	v_cmp_gt_u32_e32 vcc, 2, v0
	v_cmp_gt_u32_e64 s[0:1], s8, v6
	s_and_b64 s[0:1], vcc, s[0:1]
	s_and_b64 exec, exec, s[0:1]
	s_cbranch_execz .LBB24_7
; %bb.6:
	v_mul_lo_u32 v1, s11, v1
	v_cmp_eq_u32_e32 vcc, 1, v0
	s_mul_i32 s0, s14, s7
	v_or_b32_e32 v0, s6, v0
	v_add3_u32 v0, v0, v1, s0
	v_mov_b32_e32 v1, 0
	v_lshlrev_b64 v[0:1], 2, v[0:1]
	s_waitcnt lgkmcnt(1)
	v_add_f32_e32 v2, v2, v3
	s_waitcnt lgkmcnt(0)
	v_add_f32_e32 v3, v4, v5
	v_cndmask_b32_e32 v2, v2, v3, vcc
	v_mov_b32_e32 v3, s23
	v_add_co_u32_e32 v0, vcc, s22, v0
	v_addc_co_u32_e32 v1, vcc, v3, v1, vcc
	global_store_dword v[0:1], v2, off
.LBB24_7:
	s_endpgm
	.section	.rodata,"a",@progbits
	.p2align	6, 0x0
	.amdhsa_kernel _ZL17mul_mat_vec_q_moeIL9ggml_type3ELi2EEvPKvS2_PKiPfj15HIP_vector_typeIjLj3EEjjjjjjjjj
		.amdhsa_group_segment_fixed_size 0
		.amdhsa_private_segment_fixed_size 0
		.amdhsa_kernarg_size 84
		.amdhsa_user_sgpr_count 6
		.amdhsa_user_sgpr_private_segment_buffer 1
		.amdhsa_user_sgpr_dispatch_ptr 0
		.amdhsa_user_sgpr_queue_ptr 0
		.amdhsa_user_sgpr_kernarg_segment_ptr 1
		.amdhsa_user_sgpr_dispatch_id 0
		.amdhsa_user_sgpr_flat_scratch_init 0
		.amdhsa_user_sgpr_private_segment_size 0
		.amdhsa_uses_dynamic_stack 0
		.amdhsa_system_sgpr_private_segment_wavefront_offset 0
		.amdhsa_system_sgpr_workgroup_id_x 1
		.amdhsa_system_sgpr_workgroup_id_y 1
		.amdhsa_system_sgpr_workgroup_id_z 0
		.amdhsa_system_sgpr_workgroup_info 0
		.amdhsa_system_vgpr_workitem_id 1
		.amdhsa_next_free_vgpr 29
		.amdhsa_next_free_sgpr 28
		.amdhsa_reserve_vcc 1
		.amdhsa_reserve_flat_scratch 0
		.amdhsa_float_round_mode_32 0
		.amdhsa_float_round_mode_16_64 0
		.amdhsa_float_denorm_mode_32 3
		.amdhsa_float_denorm_mode_16_64 3
		.amdhsa_dx10_clamp 1
		.amdhsa_ieee_mode 1
		.amdhsa_fp16_overflow 0
		.amdhsa_exception_fp_ieee_invalid_op 0
		.amdhsa_exception_fp_denorm_src 0
		.amdhsa_exception_fp_ieee_div_zero 0
		.amdhsa_exception_fp_ieee_overflow 0
		.amdhsa_exception_fp_ieee_underflow 0
		.amdhsa_exception_fp_ieee_inexact 0
		.amdhsa_exception_int_div_zero 0
	.end_amdhsa_kernel
	.section	.text._ZL17mul_mat_vec_q_moeIL9ggml_type3ELi2EEvPKvS2_PKiPfj15HIP_vector_typeIjLj3EEjjjjjjjjj,"axG",@progbits,_ZL17mul_mat_vec_q_moeIL9ggml_type3ELi2EEvPKvS2_PKiPfj15HIP_vector_typeIjLj3EEjjjjjjjjj,comdat
.Lfunc_end24:
	.size	_ZL17mul_mat_vec_q_moeIL9ggml_type3ELi2EEvPKvS2_PKiPfj15HIP_vector_typeIjLj3EEjjjjjjjjj, .Lfunc_end24-_ZL17mul_mat_vec_q_moeIL9ggml_type3ELi2EEvPKvS2_PKiPfj15HIP_vector_typeIjLj3EEjjjjjjjjj
                                        ; -- End function
	.set _ZL17mul_mat_vec_q_moeIL9ggml_type3ELi2EEvPKvS2_PKiPfj15HIP_vector_typeIjLj3EEjjjjjjjjj.num_vgpr, 29
	.set _ZL17mul_mat_vec_q_moeIL9ggml_type3ELi2EEvPKvS2_PKiPfj15HIP_vector_typeIjLj3EEjjjjjjjjj.num_agpr, 0
	.set _ZL17mul_mat_vec_q_moeIL9ggml_type3ELi2EEvPKvS2_PKiPfj15HIP_vector_typeIjLj3EEjjjjjjjjj.numbered_sgpr, 28
	.set _ZL17mul_mat_vec_q_moeIL9ggml_type3ELi2EEvPKvS2_PKiPfj15HIP_vector_typeIjLj3EEjjjjjjjjj.num_named_barrier, 0
	.set _ZL17mul_mat_vec_q_moeIL9ggml_type3ELi2EEvPKvS2_PKiPfj15HIP_vector_typeIjLj3EEjjjjjjjjj.private_seg_size, 0
	.set _ZL17mul_mat_vec_q_moeIL9ggml_type3ELi2EEvPKvS2_PKiPfj15HIP_vector_typeIjLj3EEjjjjjjjjj.uses_vcc, 1
	.set _ZL17mul_mat_vec_q_moeIL9ggml_type3ELi2EEvPKvS2_PKiPfj15HIP_vector_typeIjLj3EEjjjjjjjjj.uses_flat_scratch, 0
	.set _ZL17mul_mat_vec_q_moeIL9ggml_type3ELi2EEvPKvS2_PKiPfj15HIP_vector_typeIjLj3EEjjjjjjjjj.has_dyn_sized_stack, 0
	.set _ZL17mul_mat_vec_q_moeIL9ggml_type3ELi2EEvPKvS2_PKiPfj15HIP_vector_typeIjLj3EEjjjjjjjjj.has_recursion, 0
	.set _ZL17mul_mat_vec_q_moeIL9ggml_type3ELi2EEvPKvS2_PKiPfj15HIP_vector_typeIjLj3EEjjjjjjjjj.has_indirect_call, 0
	.section	.AMDGPU.csdata,"",@progbits
; Kernel info:
; codeLenInByte = 1060
; TotalNumSgprs: 32
; NumVgprs: 29
; ScratchSize: 0
; MemoryBound: 0
; FloatMode: 240
; IeeeMode: 1
; LDSByteSize: 0 bytes/workgroup (compile time only)
; SGPRBlocks: 3
; VGPRBlocks: 7
; NumSGPRsForWavesPerEU: 32
; NumVGPRsForWavesPerEU: 29
; Occupancy: 8
; WaveLimiterHint : 1
; COMPUTE_PGM_RSRC2:SCRATCH_EN: 0
; COMPUTE_PGM_RSRC2:USER_SGPR: 6
; COMPUTE_PGM_RSRC2:TRAP_HANDLER: 0
; COMPUTE_PGM_RSRC2:TGID_X_EN: 1
; COMPUTE_PGM_RSRC2:TGID_Y_EN: 1
; COMPUTE_PGM_RSRC2:TGID_Z_EN: 0
; COMPUTE_PGM_RSRC2:TIDIG_COMP_CNT: 1
	.section	.text._ZL13mul_mat_vec_qIL9ggml_type3ELi1ELb1ELb1EEvPKvS2_PKi31ggml_cuda_mm_fusion_args_devicePfj15HIP_vector_typeIjLj3EEjjjS8_jjjS8_jjjj,"axG",@progbits,_ZL13mul_mat_vec_qIL9ggml_type3ELi1ELb1ELb1EEvPKvS2_PKi31ggml_cuda_mm_fusion_args_devicePfj15HIP_vector_typeIjLj3EEjjjS8_jjjS8_jjjj,comdat
	.globl	_ZL13mul_mat_vec_qIL9ggml_type3ELi1ELb1ELb1EEvPKvS2_PKi31ggml_cuda_mm_fusion_args_devicePfj15HIP_vector_typeIjLj3EEjjjS8_jjjS8_jjjj ; -- Begin function _ZL13mul_mat_vec_qIL9ggml_type3ELi1ELb1ELb1EEvPKvS2_PKi31ggml_cuda_mm_fusion_args_devicePfj15HIP_vector_typeIjLj3EEjjjS8_jjjS8_jjjj
	.p2align	8
	.type	_ZL13mul_mat_vec_qIL9ggml_type3ELi1ELb1ELb1EEvPKvS2_PKi31ggml_cuda_mm_fusion_args_devicePfj15HIP_vector_typeIjLj3EEjjjS8_jjjS8_jjjj,@function
_ZL13mul_mat_vec_qIL9ggml_type3ELi1ELb1ELb1EEvPKvS2_PKi31ggml_cuda_mm_fusion_args_devicePfj15HIP_vector_typeIjLj3EEjjjS8_jjjS8_jjjj: ; @_ZL13mul_mat_vec_qIL9ggml_type3ELi1ELb1ELb1EEvPKvS2_PKi31ggml_cuda_mm_fusion_args_devicePfj15HIP_vector_typeIjLj3EEjjjS8_jjjS8_jjjj
; %bb.0:
	s_load_dwordx8 s[12:19], s[4:5], 0x0
	s_load_dwordx4 s[28:31], s[4:5], 0x20
	s_load_dwordx4 s[36:39], s[4:5], 0x40
	s_load_dwordx4 s[20:23], s[4:5], 0x68
	s_mov_b32 s34, s7
	s_waitcnt lgkmcnt(0)
	s_cmp_lg_u64 s[16:17], 0
	s_cselect_b64 s[0:1], -1, 0
	s_cmp_eq_u64 s[16:17], 0
	s_mov_b64 s[2:3], 0
	s_cbranch_scc1 .LBB25_5
; %bb.1:
	s_mov_b32 s35, 0
	s_lshl_b64 s[10:11], s[34:35], 2
	s_add_u32 s10, s16, s10
	s_addc_u32 s11, s17, s11
	s_load_dword s35, s[10:11], 0x0
	s_load_dword s33, s[4:5], 0x50
	;; [unrolled: 1-line block ×3, first 2 shown]
	s_andn2_b64 vcc, exec, s[2:3]
	s_cbranch_vccnz .LBB25_3
.LBB25_2:
	s_load_dwordx2 s[2:3], s[4:5], 0x5c
	s_waitcnt lgkmcnt(0)
	s_mul_hi_u32 s2, s2, s34
	s_add_i32 s2, s34, s2
	s_lshr_b32 s35, s2, s3
.LBB25_3:
	s_andn2_b64 vcc, exec, s[0:1]
	s_cbranch_vccnz .LBB25_6
; %bb.4:
	s_mul_hi_u32 s0, s37, s34
	s_add_i32 s0, s34, s0
	s_lshr_b32 s0, s0, s38
	s_mul_i32 s0, s0, s39
	s_sub_i32 s37, s34, s0
	s_waitcnt lgkmcnt(0)
	s_mov_b32 s43, s35
	s_branch .LBB25_7
.LBB25_5:
                                        ; implicit-def: $sgpr35
	s_load_dword s33, s[4:5], 0x50
	s_load_dword s42, s[4:5], 0x78
	s_branch .LBB25_2
.LBB25_6:
	s_mov_b32 s43, s34
	s_mov_b32 s37, s34
.LBB25_7:
	s_load_dword s9, s[4:5], 0x58
	s_load_dwordx4 s[24:27], s[4:5], 0x80
	s_lshl_b32 s16, s6, 1
	s_cmp_eq_u64 s[18:19], 0
	s_cselect_b64 s[0:1], -1, 0
	v_mov_b32_e32 v16, 0
	s_and_b64 vcc, exec, s[0:1]
	v_cmp_gt_u32_e64 s[2:3], 2, v0
	v_cmp_eq_u32_e64 s[6:7], 0, v1
	v_add_u32_e32 v15, s16, v0
	v_mov_b32_e32 v17, 0
	s_cbranch_vccnz .LBB25_11
; %bb.8:
	s_waitcnt lgkmcnt(0)
	v_cmp_gt_u32_e32 vcc, s9, v15
	s_and_b64 s[2:3], s[2:3], vcc
	s_mov_b32 s11, 0
	s_and_b64 s[6:7], s[2:3], s[6:7]
	v_mov_b32_e32 v17, 0
	s_and_saveexec_b64 s[2:3], s[6:7]
	s_cbranch_execz .LBB25_10
; %bb.9:
	s_mul_i32 s10, s26, s8
	s_lshl_b64 s[6:7], s[10:11], 2
	s_add_u32 s17, s18, s6
	s_mul_i32 s10, s43, s22
	s_addc_u32 s18, s19, s7
	s_lshl_b64 s[6:7], s[10:11], 2
	s_add_u32 s10, s17, s6
	s_addc_u32 s11, s18, s7
	s_ashr_i32 s17, s16, 31
	s_lshl_b64 s[6:7], s[16:17], 2
	s_add_u32 s6, s10, s6
	s_addc_u32 s7, s11, s7
	v_lshlrev_b32_e32 v2, 2, v0
	global_load_dword v17, v2, s[6:7]
.LBB25_10:
	s_or_b64 exec, exec, s[2:3]
.LBB25_11:
	s_cmp_lg_u64 s[28:29], 0
	s_cselect_b64 s[38:39], -1, 0
	s_cmp_eq_u64 s[28:29], 0
	s_cselect_b64 s[18:19], -1, 0
	s_cmp_lg_u64 s[30:31], 0
	s_cselect_b64 s[2:3], -1, 0
	s_and_b64 s[6:7], s[2:3], s[38:39]
	s_andn2_b64 vcc, exec, s[6:7]
	s_waitcnt lgkmcnt(0)
	v_cmp_gt_u32_e64 s[6:7], s9, v15
	s_cbranch_vccnz .LBB25_15
; %bb.12:
	v_cmp_gt_u32_e32 vcc, 2, v0
	v_cmp_eq_u32_e64 s[10:11], 0, v1
	s_and_b64 s[6:7], vcc, s[6:7]
	s_mov_b32 s41, 0
	s_and_b64 s[10:11], s[6:7], s[10:11]
	v_mov_b32_e32 v16, 0
	s_and_saveexec_b64 s[6:7], s[10:11]
	s_cbranch_execz .LBB25_14
; %bb.13:
	s_mul_i32 s40, s26, s8
	s_lshl_b64 s[10:11], s[40:41], 2
	s_add_u32 s17, s30, s10
	s_mul_i32 s40, s43, s22
	s_addc_u32 s27, s31, s11
	s_lshl_b64 s[10:11], s[40:41], 2
	s_add_u32 s30, s17, s10
	s_addc_u32 s27, s27, s11
	s_ashr_i32 s17, s16, 31
	s_lshl_b64 s[10:11], s[16:17], 2
	s_add_u32 s10, s30, s10
	s_addc_u32 s11, s27, s11
	v_lshlrev_b32_e32 v2, 2, v0
	global_load_dword v16, v2, s[10:11]
.LBB25_14:
	s_or_b64 exec, exec, s[6:7]
.LBB25_15:
	v_lshlrev_b32_e32 v6, 6, v1
	v_add_u16_e32 v2, v6, v0
	v_lshrrev_b16_e32 v19, 1, v2
	v_mov_b32_e32 v4, 0
	v_cndmask_b32_e64 v2, 0, 1, s[38:39]
	s_lshr_b32 s17, s36, 5
	v_mov_b32_e32 v5, v4
	v_cmp_ne_u32_e64 s[6:7], 1, v2
	v_mov_b32_e32 v2, v4
	v_cmp_gt_u32_e32 vcc, s17, v19
	v_mov_b32_e32 v18, v4
	v_mov_b32_e32 v3, v5
	s_and_saveexec_b64 s[30:31], vcc
	s_cbranch_execz .LBB25_23
; %bb.16:
	s_mul_i32 s11, s37, s21
	s_mul_hi_u32 s21, s23, s8
	s_add_i32 s21, s8, s21
	s_lshr_b32 s21, s21, s42
	s_mul_i32 s20, s35, s20
	s_mul_i32 s21, s21, s24
	s_add_i32 s23, s16, 1
	s_mul_i32 s10, s25, s8
	s_add_i32 s21, s20, s21
	s_mul_i32 s20, s16, s33
	s_mul_i32 s33, s33, s23
	s_add_i32 s20, s21, s20
	s_add_i32 s21, s21, s33
	s_mul_hi_u32 s24, s10, 36
	s_mul_i32 s10, s10, 36
	s_add_u32 s10, s14, s10
	s_mul_hi_u32 s23, s11, 36
	s_mul_i32 s11, s11, 36
	s_addc_u32 s14, s15, s24
	v_add_u32_e32 v3, v6, v0
	s_add_u32 s10, s10, s11
	v_and_b32_e32 v5, 1, v0
	v_lshrrev_b32_e32 v3, 1, v3
	s_addc_u32 s11, s14, s23
	v_lshlrev_b32_e32 v20, 3, v5
	v_mad_u64_u32 v[5:6], s[10:11], v3, 36, s[10:11]
	v_lshlrev_b32_e32 v2, 1, v0
	v_and_b32_e32 v4, 2, v2
	v_mov_b32_e32 v2, 0
	v_mov_b32_e32 v3, v2
	s_mov_b64 s[14:15], 0
	v_lshlrev_b32_e32 v21, 2, v4
	v_mov_b32_e32 v18, v2
	v_mov_b32_e32 v4, v2
	s_branch .LBB25_18
.LBB25_17:                              ;   in Loop: Header=BB25_18 Depth=1
	s_waitcnt vmcnt(3)
	v_and_b32_e32 v25, 0xf0f0f0f, v11
	v_lshrrev_b32_e32 v11, 4, v11
	v_and_b32_e32 v11, 0xf0f0f0f, v11
	v_dot4_i32_i8 v25, v25, v7, 0
	v_dot4_i32_i8 v11, v11, v9, v25
	v_and_b32_e32 v25, 0xf0f0f0f, v12
	v_dot4_i32_i8 v11, v25, v8, v11
	s_waitcnt vmcnt(1)
	v_and_b32_e32 v25, 0xf0f0f0f, v13
	v_lshrrev_b32_e32 v13, 4, v13
	v_and_b32_e32 v13, 0xf0f0f0f, v13
	v_dot4_i32_i8 v7, v25, v7, 0
	v_lshrrev_b32_e32 v12, 4, v12
	v_dot4_i32_i8 v7, v13, v9, v7
	v_and_b32_e32 v9, 0xf0f0f0f, v14
	v_lshrrev_b32_e32 v13, 4, v14
	v_and_b32_e32 v12, 0xf0f0f0f, v12
	v_pk_mul_f16 v23, v23, v22
	v_and_b32_e32 v13, 0xf0f0f0f, v13
	v_dot4_i32_i8 v7, v9, v8, v7
	s_waitcnt vmcnt(0)
	v_pk_mul_f16 v8, v24, v22
	v_cvt_f32_f16_sdwa v26, v23 dst_sel:DWORD dst_unused:UNUSED_PAD src0_sel:WORD_1
	v_dot4_i32_i8 v11, v12, v10, v11
	v_dot4_i32_i8 v7, v13, v10, v7
	v_cvt_f32_f16_sdwa v9, v8 dst_sel:DWORD dst_unused:UNUSED_PAD src0_sel:WORD_1
	v_cvt_f32_i32_e32 v11, v11
	v_cvt_f32_i32_e32 v7, v7
	v_mul_f32_e32 v12, 0.5, v26
	v_mul_f32_e32 v9, 0.5, v9
	v_add_u32_e32 v19, 64, v19
	v_fma_mix_f32 v10, v11, v23, v12 op_sel_hi:[0,1,0]
	v_fma_mix_f32 v7, v7, v8, v9 op_sel_hi:[0,1,0]
	v_add_co_u32_e32 v5, vcc, 0x900, v5
	v_cmp_le_u32_e64 s[10:11], s17, v19
	v_add_f32_e32 v18, v18, v10
	v_add_f32_e32 v4, v4, v7
	s_or_b64 s[14:15], s[10:11], s[14:15]
	v_addc_co_u32_e32 v6, vcc, 0, v6, vcc
	s_andn2_b64 exec, exec, s[14:15]
	s_cbranch_execz .LBB25_22
.LBB25_18:                              ; =>This Inner Loop Header: Depth=1
	v_add_u32_e32 v13, s20, v19
	v_mad_i64_i32 v[24:25], s[10:11], v13, 20, s[12:13]
	v_add_co_u32_e32 v11, vcc, v5, v20
	v_addc_co_u32_e32 v12, vcc, 0, v6, vcc
	v_add_co_u32_e32 v26, vcc, v24, v21
	global_load_dwordx2 v[7:8], v[11:12], off offset:4
	global_load_dwordx2 v[9:10], v[11:12], off offset:20
	global_load_dword v22, v[5:6], off
	v_addc_co_u32_e32 v27, vcc, 0, v25, vcc
	global_load_dwordx2 v[11:12], v[26:27], off offset:4
	global_load_dword v23, v[24:25], off
	s_and_b64 vcc, exec, s[6:7]
	s_cbranch_vccnz .LBB25_20
; %bb.19:                               ;   in Loop: Header=BB25_18 Depth=1
	v_mad_i64_i32 v[13:14], s[10:11], v13, 20, s[28:29]
	v_add_co_u32_e32 v24, vcc, v13, v21
	v_addc_co_u32_e32 v25, vcc, 0, v14, vcc
	global_load_dwordx2 v[26:27], v[24:25], off offset:4
	global_load_dword v28, v[13:14], off
	s_waitcnt vmcnt(1)
	v_and_b32_e32 v13, 0xf0f0f0f, v26
	v_lshrrev_b32_e32 v14, 4, v26
	v_and_b32_e32 v14, 0xf0f0f0f, v14
	v_dot4_i32_i8 v13, v13, v7, 0
	v_and_b32_e32 v24, 0xf0f0f0f, v27
	v_lshrrev_b32_e32 v25, 4, v27
	v_dot4_i32_i8 v13, v14, v9, v13
	s_waitcnt vmcnt(0)
	v_pk_mul_f16 v26, v22, v28
	v_and_b32_e32 v25, 0xf0f0f0f, v25
	v_dot4_i32_i8 v13, v24, v8, v13
	v_dot4_i32_i8 v13, v25, v10, v13
	v_cvt_f32_f16_sdwa v14, v26 dst_sel:DWORD dst_unused:UNUSED_PAD src0_sel:WORD_1
	v_cvt_f32_i32_e32 v13, v13
	v_mul_f32_e32 v14, 0.5, v14
	v_fma_mix_f32 v13, v13, v26, v14 op_sel_hi:[0,1,0]
	v_add_f32_e32 v2, v2, v13
.LBB25_20:                              ;   in Loop: Header=BB25_18 Depth=1
	v_add_u32_e32 v25, s21, v19
	v_mad_i64_i32 v[26:27], s[10:11], v25, 20, s[12:13]
	v_add_co_u32_e32 v28, vcc, v26, v21
	v_addc_co_u32_e32 v29, vcc, 0, v27, vcc
	global_load_dwordx2 v[13:14], v[28:29], off offset:4
	global_load_dword v24, v[26:27], off
	s_and_b64 vcc, exec, s[6:7]
	s_cbranch_vccnz .LBB25_17
; %bb.21:                               ;   in Loop: Header=BB25_18 Depth=1
	v_mad_i64_i32 v[25:26], s[10:11], v25, 20, s[28:29]
	v_add_co_u32_e32 v27, vcc, v25, v21
	v_addc_co_u32_e32 v28, vcc, 0, v26, vcc
	global_load_dwordx2 v[29:30], v[27:28], off offset:4
	global_load_dword v31, v[25:26], off
	s_waitcnt vmcnt(1)
	v_and_b32_e32 v25, 0xf0f0f0f, v29
	v_lshrrev_b32_e32 v26, 4, v29
	v_and_b32_e32 v26, 0xf0f0f0f, v26
	v_dot4_i32_i8 v25, v25, v7, 0
	v_and_b32_e32 v27, 0xf0f0f0f, v30
	v_lshrrev_b32_e32 v28, 4, v30
	v_dot4_i32_i8 v25, v26, v9, v25
	s_waitcnt vmcnt(0)
	v_pk_mul_f16 v29, v22, v31
	v_and_b32_e32 v28, 0xf0f0f0f, v28
	v_dot4_i32_i8 v25, v27, v8, v25
	v_dot4_i32_i8 v25, v28, v10, v25
	v_cvt_f32_f16_sdwa v26, v29 dst_sel:DWORD dst_unused:UNUSED_PAD src0_sel:WORD_1
	v_cvt_f32_i32_e32 v25, v25
	v_mul_f32_e32 v26, 0.5, v26
	v_fma_mix_f32 v25, v25, v29, v26 op_sel_hi:[0,1,0]
	v_add_f32_e32 v3, v3, v25
	s_branch .LBB25_17
.LBB25_22:
	s_or_b64 exec, exec, s[14:15]
.LBB25_23:
	s_or_b64 exec, exec, s[30:31]
	s_load_dword s17, s[4:5], 0x30
	v_cmp_eq_u32_e64 s[10:11], 0, v1
	v_cmp_ne_u32_e32 vcc, 0, v1
	v_lshlrev_b32_e32 v5, 2, v0
	s_and_saveexec_b64 s[12:13], vcc
	s_cbranch_execz .LBB25_28
; %bb.24:
	v_lshl_or_b32 v1, v1, 9, v5
	v_add_u32_e32 v6, 0xfffffe00, v1
	s_mov_b64 s[14:15], -1
	s_and_b64 vcc, exec, s[18:19]
	ds_write_b32 v6, v18
	s_cbranch_vccz .LBB25_26
; %bb.25:
	ds_write_b32 v6, v4 offset:256
	s_mov_b64 s[14:15], 0
.LBB25_26:
	s_andn2_b64 vcc, exec, s[14:15]
	s_cbranch_vccnz .LBB25_28
; %bb.27:
	ds_write_b32 v6, v4 offset:256
	ds_write2st64_b32 v1, v2, v3 offset1:1
.LBB25_28:
	s_or_b64 exec, exec, s[12:13]
	s_waitcnt vmcnt(0) lgkmcnt(0)
	s_barrier
	s_and_saveexec_b64 s[12:13], s[10:11]
	s_cbranch_execz .LBB25_61
; %bb.29:
	ds_read_b32 v7, v5
	s_and_b64 vcc, exec, s[6:7]
	v_or_b32_e32 v6, 0x200, v5
	s_cbranch_vccnz .LBB25_31
; %bb.30:
	ds_read_b32 v1, v6
	s_waitcnt lgkmcnt(0)
	v_add_f32_e32 v2, v2, v1
.LBB25_31:
	v_mbcnt_lo_u32_b32 v1, -1, 0
	v_mbcnt_hi_u32_b32 v8, -1, v1
	v_and_b32_e32 v1, 64, v8
	v_add_u32_e32 v13, 64, v1
	v_xor_b32_e32 v1, 32, v8
	v_cmp_lt_i32_e32 vcc, v1, v13
	v_cndmask_b32_e32 v1, v8, v1, vcc
	v_lshlrev_b32_e32 v1, 2, v1
	s_waitcnt lgkmcnt(0)
	v_add_f32_e32 v7, v18, v7
	ds_bpermute_b32 v10, v1, v7
	v_xor_b32_e32 v9, 16, v8
	v_cmp_lt_i32_e32 vcc, v9, v13
	v_cndmask_b32_e32 v9, v8, v9, vcc
	v_lshlrev_b32_e32 v9, 2, v9
	s_waitcnt lgkmcnt(0)
	v_add_f32_e32 v7, v7, v10
	ds_bpermute_b32 v11, v9, v7
	;; [unrolled: 7-line block ×6, first 2 shown]
	s_and_b64 vcc, exec, s[6:7]
	s_cbranch_vccnz .LBB25_33
; %bb.32:
	ds_bpermute_b32 v14, v1, v2
	s_waitcnt lgkmcnt(0)
	v_add_f32_e32 v2, v2, v14
	ds_bpermute_b32 v14, v9, v2
	s_waitcnt lgkmcnt(0)
	v_add_f32_e32 v2, v2, v14
	;; [unrolled: 3-line block ×6, first 2 shown]
.LBB25_33:
	ds_read_b32 v14, v5 offset:256
	s_and_b64 vcc, exec, s[6:7]
	s_cbranch_vccnz .LBB25_35
; %bb.34:
	ds_read_b32 v6, v6 offset:256
	s_waitcnt lgkmcnt(0)
	v_add_f32_e32 v3, v3, v6
.LBB25_35:
	s_waitcnt lgkmcnt(0)
	v_add_f32_e32 v4, v4, v14
	ds_bpermute_b32 v6, v1, v4
	s_and_b64 vcc, exec, s[6:7]
	s_waitcnt lgkmcnt(0)
	v_add_f32_e32 v4, v4, v6
	ds_bpermute_b32 v6, v9, v4
	s_waitcnt lgkmcnt(0)
	v_add_f32_e32 v4, v4, v6
	ds_bpermute_b32 v6, v10, v4
	;; [unrolled: 3-line block ×5, first 2 shown]
	s_cbranch_vccnz .LBB25_37
; %bb.36:
	ds_bpermute_b32 v1, v1, v3
	s_waitcnt lgkmcnt(0)
	v_add_f32_e32 v1, v3, v1
	ds_bpermute_b32 v3, v9, v1
	s_waitcnt lgkmcnt(0)
	v_add_f32_e32 v1, v1, v3
	;; [unrolled: 3-line block ×6, first 2 shown]
.LBB25_37:
	v_cmp_gt_u32_e32 vcc, s9, v15
	v_cmp_gt_u32_e64 s[10:11], 2, v0
	s_and_b64 s[10:11], s[10:11], vcc
	s_and_b64 exec, exec, s[10:11]
	s_cbranch_execz .LBB25_61
; %bb.38:
	v_add_f32_e32 v1, v7, v8
	s_waitcnt lgkmcnt(0)
	v_add_f32_e32 v4, v4, v6
	v_cmp_eq_u32_e64 s[10:11], 1, v0
	v_cndmask_b32_e64 v0, v1, v4, s[10:11]
	v_add_f32_e32 v1, v17, v0
	s_and_b64 vcc, exec, s[6:7]
	v_cndmask_b32_e64 v0, v1, v0, s[0:1]
	s_cbranch_vccnz .LBB25_60
; %bb.39:
	v_cndmask_b32_e64 v1, v2, v3, s[10:11]
	v_add_f32_e32 v2, v16, v1
	v_cndmask_b32_e64 v1, v1, v2, s[2:3]
	s_cmp_lt_i32 s17, 2
	s_mov_b64 s[0:1], 0
	s_cbranch_scc1 .LBB25_43
; %bb.40:
	s_cmp_gt_i32 s17, 2
	s_cbranch_scc0 .LBB25_44
; %bb.41:
	s_cmp_eq_u32 s17, 3
	s_cbranch_scc0 .LBB25_45
; %bb.42:
	v_max_f32_e32 v2, v1, v1
	v_min_f32_e32 v2, 0x40e00000, v2
	v_mul_f32_e32 v3, 0xbfd9db23, v2
	s_mov_b32 s2, 0x3fb8aa3b
	v_mul_f32_e32 v4, 0x3fb8aa3b, v3
	v_fma_f32 v6, v3, s2, -v4
	v_rndne_f32_e32 v7, v4
	v_fmac_f32_e32 v6, 0x32a5705f, v3
	v_sub_f32_e32 v4, v4, v7
	v_add_f32_e32 v4, v4, v6
	v_exp_f32_e32 v4, v4
	v_cvt_i32_f32_e32 v6, v7
	s_mov_b32 s2, 0xc2ce8ed0
	v_cmp_ngt_f32_e32 vcc, s2, v3
	s_mov_b32 s2, 0x42b17218
	v_ldexp_f32 v4, v4, v6
	v_cndmask_b32_e32 v4, 0, v4, vcc
	v_mov_b32_e32 v6, 0x7f800000
	v_cmp_nlt_f32_e32 vcc, s2, v3
	v_cndmask_b32_e32 v3, v6, v4, vcc
	v_add_f32_e32 v3, 1.0, v3
	v_div_scale_f32 v4, s[2:3], v3, v3, v2
	v_div_scale_f32 v6, vcc, v2, v3, v2
	s_mov_b64 s[2:3], 0
	v_rcp_f32_e32 v7, v4
	v_fma_f32 v8, -v4, v7, 1.0
	v_fmac_f32_e32 v7, v8, v7
	v_mul_f32_e32 v8, v6, v7
	v_fma_f32 v9, -v4, v8, v6
	v_fmac_f32_e32 v8, v9, v7
	v_fma_f32 v4, -v4, v8, v6
	v_div_fmas_f32 v4, v4, v7, v8
	v_max_f32_e32 v6, v0, v0
	v_min_f32_e32 v6, 0x40e00000, v6
	v_max_f32_e32 v6, 0xc0e00000, v6
	v_add_f32_e32 v6, 1.0, v6
	v_div_fixup_f32 v2, v4, v3, v2
	v_mul_f32_e32 v2, v6, v2
	s_branch .LBB25_46
.LBB25_43:
                                        ; implicit-def: $vgpr2
	s_mov_b64 s[2:3], 0
	s_cbranch_execnz .LBB25_50
	s_branch .LBB25_51
.LBB25_44:
	s_mov_b64 s[6:7], -1
	s_mov_b64 s[2:3], 0
                                        ; implicit-def: $vgpr2
	s_branch .LBB25_47
.LBB25_45:
	s_mov_b64 s[2:3], -1
                                        ; implicit-def: $vgpr2
.LBB25_46:
	s_mov_b64 s[6:7], 0
.LBB25_47:
	s_and_b64 vcc, exec, s[6:7]
	s_cbranch_vccz .LBB25_49
; %bb.48:
	v_mul_f32_e32 v2, 0xbfb8aa3b, v1
	s_mov_b32 s6, 0xbfb8aa3b
	v_rndne_f32_e32 v3, v2
	v_sub_f32_e32 v4, v2, v3
	v_fma_f32 v2, v1, s6, -v2
	v_fmac_f32_e32 v2, 0xb2a5705f, v1
	v_add_f32_e32 v2, v4, v2
	v_exp_f32_e32 v2, v2
	v_cvt_i32_f32_e32 v3, v3
	s_mov_b32 s6, 0x42ce8ed0
	v_cmp_nlt_f32_e32 vcc, s6, v1
	s_mov_b32 s6, 0xc2b17218
	v_ldexp_f32 v2, v2, v3
	v_cndmask_b32_e32 v2, 0, v2, vcc
	v_mov_b32_e32 v3, 0x7f800000
	v_cmp_ngt_f32_e32 vcc, s6, v1
	v_cndmask_b32_e32 v2, v3, v2, vcc
	v_add_f32_e32 v2, 1.0, v2
	v_div_scale_f32 v3, s[6:7], v2, v2, v1
	v_div_scale_f32 v4, vcc, v1, v2, v1
	v_rcp_f32_e32 v6, v3
	v_fma_f32 v7, -v3, v6, 1.0
	v_fmac_f32_e32 v6, v7, v6
	v_mul_f32_e32 v7, v4, v6
	v_fma_f32 v8, -v3, v7, v4
	v_fmac_f32_e32 v7, v8, v6
	v_fma_f32 v3, -v3, v7, v4
	v_div_fmas_f32 v3, v3, v6, v7
	v_div_fixup_f32 v2, v3, v2, v1
	v_mul_f32_e32 v2, v0, v2
.LBB25_49:
	s_branch .LBB25_51
.LBB25_50:
	s_cmp_lg_u32 s17, 1
	s_mov_b64 s[0:1], -1
	s_cselect_b64 s[2:3], -1, 0
.LBB25_51:
	s_andn2_b64 vcc, exec, s[2:3]
	s_cbranch_vccz .LBB25_53
; %bb.52:
	s_andn2_b64 vcc, exec, s[0:1]
	s_cbranch_vccz .LBB25_54
	s_branch .LBB25_59
.LBB25_53:
	v_mul_f32_e32 v2, v1, v0
	s_cbranch_execnz .LBB25_59
.LBB25_54:
	v_mul_f32_e32 v3, 0x3d372713, v1
	v_mul_f32_e32 v2, 0x3f4c422a, v1
	v_fma_f32 v3, v1, v3, 1.0
	v_mul_f32_e32 v2, v2, v3
	s_mov_b32 s0, 0x3f200000
	v_cmp_nlt_f32_e64 s[0:1], |v2|, s0
                                        ; implicit-def: $vgpr3
	s_and_saveexec_b64 s[2:3], s[0:1]
	s_xor_b64 s[0:1], exec, s[2:3]
	s_cbranch_execz .LBB25_56
; %bb.55:
	v_add_f32_e64 v3, |v2|, |v2|
	v_mul_f32_e32 v4, 0x3fb8aa3b, v3
	s_mov_b32 s2, 0x3fb8aa3b
	v_rndne_f32_e32 v6, v4
	v_sub_f32_e32 v7, v4, v6
	v_fma_f32 v4, v3, s2, -v4
	v_fmac_f32_e32 v4, 0x32a5705f, v3
	v_add_f32_e32 v4, v7, v4
	v_exp_f32_e32 v4, v4
	v_cvt_i32_f32_e32 v6, v6
	s_mov_b32 s2, 0xc2ce8ed0
	v_cmp_ngt_f32_e32 vcc, s2, v3
	s_mov_b32 s2, 0x42b17218
	v_ldexp_f32 v4, v4, v6
	v_cndmask_b32_e32 v4, 0, v4, vcc
	v_mov_b32_e32 v6, 0x7f800000
	v_cmp_nlt_f32_e32 vcc, s2, v3
	v_cndmask_b32_e32 v3, v6, v4, vcc
	v_add_f32_e32 v3, 1.0, v3
	v_rcp_f32_e32 v3, v3
	v_fma_f32 v3, v3, -2.0, 1.0
.LBB25_56:
	s_andn2_saveexec_b64 s[0:1], s[0:1]
	s_cbranch_execz .LBB25_58
; %bb.57:
	v_mul_f32_e32 v3, v2, v2
	v_mov_b32_e32 v4, 0x3ca908c9
	v_fmac_f32_e32 v4, 0xbbbac73d, v3
	v_mov_b32_e32 v6, 0xbd5c1c4e
	v_fmac_f32_e32 v6, v3, v4
	;; [unrolled: 2-line block ×4, first 2 shown]
	v_mul_f32_e64 v4, |v2|, v6
	v_fma_f32 v3, v3, v4, |v2|
.LBB25_58:
	s_or_b64 exec, exec, s[0:1]
	s_brev_b32 s0, -2
	v_bfi_b32 v2, s0, v3, v2
	v_mul_f32_e32 v1, 0.5, v1
	v_add_f32_e32 v2, 1.0, v2
	v_mul_f32_e32 v1, v1, v2
	v_mul_f32_e32 v2, v0, v1
.LBB25_59:
	v_mov_b32_e32 v0, v2
.LBB25_60:
	s_load_dwordx2 s[0:1], s[4:5], 0x38
	s_mul_i32 s3, s22, s34
	s_mul_i32 s2, s26, s8
	s_add_i32 s3, s3, s16
	s_add_i32 s2, s3, s2
	s_mov_b32 s3, 0
	s_lshl_b64 s[2:3], s[2:3], 2
	s_waitcnt lgkmcnt(0)
	s_add_u32 s0, s0, s2
	s_addc_u32 s1, s1, s3
	global_store_dword v5, v0, s[0:1]
.LBB25_61:
	s_endpgm
	.section	.rodata,"a",@progbits
	.p2align	6, 0x0
	.amdhsa_kernel _ZL13mul_mat_vec_qIL9ggml_type3ELi1ELb1ELb1EEvPKvS2_PKi31ggml_cuda_mm_fusion_args_devicePfj15HIP_vector_typeIjLj3EEjjjS8_jjjS8_jjjj
		.amdhsa_group_segment_fixed_size 1024
		.amdhsa_private_segment_fixed_size 0
		.amdhsa_kernarg_size 144
		.amdhsa_user_sgpr_count 6
		.amdhsa_user_sgpr_private_segment_buffer 1
		.amdhsa_user_sgpr_dispatch_ptr 0
		.amdhsa_user_sgpr_queue_ptr 0
		.amdhsa_user_sgpr_kernarg_segment_ptr 1
		.amdhsa_user_sgpr_dispatch_id 0
		.amdhsa_user_sgpr_flat_scratch_init 0
		.amdhsa_user_sgpr_private_segment_size 0
		.amdhsa_uses_dynamic_stack 0
		.amdhsa_system_sgpr_private_segment_wavefront_offset 0
		.amdhsa_system_sgpr_workgroup_id_x 1
		.amdhsa_system_sgpr_workgroup_id_y 1
		.amdhsa_system_sgpr_workgroup_id_z 1
		.amdhsa_system_sgpr_workgroup_info 0
		.amdhsa_system_vgpr_workitem_id 1
		.amdhsa_next_free_vgpr 32
		.amdhsa_next_free_sgpr 44
		.amdhsa_reserve_vcc 1
		.amdhsa_reserve_flat_scratch 0
		.amdhsa_float_round_mode_32 0
		.amdhsa_float_round_mode_16_64 0
		.amdhsa_float_denorm_mode_32 3
		.amdhsa_float_denorm_mode_16_64 3
		.amdhsa_dx10_clamp 1
		.amdhsa_ieee_mode 1
		.amdhsa_fp16_overflow 0
		.amdhsa_exception_fp_ieee_invalid_op 0
		.amdhsa_exception_fp_denorm_src 0
		.amdhsa_exception_fp_ieee_div_zero 0
		.amdhsa_exception_fp_ieee_overflow 0
		.amdhsa_exception_fp_ieee_underflow 0
		.amdhsa_exception_fp_ieee_inexact 0
		.amdhsa_exception_int_div_zero 0
	.end_amdhsa_kernel
	.section	.text._ZL13mul_mat_vec_qIL9ggml_type3ELi1ELb1ELb1EEvPKvS2_PKi31ggml_cuda_mm_fusion_args_devicePfj15HIP_vector_typeIjLj3EEjjjS8_jjjS8_jjjj,"axG",@progbits,_ZL13mul_mat_vec_qIL9ggml_type3ELi1ELb1ELb1EEvPKvS2_PKi31ggml_cuda_mm_fusion_args_devicePfj15HIP_vector_typeIjLj3EEjjjS8_jjjS8_jjjj,comdat
.Lfunc_end25:
	.size	_ZL13mul_mat_vec_qIL9ggml_type3ELi1ELb1ELb1EEvPKvS2_PKi31ggml_cuda_mm_fusion_args_devicePfj15HIP_vector_typeIjLj3EEjjjS8_jjjS8_jjjj, .Lfunc_end25-_ZL13mul_mat_vec_qIL9ggml_type3ELi1ELb1ELb1EEvPKvS2_PKi31ggml_cuda_mm_fusion_args_devicePfj15HIP_vector_typeIjLj3EEjjjS8_jjjS8_jjjj
                                        ; -- End function
	.set _ZL13mul_mat_vec_qIL9ggml_type3ELi1ELb1ELb1EEvPKvS2_PKi31ggml_cuda_mm_fusion_args_devicePfj15HIP_vector_typeIjLj3EEjjjS8_jjjS8_jjjj.num_vgpr, 32
	.set _ZL13mul_mat_vec_qIL9ggml_type3ELi1ELb1ELb1EEvPKvS2_PKi31ggml_cuda_mm_fusion_args_devicePfj15HIP_vector_typeIjLj3EEjjjS8_jjjS8_jjjj.num_agpr, 0
	.set _ZL13mul_mat_vec_qIL9ggml_type3ELi1ELb1ELb1EEvPKvS2_PKi31ggml_cuda_mm_fusion_args_devicePfj15HIP_vector_typeIjLj3EEjjjS8_jjjS8_jjjj.numbered_sgpr, 44
	.set _ZL13mul_mat_vec_qIL9ggml_type3ELi1ELb1ELb1EEvPKvS2_PKi31ggml_cuda_mm_fusion_args_devicePfj15HIP_vector_typeIjLj3EEjjjS8_jjjS8_jjjj.num_named_barrier, 0
	.set _ZL13mul_mat_vec_qIL9ggml_type3ELi1ELb1ELb1EEvPKvS2_PKi31ggml_cuda_mm_fusion_args_devicePfj15HIP_vector_typeIjLj3EEjjjS8_jjjS8_jjjj.private_seg_size, 0
	.set _ZL13mul_mat_vec_qIL9ggml_type3ELi1ELb1ELb1EEvPKvS2_PKi31ggml_cuda_mm_fusion_args_devicePfj15HIP_vector_typeIjLj3EEjjjS8_jjjS8_jjjj.uses_vcc, 1
	.set _ZL13mul_mat_vec_qIL9ggml_type3ELi1ELb1ELb1EEvPKvS2_PKi31ggml_cuda_mm_fusion_args_devicePfj15HIP_vector_typeIjLj3EEjjjS8_jjjS8_jjjj.uses_flat_scratch, 0
	.set _ZL13mul_mat_vec_qIL9ggml_type3ELi1ELb1ELb1EEvPKvS2_PKi31ggml_cuda_mm_fusion_args_devicePfj15HIP_vector_typeIjLj3EEjjjS8_jjjS8_jjjj.has_dyn_sized_stack, 0
	.set _ZL13mul_mat_vec_qIL9ggml_type3ELi1ELb1ELb1EEvPKvS2_PKi31ggml_cuda_mm_fusion_args_devicePfj15HIP_vector_typeIjLj3EEjjjS8_jjjS8_jjjj.has_recursion, 0
	.set _ZL13mul_mat_vec_qIL9ggml_type3ELi1ELb1ELb1EEvPKvS2_PKi31ggml_cuda_mm_fusion_args_devicePfj15HIP_vector_typeIjLj3EEjjjS8_jjjS8_jjjj.has_indirect_call, 0
	.section	.AMDGPU.csdata,"",@progbits
; Kernel info:
; codeLenInByte = 3092
; TotalNumSgprs: 48
; NumVgprs: 32
; ScratchSize: 0
; MemoryBound: 0
; FloatMode: 240
; IeeeMode: 1
; LDSByteSize: 1024 bytes/workgroup (compile time only)
; SGPRBlocks: 5
; VGPRBlocks: 7
; NumSGPRsForWavesPerEU: 48
; NumVGPRsForWavesPerEU: 32
; Occupancy: 8
; WaveLimiterHint : 0
; COMPUTE_PGM_RSRC2:SCRATCH_EN: 0
; COMPUTE_PGM_RSRC2:USER_SGPR: 6
; COMPUTE_PGM_RSRC2:TRAP_HANDLER: 0
; COMPUTE_PGM_RSRC2:TGID_X_EN: 1
; COMPUTE_PGM_RSRC2:TGID_Y_EN: 1
; COMPUTE_PGM_RSRC2:TGID_Z_EN: 1
; COMPUTE_PGM_RSRC2:TIDIG_COMP_CNT: 1
	.section	.text._ZL13mul_mat_vec_qIL9ggml_type3ELi1ELb0ELb1EEvPKvS2_PKi31ggml_cuda_mm_fusion_args_devicePfj15HIP_vector_typeIjLj3EEjjjS8_jjjS8_jjjj,"axG",@progbits,_ZL13mul_mat_vec_qIL9ggml_type3ELi1ELb0ELb1EEvPKvS2_PKi31ggml_cuda_mm_fusion_args_devicePfj15HIP_vector_typeIjLj3EEjjjS8_jjjS8_jjjj,comdat
	.globl	_ZL13mul_mat_vec_qIL9ggml_type3ELi1ELb0ELb1EEvPKvS2_PKi31ggml_cuda_mm_fusion_args_devicePfj15HIP_vector_typeIjLj3EEjjjS8_jjjS8_jjjj ; -- Begin function _ZL13mul_mat_vec_qIL9ggml_type3ELi1ELb0ELb1EEvPKvS2_PKi31ggml_cuda_mm_fusion_args_devicePfj15HIP_vector_typeIjLj3EEjjjS8_jjjS8_jjjj
	.p2align	8
	.type	_ZL13mul_mat_vec_qIL9ggml_type3ELi1ELb0ELb1EEvPKvS2_PKi31ggml_cuda_mm_fusion_args_devicePfj15HIP_vector_typeIjLj3EEjjjS8_jjjS8_jjjj,@function
_ZL13mul_mat_vec_qIL9ggml_type3ELi1ELb0ELb1EEvPKvS2_PKi31ggml_cuda_mm_fusion_args_devicePfj15HIP_vector_typeIjLj3EEjjjS8_jjjS8_jjjj: ; @_ZL13mul_mat_vec_qIL9ggml_type3ELi1ELb0ELb1EEvPKvS2_PKi31ggml_cuda_mm_fusion_args_devicePfj15HIP_vector_typeIjLj3EEjjjS8_jjjS8_jjjj
; %bb.0:
	s_load_dwordx2 s[0:1], s[4:5], 0x10
	s_load_dwordx4 s[16:19], s[4:5], 0x40
	s_mov_b32 s10, s7
	s_mov_b64 s[14:15], 0
	s_waitcnt lgkmcnt(0)
	s_cmp_lg_u64 s[0:1], 0
	s_cselect_b64 s[12:13], -1, 0
	s_cmp_eq_u64 s[0:1], 0
	s_cbranch_scc1 .LBB26_5
; %bb.1:
	s_mov_b32 s11, 0
	s_lshl_b64 s[2:3], s[10:11], 2
	s_add_u32 s0, s0, s2
	s_addc_u32 s1, s1, s3
	s_load_dword s21, s[0:1], 0x0
	s_nop 0
	s_load_dwordx4 s[0:3], s[4:5], 0x68
	s_load_dword s20, s[4:5], 0x50
	s_andn2_b64 vcc, exec, s[14:15]
	s_cbranch_vccnz .LBB26_3
.LBB26_2:
	s_load_dwordx2 s[14:15], s[4:5], 0x5c
	s_waitcnt lgkmcnt(0)
	s_mul_hi_u32 s7, s14, s10
	s_add_i32 s7, s10, s7
	s_lshr_b32 s21, s7, s15
.LBB26_3:
	s_load_dword s22, s[4:5], 0x78
	s_andn2_b64 vcc, exec, s[12:13]
	s_cbranch_vccnz .LBB26_6
; %bb.4:
	s_mul_hi_u32 s7, s17, s10
	s_add_i32 s7, s10, s7
	s_lshr_b32 s7, s7, s18
	s_mul_i32 s7, s7, s19
	s_sub_i32 s23, s10, s7
	s_branch .LBB26_7
.LBB26_5:
                                        ; implicit-def: $sgpr21
	s_load_dwordx4 s[0:3], s[4:5], 0x68
	s_load_dword s20, s[4:5], 0x50
	s_branch .LBB26_2
.LBB26_6:
	s_mov_b32 s23, s10
.LBB26_7:
	s_load_dwordx4 s[12:15], s[4:5], 0x80
	v_lshlrev_b32_e32 v2, 6, v1
	v_add_u16_e32 v3, v2, v0
	s_lshr_b32 s11, s16, 5
	v_lshrrev_b16_e32 v6, 1, v3
	s_lshl_b32 s9, s6, 1
	v_cmp_gt_u32_e32 vcc, s11, v6
	v_mov_b32_e32 v5, 0
	v_mov_b32_e32 v4, 0
	s_and_saveexec_b64 s[6:7], vcc
	s_cbranch_execz .LBB26_11
; %bb.8:
	s_waitcnt lgkmcnt(0)
	s_mul_hi_u32 s3, s3, s8
	s_add_i32 s3, s8, s3
	s_lshr_b32 s3, s3, s22
	s_load_dwordx4 s[16:19], s[4:5], 0x0
	s_mul_i32 s0, s21, s0
	s_mul_i32 s3, s3, s12
	s_add_i32 s12, s0, s3
	s_mul_i32 s0, s9, s20
	s_add_i32 s3, s12, s0
	s_add_i32 s0, s9, 1
	s_mul_i32 s13, s13, s8
	s_mul_i32 s20, s20, s0
	s_add_i32 s12, s12, s20
	s_mul_hi_u32 s0, s13, 36
	s_mul_i32 s13, s13, 36
	s_mul_i32 s1, s23, s1
	s_waitcnt lgkmcnt(0)
	s_add_u32 s13, s18, s13
	s_mul_hi_u32 s15, s1, 36
	s_mul_i32 s1, s1, 36
	s_addc_u32 s18, s19, s0
	v_add_u32_e32 v2, v2, v0
	v_lshlrev_b32_e32 v3, 1, v0
	s_add_u32 s0, s13, s1
	v_and_b32_e32 v5, 2, v3
	v_and_b32_e32 v3, 1, v0
	v_lshrrev_b32_e32 v2, 1, v2
	s_addc_u32 s1, s18, s15
	v_lshlrev_b32_e32 v7, 3, v3
	v_mad_u64_u32 v[2:3], s[0:1], v2, 36, s[0:1]
	v_mov_b32_e32 v4, 0
	s_mov_b64 s[0:1], 0
	v_lshlrev_b32_e32 v8, 2, v5
	v_mov_b32_e32 v5, 0
.LBB26_9:                               ; =>This Inner Loop Header: Depth=1
	v_add_co_u32_e32 v9, vcc, v2, v7
	v_addc_co_u32_e32 v10, vcc, 0, v3, vcc
	global_load_dwordx2 v[11:12], v[9:10], off offset:4
	global_load_dwordx2 v[13:14], v[9:10], off offset:20
	global_load_dword v19, v[2:3], off
	v_add_u32_e32 v9, s3, v6
	v_mad_i64_i32 v[9:10], s[18:19], v9, 20, s[16:17]
	v_add_co_u32_e32 v15, vcc, v9, v8
	v_addc_co_u32_e32 v16, vcc, 0, v10, vcc
	global_load_dwordx2 v[17:18], v[15:16], off offset:4
	global_load_dword v20, v[9:10], off
	s_waitcnt vmcnt(1)
	v_and_b32_e32 v9, 0xf0f0f0f, v17
	v_lshrrev_b32_e32 v10, 4, v17
	v_and_b32_e32 v10, 0xf0f0f0f, v10
	v_dot4_i32_i8 v9, v9, v11, 0
	v_dot4_i32_i8 v9, v10, v13, v9
	v_and_b32_e32 v10, 0xf0f0f0f, v18
	v_lshrrev_b32_e32 v15, 4, v18
	v_and_b32_e32 v15, 0xf0f0f0f, v15
	v_dot4_i32_i8 v9, v10, v12, v9
	s_waitcnt vmcnt(0)
	v_pk_mul_f16 v10, v20, v19
	v_dot4_i32_i8 v9, v15, v14, v9
	v_cvt_f32_f16_sdwa v15, v10 dst_sel:DWORD dst_unused:UNUSED_PAD src0_sel:WORD_1
	v_cvt_f32_i32_e32 v9, v9
	v_mul_f32_e32 v15, 0.5, v15
	v_fma_mix_f32 v9, v9, v10, v15 op_sel_hi:[0,1,0]
	v_add_f32_e32 v4, v4, v9
	v_add_u32_e32 v9, s12, v6
	v_mad_i64_i32 v[9:10], s[18:19], v9, 20, s[16:17]
	v_add_u32_e32 v6, 64, v6
	v_add_co_u32_e32 v15, vcc, v9, v8
	v_addc_co_u32_e32 v16, vcc, 0, v10, vcc
	global_load_dwordx2 v[17:18], v[15:16], off offset:4
	global_load_dword v20, v[9:10], off
	v_add_co_u32_e32 v2, vcc, 0x900, v2
	v_addc_co_u32_e32 v3, vcc, 0, v3, vcc
	v_cmp_le_u32_e32 vcc, s11, v6
	s_or_b64 s[0:1], vcc, s[0:1]
	s_waitcnt vmcnt(1)
	v_and_b32_e32 v9, 0xf0f0f0f, v17
	v_lshrrev_b32_e32 v10, 4, v17
	v_and_b32_e32 v10, 0xf0f0f0f, v10
	v_dot4_i32_i8 v9, v9, v11, 0
	v_dot4_i32_i8 v9, v10, v13, v9
	v_and_b32_e32 v10, 0xf0f0f0f, v18
	v_lshrrev_b32_e32 v11, 4, v18
	v_and_b32_e32 v11, 0xf0f0f0f, v11
	v_dot4_i32_i8 v9, v10, v12, v9
	s_waitcnt vmcnt(0)
	v_pk_mul_f16 v10, v20, v19
	v_dot4_i32_i8 v9, v11, v14, v9
	v_cvt_f32_f16_sdwa v11, v10 dst_sel:DWORD dst_unused:UNUSED_PAD src0_sel:WORD_1
	v_cvt_f32_i32_e32 v9, v9
	v_mul_f32_e32 v11, 0.5, v11
	v_fma_mix_f32 v9, v9, v10, v11 op_sel_hi:[0,1,0]
	v_add_f32_e32 v5, v5, v9
	s_andn2_b64 exec, exec, s[0:1]
	s_cbranch_execnz .LBB26_9
; %bb.10:
	s_or_b64 exec, exec, s[0:1]
.LBB26_11:
	s_or_b64 exec, exec, s[6:7]
	v_cmp_eq_u32_e32 vcc, 0, v1
	s_waitcnt lgkmcnt(0)
	v_cmp_ne_u32_e64 s[0:1], 0, v1
	v_lshlrev_b32_e32 v2, 2, v0
	s_and_saveexec_b64 s[6:7], s[0:1]
; %bb.12:
	v_lshl_or_b32 v1, v1, 9, v2
	v_add_u32_e32 v1, 0xfffffe00, v1
	ds_write2st64_b32 v1, v4, v5 offset1:1
; %bb.13:
	s_or_b64 exec, exec, s[6:7]
	s_waitcnt lgkmcnt(0)
	s_barrier
	s_and_saveexec_b64 s[0:1], vcc
	s_cbranch_execz .LBB26_16
; %bb.14:
	v_mbcnt_lo_u32_b32 v1, -1, 0
	v_mbcnt_hi_u32_b32 v1, -1, v1
	v_and_b32_e32 v3, 64, v1
	v_add_u32_e32 v3, 64, v3
	v_xor_b32_e32 v6, 32, v1
	v_cmp_lt_i32_e32 vcc, v6, v3
	v_cndmask_b32_e32 v6, v1, v6, vcc
	v_lshlrev_b32_e32 v8, 2, v6
	v_xor_b32_e32 v6, 16, v1
	v_cmp_lt_i32_e32 vcc, v6, v3
	v_cndmask_b32_e32 v6, v1, v6, vcc
	v_lshlrev_b32_e32 v9, 2, v6
	ds_read2st64_b32 v[6:7], v2 offset1:1
	v_xor_b32_e32 v10, 8, v1
	v_cmp_lt_i32_e32 vcc, v10, v3
	v_cndmask_b32_e32 v10, v1, v10, vcc
	v_lshlrev_b32_e32 v10, 2, v10
	s_waitcnt lgkmcnt(0)
	v_add_f32_e32 v4, v4, v6
	v_add_f32_e32 v5, v5, v7
	ds_bpermute_b32 v6, v8, v4
	ds_bpermute_b32 v7, v8, v5
	v_xor_b32_e32 v11, 4, v1
	v_cmp_lt_i32_e32 vcc, v11, v3
	v_cndmask_b32_e32 v8, v1, v11, vcc
	s_waitcnt lgkmcnt(1)
	v_add_f32_e32 v4, v4, v6
	s_waitcnt lgkmcnt(0)
	v_add_f32_e32 v5, v5, v7
	ds_bpermute_b32 v6, v9, v4
	ds_bpermute_b32 v7, v9, v5
	v_lshlrev_b32_e32 v8, 2, v8
	v_xor_b32_e32 v9, 2, v1
	v_cmp_lt_i32_e32 vcc, v9, v3
	s_waitcnt lgkmcnt(1)
	v_add_f32_e32 v4, v4, v6
	s_waitcnt lgkmcnt(0)
	v_add_f32_e32 v5, v5, v7
	ds_bpermute_b32 v6, v10, v4
	ds_bpermute_b32 v7, v10, v5
	v_cndmask_b32_e32 v9, v1, v9, vcc
	s_load_dword s0, s[4:5], 0x58
	s_mov_b32 s3, 0
	s_waitcnt lgkmcnt(0)
	v_add_f32_e32 v4, v4, v6
	v_add_f32_e32 v5, v5, v7
	ds_bpermute_b32 v6, v8, v4
	ds_bpermute_b32 v7, v8, v5
	v_lshlrev_b32_e32 v8, 2, v9
	v_xor_b32_e32 v9, 1, v1
	v_cmp_lt_i32_e32 vcc, v9, v3
	s_waitcnt lgkmcnt(1)
	v_add_f32_e32 v4, v4, v6
	s_waitcnt lgkmcnt(0)
	v_add_f32_e32 v5, v5, v7
	ds_bpermute_b32 v6, v8, v4
	ds_bpermute_b32 v7, v8, v5
	v_cndmask_b32_e32 v1, v1, v9, vcc
	v_lshlrev_b32_e32 v8, 2, v1
	s_waitcnt lgkmcnt(1)
	v_add_f32_e32 v1, v4, v6
	s_waitcnt lgkmcnt(0)
	v_add_f32_e32 v4, v5, v7
	ds_bpermute_b32 v3, v8, v1
	ds_bpermute_b32 v5, v8, v4
	v_or_b32_e32 v6, s9, v0
	v_cmp_gt_u32_e32 vcc, s0, v6
	v_cmp_gt_u32_e64 s[0:1], 2, v0
	s_and_b64 s[0:1], s[0:1], vcc
	s_and_b64 exec, exec, s[0:1]
	s_cbranch_execz .LBB26_16
; %bb.15:
	s_load_dwordx2 s[0:1], s[4:5], 0x38
	s_mul_i32 s2, s2, s10
	s_add_i32 s2, s2, s9
	s_mul_i32 s4, s14, s8
	s_add_i32 s2, s2, s4
	s_lshl_b64 s[2:3], s[2:3], 2
	s_waitcnt lgkmcnt(0)
	s_add_u32 s0, s0, s2
	v_add_f32_e32 v4, v4, v5
	v_add_f32_e32 v1, v1, v3
	v_cmp_eq_u32_e32 vcc, 1, v0
	s_addc_u32 s1, s1, s3
	v_cndmask_b32_e32 v0, v1, v4, vcc
	global_store_dword v2, v0, s[0:1]
.LBB26_16:
	s_endpgm
	.section	.rodata,"a",@progbits
	.p2align	6, 0x0
	.amdhsa_kernel _ZL13mul_mat_vec_qIL9ggml_type3ELi1ELb0ELb1EEvPKvS2_PKi31ggml_cuda_mm_fusion_args_devicePfj15HIP_vector_typeIjLj3EEjjjS8_jjjS8_jjjj
		.amdhsa_group_segment_fixed_size 512
		.amdhsa_private_segment_fixed_size 0
		.amdhsa_kernarg_size 144
		.amdhsa_user_sgpr_count 6
		.amdhsa_user_sgpr_private_segment_buffer 1
		.amdhsa_user_sgpr_dispatch_ptr 0
		.amdhsa_user_sgpr_queue_ptr 0
		.amdhsa_user_sgpr_kernarg_segment_ptr 1
		.amdhsa_user_sgpr_dispatch_id 0
		.amdhsa_user_sgpr_flat_scratch_init 0
		.amdhsa_user_sgpr_private_segment_size 0
		.amdhsa_uses_dynamic_stack 0
		.amdhsa_system_sgpr_private_segment_wavefront_offset 0
		.amdhsa_system_sgpr_workgroup_id_x 1
		.amdhsa_system_sgpr_workgroup_id_y 1
		.amdhsa_system_sgpr_workgroup_id_z 1
		.amdhsa_system_sgpr_workgroup_info 0
		.amdhsa_system_vgpr_workitem_id 1
		.amdhsa_next_free_vgpr 21
		.amdhsa_next_free_sgpr 24
		.amdhsa_reserve_vcc 1
		.amdhsa_reserve_flat_scratch 0
		.amdhsa_float_round_mode_32 0
		.amdhsa_float_round_mode_16_64 0
		.amdhsa_float_denorm_mode_32 3
		.amdhsa_float_denorm_mode_16_64 3
		.amdhsa_dx10_clamp 1
		.amdhsa_ieee_mode 1
		.amdhsa_fp16_overflow 0
		.amdhsa_exception_fp_ieee_invalid_op 0
		.amdhsa_exception_fp_denorm_src 0
		.amdhsa_exception_fp_ieee_div_zero 0
		.amdhsa_exception_fp_ieee_overflow 0
		.amdhsa_exception_fp_ieee_underflow 0
		.amdhsa_exception_fp_ieee_inexact 0
		.amdhsa_exception_int_div_zero 0
	.end_amdhsa_kernel
	.section	.text._ZL13mul_mat_vec_qIL9ggml_type3ELi1ELb0ELb1EEvPKvS2_PKi31ggml_cuda_mm_fusion_args_devicePfj15HIP_vector_typeIjLj3EEjjjS8_jjjS8_jjjj,"axG",@progbits,_ZL13mul_mat_vec_qIL9ggml_type3ELi1ELb0ELb1EEvPKvS2_PKi31ggml_cuda_mm_fusion_args_devicePfj15HIP_vector_typeIjLj3EEjjjS8_jjjS8_jjjj,comdat
.Lfunc_end26:
	.size	_ZL13mul_mat_vec_qIL9ggml_type3ELi1ELb0ELb1EEvPKvS2_PKi31ggml_cuda_mm_fusion_args_devicePfj15HIP_vector_typeIjLj3EEjjjS8_jjjS8_jjjj, .Lfunc_end26-_ZL13mul_mat_vec_qIL9ggml_type3ELi1ELb0ELb1EEvPKvS2_PKi31ggml_cuda_mm_fusion_args_devicePfj15HIP_vector_typeIjLj3EEjjjS8_jjjS8_jjjj
                                        ; -- End function
	.set _ZL13mul_mat_vec_qIL9ggml_type3ELi1ELb0ELb1EEvPKvS2_PKi31ggml_cuda_mm_fusion_args_devicePfj15HIP_vector_typeIjLj3EEjjjS8_jjjS8_jjjj.num_vgpr, 21
	.set _ZL13mul_mat_vec_qIL9ggml_type3ELi1ELb0ELb1EEvPKvS2_PKi31ggml_cuda_mm_fusion_args_devicePfj15HIP_vector_typeIjLj3EEjjjS8_jjjS8_jjjj.num_agpr, 0
	.set _ZL13mul_mat_vec_qIL9ggml_type3ELi1ELb0ELb1EEvPKvS2_PKi31ggml_cuda_mm_fusion_args_devicePfj15HIP_vector_typeIjLj3EEjjjS8_jjjS8_jjjj.numbered_sgpr, 24
	.set _ZL13mul_mat_vec_qIL9ggml_type3ELi1ELb0ELb1EEvPKvS2_PKi31ggml_cuda_mm_fusion_args_devicePfj15HIP_vector_typeIjLj3EEjjjS8_jjjS8_jjjj.num_named_barrier, 0
	.set _ZL13mul_mat_vec_qIL9ggml_type3ELi1ELb0ELb1EEvPKvS2_PKi31ggml_cuda_mm_fusion_args_devicePfj15HIP_vector_typeIjLj3EEjjjS8_jjjS8_jjjj.private_seg_size, 0
	.set _ZL13mul_mat_vec_qIL9ggml_type3ELi1ELb0ELb1EEvPKvS2_PKi31ggml_cuda_mm_fusion_args_devicePfj15HIP_vector_typeIjLj3EEjjjS8_jjjS8_jjjj.uses_vcc, 1
	.set _ZL13mul_mat_vec_qIL9ggml_type3ELi1ELb0ELb1EEvPKvS2_PKi31ggml_cuda_mm_fusion_args_devicePfj15HIP_vector_typeIjLj3EEjjjS8_jjjS8_jjjj.uses_flat_scratch, 0
	.set _ZL13mul_mat_vec_qIL9ggml_type3ELi1ELb0ELb1EEvPKvS2_PKi31ggml_cuda_mm_fusion_args_devicePfj15HIP_vector_typeIjLj3EEjjjS8_jjjS8_jjjj.has_dyn_sized_stack, 0
	.set _ZL13mul_mat_vec_qIL9ggml_type3ELi1ELb0ELb1EEvPKvS2_PKi31ggml_cuda_mm_fusion_args_devicePfj15HIP_vector_typeIjLj3EEjjjS8_jjjS8_jjjj.has_recursion, 0
	.set _ZL13mul_mat_vec_qIL9ggml_type3ELi1ELb0ELb1EEvPKvS2_PKi31ggml_cuda_mm_fusion_args_devicePfj15HIP_vector_typeIjLj3EEjjjS8_jjjS8_jjjj.has_indirect_call, 0
	.section	.AMDGPU.csdata,"",@progbits
; Kernel info:
; codeLenInByte = 1244
; TotalNumSgprs: 28
; NumVgprs: 21
; ScratchSize: 0
; MemoryBound: 0
; FloatMode: 240
; IeeeMode: 1
; LDSByteSize: 512 bytes/workgroup (compile time only)
; SGPRBlocks: 3
; VGPRBlocks: 5
; NumSGPRsForWavesPerEU: 28
; NumVGPRsForWavesPerEU: 21
; Occupancy: 10
; WaveLimiterHint : 0
; COMPUTE_PGM_RSRC2:SCRATCH_EN: 0
; COMPUTE_PGM_RSRC2:USER_SGPR: 6
; COMPUTE_PGM_RSRC2:TRAP_HANDLER: 0
; COMPUTE_PGM_RSRC2:TGID_X_EN: 1
; COMPUTE_PGM_RSRC2:TGID_Y_EN: 1
; COMPUTE_PGM_RSRC2:TGID_Z_EN: 1
; COMPUTE_PGM_RSRC2:TIDIG_COMP_CNT: 1
	.section	.text._ZL13mul_mat_vec_qIL9ggml_type3ELi1ELb1ELb0EEvPKvS2_PKi31ggml_cuda_mm_fusion_args_devicePfj15HIP_vector_typeIjLj3EEjjjS8_jjjS8_jjjj,"axG",@progbits,_ZL13mul_mat_vec_qIL9ggml_type3ELi1ELb1ELb0EEvPKvS2_PKi31ggml_cuda_mm_fusion_args_devicePfj15HIP_vector_typeIjLj3EEjjjS8_jjjS8_jjjj,comdat
	.globl	_ZL13mul_mat_vec_qIL9ggml_type3ELi1ELb1ELb0EEvPKvS2_PKi31ggml_cuda_mm_fusion_args_devicePfj15HIP_vector_typeIjLj3EEjjjS8_jjjS8_jjjj ; -- Begin function _ZL13mul_mat_vec_qIL9ggml_type3ELi1ELb1ELb0EEvPKvS2_PKi31ggml_cuda_mm_fusion_args_devicePfj15HIP_vector_typeIjLj3EEjjjS8_jjjS8_jjjj
	.p2align	8
	.type	_ZL13mul_mat_vec_qIL9ggml_type3ELi1ELb1ELb0EEvPKvS2_PKi31ggml_cuda_mm_fusion_args_devicePfj15HIP_vector_typeIjLj3EEjjjS8_jjjS8_jjjj,@function
_ZL13mul_mat_vec_qIL9ggml_type3ELi1ELb1ELb0EEvPKvS2_PKi31ggml_cuda_mm_fusion_args_devicePfj15HIP_vector_typeIjLj3EEjjjS8_jjjS8_jjjj: ; @_ZL13mul_mat_vec_qIL9ggml_type3ELi1ELb1ELb0EEvPKvS2_PKi31ggml_cuda_mm_fusion_args_devicePfj15HIP_vector_typeIjLj3EEjjjS8_jjjS8_jjjj
; %bb.0:
	s_load_dwordx8 s[16:23], s[4:5], 0x0
	s_load_dwordx4 s[36:39], s[4:5], 0x20
	s_load_dwordx4 s[12:15], s[4:5], 0x40
	;; [unrolled: 1-line block ×3, first 2 shown]
	s_mov_b32 s34, s7
	s_waitcnt lgkmcnt(0)
	s_cmp_lg_u64 s[20:21], 0
	s_cselect_b64 s[0:1], -1, 0
	s_cmp_eq_u64 s[20:21], 0
	s_mov_b64 s[2:3], 0
	s_cbranch_scc1 .LBB27_5
; %bb.1:
	s_mov_b32 s35, 0
	s_lshl_b64 s[10:11], s[34:35], 2
	s_add_u32 s10, s20, s10
	s_addc_u32 s11, s21, s11
	s_load_dword s9, s[10:11], 0x0
	s_load_dword s33, s[4:5], 0x50
	;; [unrolled: 1-line block ×3, first 2 shown]
	s_andn2_b64 vcc, exec, s[2:3]
	s_cbranch_vccnz .LBB27_3
.LBB27_2:
	s_load_dwordx2 s[2:3], s[4:5], 0x5c
	s_waitcnt lgkmcnt(0)
	s_mul_hi_u32 s2, s2, s34
	s_add_i32 s2, s34, s2
	s_lshr_b32 s9, s2, s3
.LBB27_3:
	s_andn2_b64 vcc, exec, s[0:1]
	s_cbranch_vccnz .LBB27_6
; %bb.4:
	s_mul_hi_u32 s0, s13, s34
	s_add_i32 s0, s34, s0
	s_lshr_b32 s0, s0, s14
	s_mul_i32 s0, s0, s15
	s_sub_i32 s40, s34, s0
	s_waitcnt lgkmcnt(0)
	s_mov_b32 s2, s9
	s_branch .LBB27_7
.LBB27_5:
                                        ; implicit-def: $sgpr9
	s_load_dword s33, s[4:5], 0x50
	s_load_dword s35, s[4:5], 0x78
	s_branch .LBB27_2
.LBB27_6:
	s_mov_b32 s2, s34
	s_mov_b32 s40, s34
.LBB27_7:
	s_load_dwordx4 s[28:31], s[4:5], 0x80
	s_cmp_lg_u64 s[22:23], 0
	v_or_b32_e32 v2, v0, v1
	s_cselect_b64 s[0:1], -1, 0
	v_cmp_eq_u32_e32 vcc, 0, v2
	s_mov_b32 s15, 0
	s_and_b64 s[20:21], s[0:1], vcc
	v_mov_b32_e32 v11, 0
	s_mul_i32 s10, s2, s26
	v_lshlrev_b32_e32 v10, 2, v0
	v_mov_b32_e32 v12, 0
	s_and_saveexec_b64 s[2:3], s[20:21]
	s_cbranch_execz .LBB27_9
; %bb.8:
	s_waitcnt lgkmcnt(0)
	s_mul_i32 s14, s30, s8
	s_lshl_b64 s[20:21], s[14:15], 2
	s_add_u32 s7, s22, s20
	s_mov_b32 s11, s15
	s_addc_u32 s13, s23, s21
	s_lshl_b64 s[14:15], s[10:11], 2
	s_add_u32 s11, s7, s14
	s_addc_u32 s13, s13, s15
	s_ashr_i32 s7, s6, 31
	s_lshl_b64 s[14:15], s[6:7], 2
	s_add_u32 s14, s11, s14
	s_addc_u32 s15, s13, s15
	global_load_dword v12, v10, s[14:15]
.LBB27_9:
	s_or_b64 exec, exec, s[2:3]
	s_cmp_lg_u64 s[36:37], 0
	s_cselect_b64 s[14:15], -1, 0
	s_cmp_lg_u64 s[38:39], 0
	s_cselect_b64 s[2:3], -1, 0
	s_and_b64 s[20:21], s[2:3], s[14:15]
	s_and_b64 s[22:23], s[20:21], vcc
	s_and_saveexec_b64 s[20:21], s[22:23]
	s_cbranch_execz .LBB27_11
; %bb.10:
	s_waitcnt lgkmcnt(0)
	s_mul_i32 s22, s30, s8
	s_mov_b32 s23, 0
	s_lshl_b64 s[42:43], s[22:23], 2
	s_add_u32 s7, s38, s42
	s_mov_b32 s11, s23
	s_addc_u32 s13, s39, s43
	s_lshl_b64 s[10:11], s[10:11], 2
	s_add_u32 s22, s7, s10
	s_addc_u32 s13, s13, s11
	s_ashr_i32 s7, s6, 31
	s_lshl_b64 s[10:11], s[6:7], 2
	s_add_u32 s10, s22, s10
	s_addc_u32 s11, s13, s11
	global_load_dword v11, v10, s[10:11]
.LBB27_11:
	s_or_b64 exec, exec, s[20:21]
	v_lshlrev_b32_e32 v2, 6, v1
	v_add_u16_e32 v3, v2, v0
	s_lshr_b32 s7, s12, 5
	v_lshrrev_b16_e32 v15, 1, v3
	v_cndmask_b32_e64 v3, 0, 1, s[14:15]
	v_cmp_gt_u32_e32 vcc, s7, v15
	v_mov_b32_e32 v14, 0
	v_cmp_ne_u32_e64 s[12:13], 1, v3
	v_mov_b32_e32 v13, 0
	s_and_saveexec_b64 s[20:21], vcc
	s_cbranch_execz .LBB27_17
; %bb.12:
	s_mul_hi_u32 s22, s27, s8
	s_add_i32 s22, s8, s22
	s_waitcnt lgkmcnt(0)
	s_lshr_b32 s22, s22, s35
	s_mul_i32 s33, s33, s6
	s_mul_i32 s22, s22, s28
	;; [unrolled: 1-line block ×4, first 2 shown]
	s_add_i32 s22, s22, s33
	s_add_i32 s9, s9, s22
	s_mul_hi_u32 s23, s10, 36
	s_mul_i32 s10, s10, 36
	s_mul_i32 s11, s40, s25
	s_add_u32 s10, s18, s10
	s_mul_hi_u32 s22, s11, 36
	s_mul_i32 s11, s11, 36
	s_addc_u32 s18, s19, s23
	v_add_u32_e32 v2, v2, v0
	v_lshlrev_b32_e32 v3, 1, v0
	s_add_u32 s10, s10, s11
	v_and_b32_e32 v4, 2, v3
	v_and_b32_e32 v3, 1, v0
	v_lshrrev_b32_e32 v2, 1, v2
	s_addc_u32 s11, s18, s22
	v_lshlrev_b32_e32 v16, 3, v3
	v_mad_u64_u32 v[2:3], s[10:11], v2, 36, s[10:11]
	v_mov_b32_e32 v14, 0
	s_mov_b64 s[18:19], 0
	v_lshlrev_b32_e32 v17, 2, v4
	v_mov_b32_e32 v13, 0
	s_branch .LBB27_14
.LBB27_13:                              ;   in Loop: Header=BB27_14 Depth=1
	s_waitcnt vmcnt(4)
	v_and_b32_e32 v20, 0xf0f0f0f, v4
	v_lshrrev_b32_e32 v4, 4, v4
	v_and_b32_e32 v4, 0xf0f0f0f, v4
	s_waitcnt vmcnt(2)
	v_dot4_i32_i8 v6, v20, v6, 0
	s_waitcnt vmcnt(1)
	v_dot4_i32_i8 v4, v4, v8, v6
	v_and_b32_e32 v6, 0xf0f0f0f, v5
	v_lshrrev_b32_e32 v5, 4, v5
	v_and_b32_e32 v5, 0xf0f0f0f, v5
	v_dot4_i32_i8 v4, v6, v7, v4
	v_dot4_i32_i8 v4, v5, v9, v4
	s_waitcnt vmcnt(0)
	v_pk_mul_f16 v5, v18, v19
	v_cvt_f32_f16_sdwa v6, v5 dst_sel:DWORD dst_unused:UNUSED_PAD src0_sel:WORD_1
	v_cvt_f32_i32_e32 v4, v4
	v_add_u32_e32 v15, 64, v15
	v_add_co_u32_e32 v2, vcc, 0x900, v2
	v_mul_f32_e32 v6, 0.5, v6
	v_fma_mix_f32 v4, v4, v5, v6 op_sel_hi:[0,1,0]
	v_cmp_le_u32_e64 s[10:11], s7, v15
	v_add_f32_e32 v14, v14, v4
	s_or_b64 s[18:19], s[10:11], s[18:19]
	v_addc_co_u32_e32 v3, vcc, 0, v3, vcc
	s_andn2_b64 exec, exec, s[18:19]
	s_cbranch_execz .LBB27_16
.LBB27_14:                              ; =>This Inner Loop Header: Depth=1
	v_add_u32_e32 v20, s9, v15
	v_mad_i64_i32 v[21:22], s[10:11], v20, 20, s[16:17]
	v_add_co_u32_e32 v23, vcc, v21, v17
	v_addc_co_u32_e32 v24, vcc, 0, v22, vcc
	v_add_co_u32_e32 v25, vcc, v2, v16
	v_addc_co_u32_e32 v26, vcc, 0, v3, vcc
	global_load_dwordx2 v[4:5], v[23:24], off offset:4
	global_load_dword v18, v[21:22], off
	global_load_dwordx2 v[6:7], v[25:26], off offset:4
	global_load_dwordx2 v[8:9], v[25:26], off offset:20
	global_load_dword v19, v[2:3], off
	s_and_b64 vcc, exec, s[12:13]
	s_cbranch_vccnz .LBB27_13
; %bb.15:                               ;   in Loop: Header=BB27_14 Depth=1
	v_mad_i64_i32 v[20:21], s[10:11], v20, 20, s[36:37]
	v_add_co_u32_e32 v22, vcc, v20, v17
	v_addc_co_u32_e32 v23, vcc, 0, v21, vcc
	global_load_dwordx2 v[24:25], v[22:23], off offset:4
	global_load_dword v26, v[20:21], off
	s_waitcnt vmcnt(1)
	v_and_b32_e32 v20, 0xf0f0f0f, v24
	v_lshrrev_b32_e32 v21, 4, v24
	v_and_b32_e32 v21, 0xf0f0f0f, v21
	v_dot4_i32_i8 v20, v20, v6, 0
	v_and_b32_e32 v22, 0xf0f0f0f, v25
	v_lshrrev_b32_e32 v23, 4, v25
	v_dot4_i32_i8 v20, v21, v8, v20
	s_waitcnt vmcnt(0)
	v_pk_mul_f16 v24, v19, v26
	v_and_b32_e32 v23, 0xf0f0f0f, v23
	v_dot4_i32_i8 v20, v22, v7, v20
	v_dot4_i32_i8 v20, v23, v9, v20
	v_cvt_f32_f16_sdwa v21, v24 dst_sel:DWORD dst_unused:UNUSED_PAD src0_sel:WORD_1
	v_cvt_f32_i32_e32 v20, v20
	v_mul_f32_e32 v21, 0.5, v21
	v_fma_mix_f32 v20, v20, v24, v21 op_sel_hi:[0,1,0]
	v_add_f32_e32 v13, v13, v20
	s_branch .LBB27_13
.LBB27_16:
	s_or_b64 exec, exec, s[18:19]
.LBB27_17:
	s_or_b64 exec, exec, s[20:21]
	s_load_dword s7, s[4:5], 0x30
	v_cmp_eq_u32_e64 s[10:11], 0, v1
	v_cmp_ne_u32_e32 vcc, 0, v1
	s_and_saveexec_b64 s[16:17], vcc
	s_cbranch_execz .LBB27_21
; %bb.18:
	s_and_b64 vcc, exec, s[14:15]
	s_cbranch_vccz .LBB27_20
; %bb.19:
	v_lshl_add_u32 v2, v1, 8, v10
	ds_write_b32 v2, v13
.LBB27_20:
	v_lshlrev_b32_e32 v1, 8, v1
	s_waitcnt lgkmcnt(0)
	s_movk_i32 s9, 0xff00
	v_add3_u32 v1, v1, v10, s9
	ds_write_b32 v1, v14
.LBB27_21:
	s_or_b64 exec, exec, s[16:17]
	s_waitcnt vmcnt(0) lgkmcnt(0)
	s_barrier
	s_and_saveexec_b64 s[14:15], s[10:11]
	s_cbranch_execz .LBB27_50
; %bb.22:
	ds_read_b32 v2, v10
	s_and_b64 vcc, exec, s[12:13]
	s_cbranch_vccnz .LBB27_24
; %bb.23:
	ds_read_b32 v1, v10 offset:256
	s_waitcnt lgkmcnt(0)
	v_add_f32_e32 v13, v13, v1
.LBB27_24:
	v_mbcnt_lo_u32_b32 v1, -1, 0
	v_mbcnt_hi_u32_b32 v3, -1, v1
	v_and_b32_e32 v1, 64, v3
	v_add_u32_e32 v4, 64, v1
	v_xor_b32_e32 v1, 32, v3
	v_cmp_lt_i32_e32 vcc, v1, v4
	v_cndmask_b32_e32 v1, v3, v1, vcc
	v_lshlrev_b32_e32 v1, 2, v1
	s_waitcnt lgkmcnt(0)
	v_add_f32_e32 v5, v14, v2
	ds_bpermute_b32 v6, v1, v5
	v_xor_b32_e32 v2, 16, v3
	v_cmp_lt_i32_e32 vcc, v2, v4
	v_cndmask_b32_e32 v2, v3, v2, vcc
	v_lshlrev_b32_e32 v2, 2, v2
	s_waitcnt lgkmcnt(0)
	v_add_f32_e32 v6, v5, v6
	ds_bpermute_b32 v7, v2, v6
	;; [unrolled: 7-line block ×6, first 2 shown]
	s_and_b64 vcc, exec, s[12:13]
	s_cbranch_vccnz .LBB27_26
; %bb.25:
	ds_bpermute_b32 v1, v1, v13
	s_waitcnt lgkmcnt(0)
	v_add_f32_e32 v1, v13, v1
	ds_bpermute_b32 v2, v2, v1
	s_waitcnt lgkmcnt(0)
	v_add_f32_e32 v1, v1, v2
	;; [unrolled: 3-line block ×6, first 2 shown]
.LBB27_26:
	v_cmp_eq_u32_e32 vcc, 0, v0
	s_and_b64 exec, exec, vcc
	s_cbranch_execz .LBB27_50
; %bb.27:
	s_waitcnt lgkmcnt(0)
	v_add_f32_e32 v0, v3, v4
	v_add_f32_e32 v1, v12, v0
	s_and_b64 vcc, exec, s[12:13]
	v_cndmask_b32_e64 v0, v0, v1, s[0:1]
	s_cbranch_vccnz .LBB27_49
; %bb.28:
	v_add_f32_e32 v1, v11, v13
	v_cndmask_b32_e64 v1, v13, v1, s[2:3]
	s_cmp_lt_i32 s7, 2
	s_mov_b64 s[0:1], 0
	s_cbranch_scc1 .LBB27_32
; %bb.29:
	s_cmp_gt_i32 s7, 2
	s_cbranch_scc0 .LBB27_33
; %bb.30:
	s_cmp_eq_u32 s7, 3
	s_cbranch_scc0 .LBB27_34
; %bb.31:
	v_max_f32_e32 v2, v1, v1
	v_min_f32_e32 v2, 0x40e00000, v2
	v_mul_f32_e32 v3, 0xbfd9db23, v2
	s_mov_b32 s2, 0x3fb8aa3b
	v_mul_f32_e32 v4, 0x3fb8aa3b, v3
	v_fma_f32 v5, v3, s2, -v4
	v_rndne_f32_e32 v6, v4
	v_fmac_f32_e32 v5, 0x32a5705f, v3
	v_sub_f32_e32 v4, v4, v6
	v_add_f32_e32 v4, v4, v5
	v_exp_f32_e32 v4, v4
	v_cvt_i32_f32_e32 v5, v6
	s_mov_b32 s2, 0xc2ce8ed0
	v_cmp_ngt_f32_e32 vcc, s2, v3
	s_mov_b32 s2, 0x42b17218
	v_ldexp_f32 v4, v4, v5
	v_cndmask_b32_e32 v4, 0, v4, vcc
	v_mov_b32_e32 v5, 0x7f800000
	v_cmp_nlt_f32_e32 vcc, s2, v3
	v_cndmask_b32_e32 v3, v5, v4, vcc
	v_add_f32_e32 v3, 1.0, v3
	v_div_scale_f32 v4, s[2:3], v3, v3, v2
	v_div_scale_f32 v5, vcc, v2, v3, v2
	s_mov_b64 s[2:3], 0
	v_rcp_f32_e32 v6, v4
	v_fma_f32 v7, -v4, v6, 1.0
	v_fmac_f32_e32 v6, v7, v6
	v_mul_f32_e32 v7, v5, v6
	v_fma_f32 v8, -v4, v7, v5
	v_fmac_f32_e32 v7, v8, v6
	v_fma_f32 v4, -v4, v7, v5
	v_div_fmas_f32 v4, v4, v6, v7
	v_max_f32_e32 v5, v0, v0
	v_min_f32_e32 v5, 0x40e00000, v5
	v_max_f32_e32 v5, 0xc0e00000, v5
	v_add_f32_e32 v5, 1.0, v5
	v_div_fixup_f32 v2, v4, v3, v2
	v_mul_f32_e32 v2, v5, v2
	s_branch .LBB27_35
.LBB27_32:
                                        ; implicit-def: $vgpr2
	s_mov_b64 s[2:3], 0
	s_cbranch_execnz .LBB27_39
	s_branch .LBB27_40
.LBB27_33:
	s_mov_b64 s[10:11], -1
	s_mov_b64 s[2:3], 0
                                        ; implicit-def: $vgpr2
	s_branch .LBB27_36
.LBB27_34:
	s_mov_b64 s[2:3], -1
                                        ; implicit-def: $vgpr2
.LBB27_35:
	s_mov_b64 s[10:11], 0
.LBB27_36:
	s_and_b64 vcc, exec, s[10:11]
	s_cbranch_vccz .LBB27_38
; %bb.37:
	v_mul_f32_e32 v2, 0xbfb8aa3b, v1
	s_mov_b32 s9, 0xbfb8aa3b
	v_rndne_f32_e32 v3, v2
	v_sub_f32_e32 v4, v2, v3
	v_fma_f32 v2, v1, s9, -v2
	v_fmac_f32_e32 v2, 0xb2a5705f, v1
	v_add_f32_e32 v2, v4, v2
	v_exp_f32_e32 v2, v2
	v_cvt_i32_f32_e32 v3, v3
	s_mov_b32 s9, 0x42ce8ed0
	v_cmp_nlt_f32_e32 vcc, s9, v1
	s_mov_b32 s9, 0xc2b17218
	v_ldexp_f32 v2, v2, v3
	v_cndmask_b32_e32 v2, 0, v2, vcc
	v_mov_b32_e32 v3, 0x7f800000
	v_cmp_ngt_f32_e32 vcc, s9, v1
	v_cndmask_b32_e32 v2, v3, v2, vcc
	v_add_f32_e32 v2, 1.0, v2
	v_div_scale_f32 v3, s[10:11], v2, v2, v1
	v_div_scale_f32 v4, vcc, v1, v2, v1
	v_rcp_f32_e32 v5, v3
	v_fma_f32 v6, -v3, v5, 1.0
	v_fmac_f32_e32 v5, v6, v5
	v_mul_f32_e32 v6, v4, v5
	v_fma_f32 v7, -v3, v6, v4
	v_fmac_f32_e32 v6, v7, v5
	v_fma_f32 v3, -v3, v6, v4
	v_div_fmas_f32 v3, v3, v5, v6
	v_div_fixup_f32 v2, v3, v2, v1
	v_mul_f32_e32 v2, v0, v2
.LBB27_38:
	s_branch .LBB27_40
.LBB27_39:
	s_cmp_lg_u32 s7, 1
	s_mov_b64 s[0:1], -1
	s_cselect_b64 s[2:3], -1, 0
.LBB27_40:
	s_andn2_b64 vcc, exec, s[2:3]
	s_cbranch_vccz .LBB27_42
; %bb.41:
	s_andn2_b64 vcc, exec, s[0:1]
	s_cbranch_vccz .LBB27_43
	s_branch .LBB27_48
.LBB27_42:
	v_mul_f32_e32 v2, v1, v0
	s_cbranch_execnz .LBB27_48
.LBB27_43:
	v_mul_f32_e32 v3, 0x3d372713, v1
	v_mul_f32_e32 v2, 0x3f4c422a, v1
	v_fma_f32 v3, v1, v3, 1.0
	v_mul_f32_e32 v2, v2, v3
	s_mov_b32 s0, 0x3f200000
	v_cmp_nlt_f32_e64 s[0:1], |v2|, s0
                                        ; implicit-def: $vgpr3
	s_and_saveexec_b64 s[2:3], s[0:1]
	s_xor_b64 s[0:1], exec, s[2:3]
	s_cbranch_execz .LBB27_45
; %bb.44:
	v_add_f32_e64 v3, |v2|, |v2|
	v_mul_f32_e32 v4, 0x3fb8aa3b, v3
	s_mov_b32 s2, 0x3fb8aa3b
	v_rndne_f32_e32 v5, v4
	v_sub_f32_e32 v6, v4, v5
	v_fma_f32 v4, v3, s2, -v4
	v_fmac_f32_e32 v4, 0x32a5705f, v3
	v_add_f32_e32 v4, v6, v4
	v_exp_f32_e32 v4, v4
	v_cvt_i32_f32_e32 v5, v5
	s_mov_b32 s2, 0xc2ce8ed0
	v_cmp_ngt_f32_e32 vcc, s2, v3
	s_mov_b32 s2, 0x42b17218
	v_ldexp_f32 v4, v4, v5
	v_cndmask_b32_e32 v4, 0, v4, vcc
	v_mov_b32_e32 v5, 0x7f800000
	v_cmp_nlt_f32_e32 vcc, s2, v3
	v_cndmask_b32_e32 v3, v5, v4, vcc
	v_add_f32_e32 v3, 1.0, v3
	v_rcp_f32_e32 v3, v3
	v_fma_f32 v3, v3, -2.0, 1.0
.LBB27_45:
	s_andn2_saveexec_b64 s[0:1], s[0:1]
	s_cbranch_execz .LBB27_47
; %bb.46:
	v_mul_f32_e32 v3, v2, v2
	v_mov_b32_e32 v4, 0x3ca908c9
	v_fmac_f32_e32 v4, 0xbbbac73d, v3
	v_mov_b32_e32 v5, 0xbd5c1c4e
	v_fmac_f32_e32 v5, v3, v4
	v_mov_b32_e32 v4, 0x3e088382
	v_fmac_f32_e32 v4, v3, v5
	v_mov_b32_e32 v5, 0xbeaaaa99
	v_fmac_f32_e32 v5, v3, v4
	v_mul_f32_e64 v4, |v2|, v5
	v_fma_f32 v3, v3, v4, |v2|
.LBB27_47:
	s_or_b64 exec, exec, s[0:1]
	s_brev_b32 s0, -2
	v_bfi_b32 v2, s0, v3, v2
	v_mul_f32_e32 v1, 0.5, v1
	v_add_f32_e32 v2, 1.0, v2
	v_mul_f32_e32 v1, v1, v2
	v_mul_f32_e32 v2, v0, v1
.LBB27_48:
	v_mov_b32_e32 v0, v2
.LBB27_49:
	s_load_dwordx2 s[0:1], s[4:5], 0x38
	s_mul_i32 s3, s26, s34
	s_mul_i32 s2, s30, s8
	s_add_i32 s3, s3, s6
	s_add_i32 s2, s3, s2
	s_mov_b32 s3, 0
	s_lshl_b64 s[2:3], s[2:3], 2
	s_waitcnt lgkmcnt(0)
	s_add_u32 s0, s0, s2
	s_addc_u32 s1, s1, s3
	global_store_dword v10, v0, s[0:1]
.LBB27_50:
	s_endpgm
	.section	.rodata,"a",@progbits
	.p2align	6, 0x0
	.amdhsa_kernel _ZL13mul_mat_vec_qIL9ggml_type3ELi1ELb1ELb0EEvPKvS2_PKi31ggml_cuda_mm_fusion_args_devicePfj15HIP_vector_typeIjLj3EEjjjS8_jjjS8_jjjj
		.amdhsa_group_segment_fixed_size 512
		.amdhsa_private_segment_fixed_size 0
		.amdhsa_kernarg_size 144
		.amdhsa_user_sgpr_count 6
		.amdhsa_user_sgpr_private_segment_buffer 1
		.amdhsa_user_sgpr_dispatch_ptr 0
		.amdhsa_user_sgpr_queue_ptr 0
		.amdhsa_user_sgpr_kernarg_segment_ptr 1
		.amdhsa_user_sgpr_dispatch_id 0
		.amdhsa_user_sgpr_flat_scratch_init 0
		.amdhsa_user_sgpr_private_segment_size 0
		.amdhsa_uses_dynamic_stack 0
		.amdhsa_system_sgpr_private_segment_wavefront_offset 0
		.amdhsa_system_sgpr_workgroup_id_x 1
		.amdhsa_system_sgpr_workgroup_id_y 1
		.amdhsa_system_sgpr_workgroup_id_z 1
		.amdhsa_system_sgpr_workgroup_info 0
		.amdhsa_system_vgpr_workitem_id 1
		.amdhsa_next_free_vgpr 27
		.amdhsa_next_free_sgpr 44
		.amdhsa_reserve_vcc 1
		.amdhsa_reserve_flat_scratch 0
		.amdhsa_float_round_mode_32 0
		.amdhsa_float_round_mode_16_64 0
		.amdhsa_float_denorm_mode_32 3
		.amdhsa_float_denorm_mode_16_64 3
		.amdhsa_dx10_clamp 1
		.amdhsa_ieee_mode 1
		.amdhsa_fp16_overflow 0
		.amdhsa_exception_fp_ieee_invalid_op 0
		.amdhsa_exception_fp_denorm_src 0
		.amdhsa_exception_fp_ieee_div_zero 0
		.amdhsa_exception_fp_ieee_overflow 0
		.amdhsa_exception_fp_ieee_underflow 0
		.amdhsa_exception_fp_ieee_inexact 0
		.amdhsa_exception_int_div_zero 0
	.end_amdhsa_kernel
	.section	.text._ZL13mul_mat_vec_qIL9ggml_type3ELi1ELb1ELb0EEvPKvS2_PKi31ggml_cuda_mm_fusion_args_devicePfj15HIP_vector_typeIjLj3EEjjjS8_jjjS8_jjjj,"axG",@progbits,_ZL13mul_mat_vec_qIL9ggml_type3ELi1ELb1ELb0EEvPKvS2_PKi31ggml_cuda_mm_fusion_args_devicePfj15HIP_vector_typeIjLj3EEjjjS8_jjjS8_jjjj,comdat
.Lfunc_end27:
	.size	_ZL13mul_mat_vec_qIL9ggml_type3ELi1ELb1ELb0EEvPKvS2_PKi31ggml_cuda_mm_fusion_args_devicePfj15HIP_vector_typeIjLj3EEjjjS8_jjjS8_jjjj, .Lfunc_end27-_ZL13mul_mat_vec_qIL9ggml_type3ELi1ELb1ELb0EEvPKvS2_PKi31ggml_cuda_mm_fusion_args_devicePfj15HIP_vector_typeIjLj3EEjjjS8_jjjS8_jjjj
                                        ; -- End function
	.set _ZL13mul_mat_vec_qIL9ggml_type3ELi1ELb1ELb0EEvPKvS2_PKi31ggml_cuda_mm_fusion_args_devicePfj15HIP_vector_typeIjLj3EEjjjS8_jjjS8_jjjj.num_vgpr, 27
	.set _ZL13mul_mat_vec_qIL9ggml_type3ELi1ELb1ELb0EEvPKvS2_PKi31ggml_cuda_mm_fusion_args_devicePfj15HIP_vector_typeIjLj3EEjjjS8_jjjS8_jjjj.num_agpr, 0
	.set _ZL13mul_mat_vec_qIL9ggml_type3ELi1ELb1ELb0EEvPKvS2_PKi31ggml_cuda_mm_fusion_args_devicePfj15HIP_vector_typeIjLj3EEjjjS8_jjjS8_jjjj.numbered_sgpr, 44
	.set _ZL13mul_mat_vec_qIL9ggml_type3ELi1ELb1ELb0EEvPKvS2_PKi31ggml_cuda_mm_fusion_args_devicePfj15HIP_vector_typeIjLj3EEjjjS8_jjjS8_jjjj.num_named_barrier, 0
	.set _ZL13mul_mat_vec_qIL9ggml_type3ELi1ELb1ELb0EEvPKvS2_PKi31ggml_cuda_mm_fusion_args_devicePfj15HIP_vector_typeIjLj3EEjjjS8_jjjS8_jjjj.private_seg_size, 0
	.set _ZL13mul_mat_vec_qIL9ggml_type3ELi1ELb1ELb0EEvPKvS2_PKi31ggml_cuda_mm_fusion_args_devicePfj15HIP_vector_typeIjLj3EEjjjS8_jjjS8_jjjj.uses_vcc, 1
	.set _ZL13mul_mat_vec_qIL9ggml_type3ELi1ELb1ELb0EEvPKvS2_PKi31ggml_cuda_mm_fusion_args_devicePfj15HIP_vector_typeIjLj3EEjjjS8_jjjS8_jjjj.uses_flat_scratch, 0
	.set _ZL13mul_mat_vec_qIL9ggml_type3ELi1ELb1ELb0EEvPKvS2_PKi31ggml_cuda_mm_fusion_args_devicePfj15HIP_vector_typeIjLj3EEjjjS8_jjjS8_jjjj.has_dyn_sized_stack, 0
	.set _ZL13mul_mat_vec_qIL9ggml_type3ELi1ELb1ELb0EEvPKvS2_PKi31ggml_cuda_mm_fusion_args_devicePfj15HIP_vector_typeIjLj3EEjjjS8_jjjS8_jjjj.has_recursion, 0
	.set _ZL13mul_mat_vec_qIL9ggml_type3ELi1ELb1ELb0EEvPKvS2_PKi31ggml_cuda_mm_fusion_args_devicePfj15HIP_vector_typeIjLj3EEjjjS8_jjjS8_jjjj.has_indirect_call, 0
	.section	.AMDGPU.csdata,"",@progbits
; Kernel info:
; codeLenInByte = 2376
; TotalNumSgprs: 48
; NumVgprs: 27
; ScratchSize: 0
; MemoryBound: 0
; FloatMode: 240
; IeeeMode: 1
; LDSByteSize: 512 bytes/workgroup (compile time only)
; SGPRBlocks: 5
; VGPRBlocks: 6
; NumSGPRsForWavesPerEU: 48
; NumVGPRsForWavesPerEU: 27
; Occupancy: 9
; WaveLimiterHint : 0
; COMPUTE_PGM_RSRC2:SCRATCH_EN: 0
; COMPUTE_PGM_RSRC2:USER_SGPR: 6
; COMPUTE_PGM_RSRC2:TRAP_HANDLER: 0
; COMPUTE_PGM_RSRC2:TGID_X_EN: 1
; COMPUTE_PGM_RSRC2:TGID_Y_EN: 1
; COMPUTE_PGM_RSRC2:TGID_Z_EN: 1
; COMPUTE_PGM_RSRC2:TIDIG_COMP_CNT: 1
	.section	.text._ZL13mul_mat_vec_qIL9ggml_type3ELi1ELb0ELb0EEvPKvS2_PKi31ggml_cuda_mm_fusion_args_devicePfj15HIP_vector_typeIjLj3EEjjjS8_jjjS8_jjjj,"axG",@progbits,_ZL13mul_mat_vec_qIL9ggml_type3ELi1ELb0ELb0EEvPKvS2_PKi31ggml_cuda_mm_fusion_args_devicePfj15HIP_vector_typeIjLj3EEjjjS8_jjjS8_jjjj,comdat
	.globl	_ZL13mul_mat_vec_qIL9ggml_type3ELi1ELb0ELb0EEvPKvS2_PKi31ggml_cuda_mm_fusion_args_devicePfj15HIP_vector_typeIjLj3EEjjjS8_jjjS8_jjjj ; -- Begin function _ZL13mul_mat_vec_qIL9ggml_type3ELi1ELb0ELb0EEvPKvS2_PKi31ggml_cuda_mm_fusion_args_devicePfj15HIP_vector_typeIjLj3EEjjjS8_jjjS8_jjjj
	.p2align	8
	.type	_ZL13mul_mat_vec_qIL9ggml_type3ELi1ELb0ELb0EEvPKvS2_PKi31ggml_cuda_mm_fusion_args_devicePfj15HIP_vector_typeIjLj3EEjjjS8_jjjS8_jjjj,@function
_ZL13mul_mat_vec_qIL9ggml_type3ELi1ELb0ELb0EEvPKvS2_PKi31ggml_cuda_mm_fusion_args_devicePfj15HIP_vector_typeIjLj3EEjjjS8_jjjS8_jjjj: ; @_ZL13mul_mat_vec_qIL9ggml_type3ELi1ELb0ELb0EEvPKvS2_PKi31ggml_cuda_mm_fusion_args_devicePfj15HIP_vector_typeIjLj3EEjjjS8_jjjS8_jjjj
; %bb.0:
	s_load_dwordx2 s[0:1], s[4:5], 0x10
	s_load_dwordx4 s[16:19], s[4:5], 0x40
	s_mov_b32 s10, s7
	s_mov_b64 s[14:15], 0
	s_waitcnt lgkmcnt(0)
	s_cmp_lg_u64 s[0:1], 0
	s_cselect_b64 s[12:13], -1, 0
	s_cmp_eq_u64 s[0:1], 0
	s_cbranch_scc1 .LBB28_5
; %bb.1:
	s_mov_b32 s11, 0
	s_lshl_b64 s[2:3], s[10:11], 2
	s_add_u32 s0, s0, s2
	s_addc_u32 s1, s1, s3
	s_load_dword s9, s[0:1], 0x0
	s_nop 0
	s_load_dwordx4 s[0:3], s[4:5], 0x68
	s_load_dword s11, s[4:5], 0x50
	s_andn2_b64 vcc, exec, s[14:15]
	s_cbranch_vccnz .LBB28_3
.LBB28_2:
	s_load_dwordx2 s[14:15], s[4:5], 0x5c
	s_waitcnt lgkmcnt(0)
	s_mul_hi_u32 s7, s14, s10
	s_add_i32 s7, s10, s7
	s_lshr_b32 s9, s7, s15
.LBB28_3:
	s_load_dword s22, s[4:5], 0x78
	s_andn2_b64 vcc, exec, s[12:13]
	s_cbranch_vccnz .LBB28_6
; %bb.4:
	s_mul_hi_u32 s7, s17, s10
	s_add_i32 s7, s10, s7
	s_lshr_b32 s7, s7, s18
	s_mul_i32 s7, s7, s19
	s_sub_i32 s23, s10, s7
	s_branch .LBB28_7
.LBB28_5:
                                        ; implicit-def: $sgpr9
	s_load_dwordx4 s[0:3], s[4:5], 0x68
	s_load_dword s11, s[4:5], 0x50
	s_branch .LBB28_2
.LBB28_6:
	s_mov_b32 s23, s10
.LBB28_7:
	s_load_dwordx4 s[12:15], s[4:5], 0x80
	v_lshlrev_b32_e32 v2, 6, v1
	v_add_u16_e32 v3, v2, v0
	s_lshr_b32 s7, s16, 5
	v_lshrrev_b16_e32 v5, 1, v3
	v_cmp_gt_u32_e32 vcc, s7, v5
	v_mov_b32_e32 v4, 0
	s_and_saveexec_b64 s[20:21], vcc
	s_cbranch_execz .LBB28_11
; %bb.8:
	s_waitcnt lgkmcnt(0)
	s_mul_hi_u32 s3, s3, s8
	s_load_dwordx4 s[16:19], s[4:5], 0x0
	s_add_i32 s3, s8, s3
	s_lshr_b32 s3, s3, s22
	s_mul_i32 s11, s11, s6
	s_mul_i32 s3, s3, s12
	;; [unrolled: 1-line block ×4, first 2 shown]
	s_add_i32 s3, s3, s11
	s_add_i32 s3, s0, s3
	s_mul_hi_u32 s0, s13, 36
	s_mul_i32 s13, s13, 36
	s_mul_i32 s1, s23, s1
	s_waitcnt lgkmcnt(0)
	s_add_u32 s11, s18, s13
	s_mul_hi_u32 s9, s1, 36
	s_mul_i32 s1, s1, 36
	s_addc_u32 s12, s19, s0
	v_add_u32_e32 v2, v2, v0
	s_add_u32 s0, s11, s1
	v_lshlrev_b32_e32 v3, 1, v0
	v_lshrrev_b32_e32 v2, 1, v2
	s_addc_u32 s1, s12, s9
	v_and_b32_e32 v7, 2, v3
	v_mad_u64_u32 v[2:3], s[0:1], v2, 36, s[0:1]
	v_and_b32_e32 v6, 1, v0
	v_mov_b32_e32 v4, 0
	v_lshlrev_b32_e32 v6, 3, v6
	s_mov_b64 s[12:13], 0
	v_lshlrev_b32_e32 v7, 2, v7
.LBB28_9:                               ; =>This Inner Loop Header: Depth=1
	v_add_u32_e32 v10, s3, v5
	v_mad_i64_i32 v[10:11], s[0:1], v10, 20, s[16:17]
	v_add_co_u32_e32 v8, vcc, v2, v6
	v_addc_co_u32_e32 v9, vcc, 0, v3, vcc
	global_load_dwordx2 v[12:13], v[8:9], off offset:4
	global_load_dwordx2 v[14:15], v[8:9], off offset:20
	global_load_dword v18, v[2:3], off
	v_add_co_u32_e32 v8, vcc, v10, v7
	v_addc_co_u32_e32 v9, vcc, 0, v11, vcc
	global_load_dwordx2 v[16:17], v[8:9], off offset:4
	global_load_dword v19, v[10:11], off
	v_add_u32_e32 v5, 64, v5
	v_add_co_u32_e32 v2, vcc, 0x900, v2
	v_cmp_le_u32_e64 s[0:1], s7, v5
	v_addc_co_u32_e32 v3, vcc, 0, v3, vcc
	s_or_b64 s[12:13], s[0:1], s[12:13]
	s_waitcnt vmcnt(1)
	v_and_b32_e32 v8, 0xf0f0f0f, v16
	v_lshrrev_b32_e32 v9, 4, v16
	v_and_b32_e32 v9, 0xf0f0f0f, v9
	v_dot4_i32_i8 v8, v8, v12, 0
	v_and_b32_e32 v10, 0xf0f0f0f, v17
	v_lshrrev_b32_e32 v11, 4, v17
	v_dot4_i32_i8 v8, v9, v14, v8
	s_waitcnt vmcnt(0)
	v_pk_mul_f16 v16, v19, v18
	v_and_b32_e32 v11, 0xf0f0f0f, v11
	v_dot4_i32_i8 v8, v10, v13, v8
	v_cvt_f32_f16_sdwa v12, v16 dst_sel:DWORD dst_unused:UNUSED_PAD src0_sel:WORD_1
	v_dot4_i32_i8 v8, v11, v15, v8
	v_cvt_f32_i32_e32 v8, v8
	v_mul_f32_e32 v9, 0.5, v12
	v_fma_mix_f32 v8, v8, v16, v9 op_sel_hi:[0,1,0]
	v_add_f32_e32 v4, v4, v8
	s_andn2_b64 exec, exec, s[12:13]
	s_cbranch_execnz .LBB28_9
; %bb.10:
	s_or_b64 exec, exec, s[12:13]
.LBB28_11:
	s_or_b64 exec, exec, s[20:21]
	v_cmp_eq_u32_e32 vcc, 0, v1
	s_waitcnt lgkmcnt(0)
	v_cmp_ne_u32_e64 s[0:1], 0, v1
	v_lshlrev_b32_e32 v2, 2, v0
	s_and_saveexec_b64 s[12:13], s[0:1]
; %bb.12:
	v_lshlrev_b32_e32 v1, 8, v1
	s_movk_i32 s0, 0xff00
	v_add3_u32 v1, v1, v2, s0
	ds_write_b32 v1, v4
; %bb.13:
	s_or_b64 exec, exec, s[12:13]
	s_waitcnt lgkmcnt(0)
	s_barrier
	s_and_saveexec_b64 s[0:1], vcc
	s_cbranch_execz .LBB28_16
; %bb.14:
	ds_read_b32 v1, v2
	v_mbcnt_lo_u32_b32 v2, -1, 0
	v_mbcnt_hi_u32_b32 v2, -1, v2
	v_and_b32_e32 v3, 64, v2
	v_add_u32_e32 v3, 64, v3
	v_xor_b32_e32 v5, 32, v2
	v_cmp_lt_i32_e32 vcc, v5, v3
	v_cndmask_b32_e32 v5, v2, v5, vcc
	v_lshlrev_b32_e32 v5, 2, v5
	s_waitcnt lgkmcnt(0)
	v_add_f32_e32 v1, v4, v1
	ds_bpermute_b32 v4, v5, v1
	v_xor_b32_e32 v5, 16, v2
	v_cmp_lt_i32_e32 vcc, v5, v3
	v_cndmask_b32_e32 v5, v2, v5, vcc
	v_lshlrev_b32_e32 v5, 2, v5
	s_waitcnt lgkmcnt(0)
	v_add_f32_e32 v1, v1, v4
	ds_bpermute_b32 v4, v5, v1
	;; [unrolled: 7-line block ×6, first 2 shown]
	s_mov_b32 s1, 0
	v_cmp_eq_u32_e32 vcc, 0, v0
	s_and_b64 exec, exec, vcc
	s_cbranch_execz .LBB28_16
; %bb.15:
	s_load_dwordx2 s[4:5], s[4:5], 0x38
	s_mul_i32 s0, s2, s10
	s_add_i32 s0, s0, s6
	s_mul_i32 s2, s14, s8
	s_add_i32 s0, s0, s2
	s_lshl_b64 s[0:1], s[0:1], 2
	s_waitcnt lgkmcnt(0)
	s_add_u32 s0, s4, s0
	v_add_f32_e32 v0, v1, v2
	s_addc_u32 s1, s5, s1
	v_mov_b32_e32 v1, 0
	global_store_dword v1, v0, s[0:1]
.LBB28_16:
	s_endpgm
	.section	.rodata,"a",@progbits
	.p2align	6, 0x0
	.amdhsa_kernel _ZL13mul_mat_vec_qIL9ggml_type3ELi1ELb0ELb0EEvPKvS2_PKi31ggml_cuda_mm_fusion_args_devicePfj15HIP_vector_typeIjLj3EEjjjS8_jjjS8_jjjj
		.amdhsa_group_segment_fixed_size 256
		.amdhsa_private_segment_fixed_size 0
		.amdhsa_kernarg_size 144
		.amdhsa_user_sgpr_count 6
		.amdhsa_user_sgpr_private_segment_buffer 1
		.amdhsa_user_sgpr_dispatch_ptr 0
		.amdhsa_user_sgpr_queue_ptr 0
		.amdhsa_user_sgpr_kernarg_segment_ptr 1
		.amdhsa_user_sgpr_dispatch_id 0
		.amdhsa_user_sgpr_flat_scratch_init 0
		.amdhsa_user_sgpr_private_segment_size 0
		.amdhsa_uses_dynamic_stack 0
		.amdhsa_system_sgpr_private_segment_wavefront_offset 0
		.amdhsa_system_sgpr_workgroup_id_x 1
		.amdhsa_system_sgpr_workgroup_id_y 1
		.amdhsa_system_sgpr_workgroup_id_z 1
		.amdhsa_system_sgpr_workgroup_info 0
		.amdhsa_system_vgpr_workitem_id 1
		.amdhsa_next_free_vgpr 20
		.amdhsa_next_free_sgpr 24
		.amdhsa_reserve_vcc 1
		.amdhsa_reserve_flat_scratch 0
		.amdhsa_float_round_mode_32 0
		.amdhsa_float_round_mode_16_64 0
		.amdhsa_float_denorm_mode_32 3
		.amdhsa_float_denorm_mode_16_64 3
		.amdhsa_dx10_clamp 1
		.amdhsa_ieee_mode 1
		.amdhsa_fp16_overflow 0
		.amdhsa_exception_fp_ieee_invalid_op 0
		.amdhsa_exception_fp_denorm_src 0
		.amdhsa_exception_fp_ieee_div_zero 0
		.amdhsa_exception_fp_ieee_overflow 0
		.amdhsa_exception_fp_ieee_underflow 0
		.amdhsa_exception_fp_ieee_inexact 0
		.amdhsa_exception_int_div_zero 0
	.end_amdhsa_kernel
	.section	.text._ZL13mul_mat_vec_qIL9ggml_type3ELi1ELb0ELb0EEvPKvS2_PKi31ggml_cuda_mm_fusion_args_devicePfj15HIP_vector_typeIjLj3EEjjjS8_jjjS8_jjjj,"axG",@progbits,_ZL13mul_mat_vec_qIL9ggml_type3ELi1ELb0ELb0EEvPKvS2_PKi31ggml_cuda_mm_fusion_args_devicePfj15HIP_vector_typeIjLj3EEjjjS8_jjjS8_jjjj,comdat
.Lfunc_end28:
	.size	_ZL13mul_mat_vec_qIL9ggml_type3ELi1ELb0ELb0EEvPKvS2_PKi31ggml_cuda_mm_fusion_args_devicePfj15HIP_vector_typeIjLj3EEjjjS8_jjjS8_jjjj, .Lfunc_end28-_ZL13mul_mat_vec_qIL9ggml_type3ELi1ELb0ELb0EEvPKvS2_PKi31ggml_cuda_mm_fusion_args_devicePfj15HIP_vector_typeIjLj3EEjjjS8_jjjS8_jjjj
                                        ; -- End function
	.set _ZL13mul_mat_vec_qIL9ggml_type3ELi1ELb0ELb0EEvPKvS2_PKi31ggml_cuda_mm_fusion_args_devicePfj15HIP_vector_typeIjLj3EEjjjS8_jjjS8_jjjj.num_vgpr, 20
	.set _ZL13mul_mat_vec_qIL9ggml_type3ELi1ELb0ELb0EEvPKvS2_PKi31ggml_cuda_mm_fusion_args_devicePfj15HIP_vector_typeIjLj3EEjjjS8_jjjS8_jjjj.num_agpr, 0
	.set _ZL13mul_mat_vec_qIL9ggml_type3ELi1ELb0ELb0EEvPKvS2_PKi31ggml_cuda_mm_fusion_args_devicePfj15HIP_vector_typeIjLj3EEjjjS8_jjjS8_jjjj.numbered_sgpr, 24
	.set _ZL13mul_mat_vec_qIL9ggml_type3ELi1ELb0ELb0EEvPKvS2_PKi31ggml_cuda_mm_fusion_args_devicePfj15HIP_vector_typeIjLj3EEjjjS8_jjjS8_jjjj.num_named_barrier, 0
	.set _ZL13mul_mat_vec_qIL9ggml_type3ELi1ELb0ELb0EEvPKvS2_PKi31ggml_cuda_mm_fusion_args_devicePfj15HIP_vector_typeIjLj3EEjjjS8_jjjS8_jjjj.private_seg_size, 0
	.set _ZL13mul_mat_vec_qIL9ggml_type3ELi1ELb0ELb0EEvPKvS2_PKi31ggml_cuda_mm_fusion_args_devicePfj15HIP_vector_typeIjLj3EEjjjS8_jjjS8_jjjj.uses_vcc, 1
	.set _ZL13mul_mat_vec_qIL9ggml_type3ELi1ELb0ELb0EEvPKvS2_PKi31ggml_cuda_mm_fusion_args_devicePfj15HIP_vector_typeIjLj3EEjjjS8_jjjS8_jjjj.uses_flat_scratch, 0
	.set _ZL13mul_mat_vec_qIL9ggml_type3ELi1ELb0ELb0EEvPKvS2_PKi31ggml_cuda_mm_fusion_args_devicePfj15HIP_vector_typeIjLj3EEjjjS8_jjjS8_jjjj.has_dyn_sized_stack, 0
	.set _ZL13mul_mat_vec_qIL9ggml_type3ELi1ELb0ELb0EEvPKvS2_PKi31ggml_cuda_mm_fusion_args_devicePfj15HIP_vector_typeIjLj3EEjjjS8_jjjS8_jjjj.has_recursion, 0
	.set _ZL13mul_mat_vec_qIL9ggml_type3ELi1ELb0ELb0EEvPKvS2_PKi31ggml_cuda_mm_fusion_args_devicePfj15HIP_vector_typeIjLj3EEjjjS8_jjjS8_jjjj.has_indirect_call, 0
	.section	.AMDGPU.csdata,"",@progbits
; Kernel info:
; codeLenInByte = 952
; TotalNumSgprs: 28
; NumVgprs: 20
; ScratchSize: 0
; MemoryBound: 0
; FloatMode: 240
; IeeeMode: 1
; LDSByteSize: 256 bytes/workgroup (compile time only)
; SGPRBlocks: 3
; VGPRBlocks: 4
; NumSGPRsForWavesPerEU: 28
; NumVGPRsForWavesPerEU: 20
; Occupancy: 10
; WaveLimiterHint : 0
; COMPUTE_PGM_RSRC2:SCRATCH_EN: 0
; COMPUTE_PGM_RSRC2:USER_SGPR: 6
; COMPUTE_PGM_RSRC2:TRAP_HANDLER: 0
; COMPUTE_PGM_RSRC2:TGID_X_EN: 1
; COMPUTE_PGM_RSRC2:TGID_Y_EN: 1
; COMPUTE_PGM_RSRC2:TGID_Z_EN: 1
; COMPUTE_PGM_RSRC2:TIDIG_COMP_CNT: 1
	.section	.text._ZL13mul_mat_vec_qIL9ggml_type3ELi2ELb0ELb0EEvPKvS2_PKi31ggml_cuda_mm_fusion_args_devicePfj15HIP_vector_typeIjLj3EEjjjS8_jjjS8_jjjj,"axG",@progbits,_ZL13mul_mat_vec_qIL9ggml_type3ELi2ELb0ELb0EEvPKvS2_PKi31ggml_cuda_mm_fusion_args_devicePfj15HIP_vector_typeIjLj3EEjjjS8_jjjS8_jjjj,comdat
	.globl	_ZL13mul_mat_vec_qIL9ggml_type3ELi2ELb0ELb0EEvPKvS2_PKi31ggml_cuda_mm_fusion_args_devicePfj15HIP_vector_typeIjLj3EEjjjS8_jjjS8_jjjj ; -- Begin function _ZL13mul_mat_vec_qIL9ggml_type3ELi2ELb0ELb0EEvPKvS2_PKi31ggml_cuda_mm_fusion_args_devicePfj15HIP_vector_typeIjLj3EEjjjS8_jjjS8_jjjj
	.p2align	8
	.type	_ZL13mul_mat_vec_qIL9ggml_type3ELi2ELb0ELb0EEvPKvS2_PKi31ggml_cuda_mm_fusion_args_devicePfj15HIP_vector_typeIjLj3EEjjjS8_jjjS8_jjjj,@function
_ZL13mul_mat_vec_qIL9ggml_type3ELi2ELb0ELb0EEvPKvS2_PKi31ggml_cuda_mm_fusion_args_devicePfj15HIP_vector_typeIjLj3EEjjjS8_jjjS8_jjjj: ; @_ZL13mul_mat_vec_qIL9ggml_type3ELi2ELb0ELb0EEvPKvS2_PKi31ggml_cuda_mm_fusion_args_devicePfj15HIP_vector_typeIjLj3EEjjjS8_jjjS8_jjjj
; %bb.0:
	v_lshlrev_b32_e32 v2, 6, v1
	s_load_dword s9, s[4:5], 0x40
	s_load_dwordx4 s[0:3], s[4:5], 0x50
	s_load_dword s25, s[4:5], 0x60
	s_load_dwordx4 s[12:15], s[4:5], 0x68
	;; [unrolled: 2-line block ×3, first 2 shown]
	v_add_u16_e32 v2, v2, v0
	s_waitcnt lgkmcnt(0)
	s_lshr_b32 s9, s9, 5
	v_lshrrev_b16_e32 v8, 1, v2
	s_lshl_b32 s6, s6, 1
	v_cmp_gt_u32_e32 vcc, s9, v8
	v_mov_b32_e32 v7, 0
	v_mov_b32_e32 v6, 0
	;; [unrolled: 1-line block ×4, first 2 shown]
	s_and_saveexec_b64 s[10:11], vcc
	s_cbranch_execz .LBB29_4
; %bb.1:
	s_load_dwordx4 s[20:23], s[4:5], 0x0
	s_mul_i32 s17, s17, s8
	s_mul_hi_u32 s19, s17, 36
	s_mul_i32 s17, s17, 36
	s_mul_i32 s13, s13, s7
	s_waitcnt lgkmcnt(0)
	s_add_u32 s17, s22, s17
	s_addc_u32 s19, s23, s19
	s_mul_hi_u32 s23, s13, 36
	s_mul_i32 s13, s13, 36
	s_add_u32 s22, s17, s13
	s_mul_hi_u32 s3, s3, s7
	s_addc_u32 s23, s19, s23
	s_add_i32 s3, s7, s3
	s_lshr_b32 s3, s3, s25
	s_mul_i32 s3, s3, s12
	s_mul_hi_u32 s12, s15, s8
	s_add_i32 s12, s8, s12
	s_lshr_b32 s12, s12, s24
	s_mul_i32 s12, s12, s16
	v_lshlrev_b32_e32 v3, 1, v0
	s_add_i32 s13, s6, 1
	v_and_b32_e32 v5, 2, v3
	s_add_i32 s12, s12, s3
	s_mul_i32 s3, s6, s0
	s_mul_i32 s0, s0, s13
	v_and_b32_e32 v3, 1, v0
	v_lshrrev_b16_e32 v2, 1, v2
	s_add_i32 s3, s12, s3
	s_add_i32 s0, s12, s0
	v_lshlrev_b32_e32 v9, 3, v3
	v_mad_u64_u32 v[2:3], s[12:13], v2, 36, s[22:23]
	v_mov_b32_e32 v4, 0
	s_mov_b64 s[12:13], 0
	v_lshlrev_b32_e32 v10, 2, v5
	v_mov_b32_e32 v5, 0
	v_mov_b32_e32 v7, 0
	;; [unrolled: 1-line block ×3, first 2 shown]
.LBB29_2:                               ; =>This Inner Loop Header: Depth=1
	v_add_co_u32_e32 v11, vcc, v2, v9
	v_addc_co_u32_e32 v12, vcc, 0, v3, vcc
	v_add_u32_e32 v18, s0, v8
	global_load_dwordx2 v[13:14], v[11:12], off offset:4
	global_load_dwordx2 v[15:16], v[11:12], off offset:20
	v_mad_i64_i32 v[11:12], s[16:17], v18, 20, s[20:21]
	v_add_u32_e32 v17, s3, v8
	v_mad_i64_i32 v[17:18], s[16:17], v17, 20, s[20:21]
	v_add_co_u32_e32 v19, vcc, v11, v10
	v_addc_co_u32_e32 v20, vcc, 0, v12, vcc
	v_add_co_u32_e32 v21, vcc, v17, v10
	v_addc_co_u32_e32 v22, vcc, 0, v18, vcc
	global_load_dwordx2 v[23:24], v[19:20], off offset:4
	global_load_dwordx2 v[25:26], v[21:22], off offset:4
	global_load_dword v27, v[17:18], off
	global_load_dword v29, v[2:3], off
	s_waitcnt vmcnt(3)
	v_lshrrev_b32_e32 v18, 4, v23
	s_waitcnt vmcnt(2)
	v_lshrrev_b32_e32 v17, 4, v25
	v_and_b32_e32 v19, 0xf0f0f0f, v25
	v_and_b32_e32 v20, 0xf0f0f0f, v23
	;; [unrolled: 1-line block ×4, first 2 shown]
	v_dot4_i32_i8 v23, v19, v13, 0
	v_dot4_i32_i8 v13, v20, v13, 0
	v_and_b32_e32 v21, 0xf0f0f0f, v26
	v_and_b32_e32 v22, 0xf0f0f0f, v24
	v_dot4_i32_i8 v23, v17, v15, v23
	v_dot4_i32_i8 v13, v18, v15, v13
	;; [unrolled: 1-line block ×4, first 2 shown]
	v_add_u32_e32 v13, s1, v8
	v_mad_u64_u32 v[13:14], s[16:17], v13, 36, s[22:23]
	global_load_dword v25, v[11:12], off
	v_lshrrev_b32_e32 v26, 4, v26
	v_add_co_u32_e32 v11, vcc, v13, v10
	v_addc_co_u32_e32 v12, vcc, 0, v14, vcc
	global_load_dword v28, v[13:14], off
	v_lshrrev_b32_e32 v24, 4, v24
	global_load_dwordx2 v[13:14], v[11:12], off offset:4
	v_add_co_u32_e32 v2, vcc, 0x900, v2
	global_load_dwordx2 v[11:12], v[11:12], off offset:20
	v_add_u32_e32 v8, 64, v8
	v_addc_co_u32_e32 v3, vcc, 0, v3, vcc
	v_cmp_le_u32_e32 vcc, s9, v8
	s_or_b64 s[12:13], vcc, s[12:13]
	s_waitcnt vmcnt(3)
	v_pk_mul_f16 v30, v25, v29
	v_pk_mul_f16 v29, v27, v29
	s_waitcnt vmcnt(2)
	v_pk_mul_f16 v25, v25, v28
	v_pk_mul_f16 v27, v27, v28
	s_waitcnt vmcnt(1)
	v_dot4_i32_i8 v19, v19, v13, 0
	v_dot4_i32_i8 v13, v20, v13, 0
	v_and_b32_e32 v20, 0xf0f0f0f, v24
	s_waitcnt vmcnt(0)
	v_dot4_i32_i8 v17, v17, v11, v19
	v_dot4_i32_i8 v11, v18, v11, v13
	;; [unrolled: 1-line block ×3, first 2 shown]
	v_and_b32_e32 v19, 0xf0f0f0f, v26
	v_dot4_i32_i8 v11, v22, v14, v11
	v_cvt_f32_f16_sdwa v13, v30 dst_sel:DWORD dst_unused:UNUSED_PAD src0_sel:WORD_1
	v_cvt_f32_f16_sdwa v18, v25 dst_sel:DWORD dst_unused:UNUSED_PAD src0_sel:WORD_1
	;; [unrolled: 1-line block ×4, first 2 shown]
	v_dot4_i32_i8 v15, v19, v16, v15
	v_dot4_i32_i8 v16, v20, v16, v23
	;; [unrolled: 1-line block ×4, first 2 shown]
	v_cvt_f32_i32_e32 v15, v15
	v_cvt_f32_i32_e32 v16, v16
	;; [unrolled: 1-line block ×4, first 2 shown]
	v_mul_f32_e32 v12, 0.5, v13
	v_mul_f32_e32 v13, 0.5, v18
	;; [unrolled: 1-line block ×4, first 2 shown]
	v_fma_mix_f32 v14, v15, v29, v14 op_sel_hi:[0,1,0]
	v_fma_mix_f32 v12, v16, v30, v12 op_sel_hi:[0,1,0]
	;; [unrolled: 1-line block ×4, first 2 shown]
	v_add_f32_e32 v7, v7, v14
	v_add_f32_e32 v6, v6, v12
	;; [unrolled: 1-line block ×4, first 2 shown]
	s_andn2_b64 exec, exec, s[12:13]
	s_cbranch_execnz .LBB29_2
; %bb.3:
	s_or_b64 exec, exec, s[12:13]
.LBB29_4:
	s_or_b64 exec, exec, s[10:11]
	v_cmp_eq_u32_e32 vcc, 0, v1
	v_cmp_ne_u32_e64 s[0:1], 0, v1
	v_lshlrev_b32_e32 v2, 2, v0
	s_and_saveexec_b64 s[10:11], s[0:1]
	s_cbranch_execz .LBB29_6
; %bb.5:
	v_lshl_or_b32 v1, v1, 10, v2
	v_add_u32_e32 v1, 0xfffffc00, v1
	ds_write2st64_b32 v1, v7, v6 offset1:1
	ds_write2st64_b32 v1, v5, v4 offset0:2 offset1:3
.LBB29_6:
	s_or_b64 exec, exec, s[10:11]
	s_waitcnt lgkmcnt(0)
	s_barrier
	s_and_saveexec_b64 s[0:1], vcc
	s_cbranch_execz .LBB29_11
; %bb.7:
	v_mbcnt_lo_u32_b32 v1, -1, 0
	v_mbcnt_hi_u32_b32 v11, -1, v1
	ds_read2st64_b32 v[9:10], v2 offset1:1
	v_and_b32_e32 v1, 64, v11
	v_add_u32_e32 v12, 64, v1
	v_xor_b32_e32 v1, 32, v11
	v_cmp_lt_i32_e32 vcc, v1, v12
	v_cndmask_b32_e32 v1, v11, v1, vcc
	v_lshlrev_b32_e32 v1, 2, v1
	s_waitcnt lgkmcnt(0)
	v_add_f32_e32 v7, v9, v7
	v_add_f32_e32 v10, v10, v6
	ds_bpermute_b32 v9, v1, v7
	ds_bpermute_b32 v14, v1, v10
	v_xor_b32_e32 v3, 16, v11
	v_cmp_lt_i32_e32 vcc, v3, v12
	v_cndmask_b32_e32 v3, v11, v3, vcc
	v_lshlrev_b32_e32 v3, 2, v3
	s_waitcnt lgkmcnt(1)
	v_add_f32_e32 v7, v7, v9
	s_waitcnt lgkmcnt(0)
	v_add_f32_e32 v10, v10, v14
	ds_bpermute_b32 v9, v3, v7
	ds_bpermute_b32 v14, v3, v10
	v_xor_b32_e32 v8, 8, v11
	v_cmp_lt_i32_e32 vcc, v8, v12
	v_cndmask_b32_e32 v8, v11, v8, vcc
	v_lshlrev_b32_e32 v8, 2, v8
	s_waitcnt lgkmcnt(1)
	v_add_f32_e32 v9, v7, v9
	s_waitcnt lgkmcnt(0)
	;; [unrolled: 10-line block ×3, first 2 shown]
	v_add_f32_e32 v10, v10, v14
	ds_bpermute_b32 v15, v6, v9
	ds_bpermute_b32 v14, v6, v10
	v_xor_b32_e32 v13, 2, v11
	v_cmp_lt_i32_e32 vcc, v13, v12
	v_cndmask_b32_e32 v13, v11, v13, vcc
	v_lshlrev_b32_e32 v7, 2, v13
	v_xor_b32_e32 v13, 1, v11
	v_cmp_lt_i32_e32 vcc, v13, v12
	s_waitcnt lgkmcnt(1)
	v_add_f32_e32 v9, v9, v15
	s_waitcnt lgkmcnt(0)
	v_add_f32_e32 v10, v10, v14
	v_cndmask_b32_e32 v11, v11, v13, vcc
	ds_bpermute_b32 v12, v7, v9
	ds_bpermute_b32 v13, v7, v10
	s_load_dwordx2 s[0:1], s[4:5], 0x38
	s_mul_i32 s4, s14, s7
	v_lshlrev_b32_e32 v11, 2, v11
	s_waitcnt lgkmcnt(0)
	v_add_f32_e32 v9, v9, v12
	v_add_f32_e32 v10, v10, v13
	s_mul_i32 s3, s18, s8
	s_add_i32 s4, s4, s6
	ds_bpermute_b32 v12, v11, v9
	ds_bpermute_b32 v13, v11, v10
	s_add_i32 s4, s4, s3
	s_mov_b32 s5, 0
	s_lshl_b64 s[4:5], s[4:5], 2
	s_add_u32 s4, s0, s4
	v_add_u32_e32 v14, s6, v0
	s_addc_u32 s5, s1, s5
	v_cmp_gt_u32_e32 vcc, 2, v0
	v_cmp_gt_u32_e64 s[0:1], s2, v14
	s_and_b64 s[0:1], vcc, s[0:1]
	s_waitcnt lgkmcnt(1)
	v_add_f32_e32 v9, v9, v12
	s_waitcnt lgkmcnt(0)
	v_add_f32_e32 v10, v10, v13
	s_and_saveexec_b64 s[6:7], s[0:1]
	s_cbranch_execz .LBB29_9
; %bb.8:
	v_cmp_eq_u32_e32 vcc, 1, v0
	v_cndmask_b32_e32 v12, v9, v10, vcc
	v_cmp_eq_u32_e32 vcc, 2, v0
	v_cndmask_b32_e32 v12, v12, v5, vcc
	;; [unrolled: 2-line block ×3, first 2 shown]
	global_store_dword v2, v12, s[4:5]
.LBB29_9:
	s_or_b64 exec, exec, s[6:7]
	ds_read2st64_b32 v[12:13], v2 offset0:2 offset1:3
	s_waitcnt lgkmcnt(0)
	v_add_f32_e32 v2, v12, v5
	v_add_f32_e32 v4, v13, v4
	ds_bpermute_b32 v5, v1, v2
	ds_bpermute_b32 v1, v1, v4
	s_waitcnt lgkmcnt(1)
	v_add_f32_e32 v2, v2, v5
	s_waitcnt lgkmcnt(0)
	v_add_f32_e32 v1, v4, v1
	ds_bpermute_b32 v4, v3, v2
	ds_bpermute_b32 v3, v3, v1
	s_waitcnt lgkmcnt(1)
	v_add_f32_e32 v2, v2, v4
	s_waitcnt lgkmcnt(0)
	;; [unrolled: 6-line block ×5, first 2 shown]
	v_add_f32_e32 v2, v3, v4
	ds_bpermute_b32 v3, v11, v1
	ds_bpermute_b32 v4, v11, v2
	s_and_b64 exec, exec, s[0:1]
	s_cbranch_execz .LBB29_11
; %bb.10:
	s_waitcnt lgkmcnt(1)
	v_add_f32_e32 v1, v1, v3
	v_add_u32_e32 v3, 2, v0
	v_cmp_eq_u32_e32 vcc, 1, v3
	s_waitcnt lgkmcnt(0)
	v_add_f32_e32 v2, v2, v4
	v_cndmask_b32_e32 v4, v9, v10, vcc
	v_cmp_eq_u32_e32 vcc, 2, v3
	v_cndmask_b32_e32 v1, v4, v1, vcc
	v_cmp_eq_u32_e32 vcc, 3, v3
	v_cndmask_b32_e32 v2, v1, v2, vcc
	v_add_u32_e32 v0, s2, v0
	v_mov_b32_e32 v1, 0
	v_lshlrev_b64 v[0:1], 2, v[0:1]
	v_mov_b32_e32 v3, s5
	v_add_co_u32_e32 v0, vcc, s4, v0
	v_addc_co_u32_e32 v1, vcc, v3, v1, vcc
	global_store_dword v[0:1], v2, off
.LBB29_11:
	s_endpgm
	.section	.rodata,"a",@progbits
	.p2align	6, 0x0
	.amdhsa_kernel _ZL13mul_mat_vec_qIL9ggml_type3ELi2ELb0ELb0EEvPKvS2_PKi31ggml_cuda_mm_fusion_args_devicePfj15HIP_vector_typeIjLj3EEjjjS8_jjjS8_jjjj
		.amdhsa_group_segment_fixed_size 1024
		.amdhsa_private_segment_fixed_size 0
		.amdhsa_kernarg_size 144
		.amdhsa_user_sgpr_count 6
		.amdhsa_user_sgpr_private_segment_buffer 1
		.amdhsa_user_sgpr_dispatch_ptr 0
		.amdhsa_user_sgpr_queue_ptr 0
		.amdhsa_user_sgpr_kernarg_segment_ptr 1
		.amdhsa_user_sgpr_dispatch_id 0
		.amdhsa_user_sgpr_flat_scratch_init 0
		.amdhsa_user_sgpr_private_segment_size 0
		.amdhsa_uses_dynamic_stack 0
		.amdhsa_system_sgpr_private_segment_wavefront_offset 0
		.amdhsa_system_sgpr_workgroup_id_x 1
		.amdhsa_system_sgpr_workgroup_id_y 1
		.amdhsa_system_sgpr_workgroup_id_z 1
		.amdhsa_system_sgpr_workgroup_info 0
		.amdhsa_system_vgpr_workitem_id 1
		.amdhsa_next_free_vgpr 31
		.amdhsa_next_free_sgpr 26
		.amdhsa_reserve_vcc 1
		.amdhsa_reserve_flat_scratch 0
		.amdhsa_float_round_mode_32 0
		.amdhsa_float_round_mode_16_64 0
		.amdhsa_float_denorm_mode_32 3
		.amdhsa_float_denorm_mode_16_64 3
		.amdhsa_dx10_clamp 1
		.amdhsa_ieee_mode 1
		.amdhsa_fp16_overflow 0
		.amdhsa_exception_fp_ieee_invalid_op 0
		.amdhsa_exception_fp_denorm_src 0
		.amdhsa_exception_fp_ieee_div_zero 0
		.amdhsa_exception_fp_ieee_overflow 0
		.amdhsa_exception_fp_ieee_underflow 0
		.amdhsa_exception_fp_ieee_inexact 0
		.amdhsa_exception_int_div_zero 0
	.end_amdhsa_kernel
	.section	.text._ZL13mul_mat_vec_qIL9ggml_type3ELi2ELb0ELb0EEvPKvS2_PKi31ggml_cuda_mm_fusion_args_devicePfj15HIP_vector_typeIjLj3EEjjjS8_jjjS8_jjjj,"axG",@progbits,_ZL13mul_mat_vec_qIL9ggml_type3ELi2ELb0ELb0EEvPKvS2_PKi31ggml_cuda_mm_fusion_args_devicePfj15HIP_vector_typeIjLj3EEjjjS8_jjjS8_jjjj,comdat
.Lfunc_end29:
	.size	_ZL13mul_mat_vec_qIL9ggml_type3ELi2ELb0ELb0EEvPKvS2_PKi31ggml_cuda_mm_fusion_args_devicePfj15HIP_vector_typeIjLj3EEjjjS8_jjjS8_jjjj, .Lfunc_end29-_ZL13mul_mat_vec_qIL9ggml_type3ELi2ELb0ELb0EEvPKvS2_PKi31ggml_cuda_mm_fusion_args_devicePfj15HIP_vector_typeIjLj3EEjjjS8_jjjS8_jjjj
                                        ; -- End function
	.set _ZL13mul_mat_vec_qIL9ggml_type3ELi2ELb0ELb0EEvPKvS2_PKi31ggml_cuda_mm_fusion_args_devicePfj15HIP_vector_typeIjLj3EEjjjS8_jjjS8_jjjj.num_vgpr, 31
	.set _ZL13mul_mat_vec_qIL9ggml_type3ELi2ELb0ELb0EEvPKvS2_PKi31ggml_cuda_mm_fusion_args_devicePfj15HIP_vector_typeIjLj3EEjjjS8_jjjS8_jjjj.num_agpr, 0
	.set _ZL13mul_mat_vec_qIL9ggml_type3ELi2ELb0ELb0EEvPKvS2_PKi31ggml_cuda_mm_fusion_args_devicePfj15HIP_vector_typeIjLj3EEjjjS8_jjjS8_jjjj.numbered_sgpr, 26
	.set _ZL13mul_mat_vec_qIL9ggml_type3ELi2ELb0ELb0EEvPKvS2_PKi31ggml_cuda_mm_fusion_args_devicePfj15HIP_vector_typeIjLj3EEjjjS8_jjjS8_jjjj.num_named_barrier, 0
	.set _ZL13mul_mat_vec_qIL9ggml_type3ELi2ELb0ELb0EEvPKvS2_PKi31ggml_cuda_mm_fusion_args_devicePfj15HIP_vector_typeIjLj3EEjjjS8_jjjS8_jjjj.private_seg_size, 0
	.set _ZL13mul_mat_vec_qIL9ggml_type3ELi2ELb0ELb0EEvPKvS2_PKi31ggml_cuda_mm_fusion_args_devicePfj15HIP_vector_typeIjLj3EEjjjS8_jjjS8_jjjj.uses_vcc, 1
	.set _ZL13mul_mat_vec_qIL9ggml_type3ELi2ELb0ELb0EEvPKvS2_PKi31ggml_cuda_mm_fusion_args_devicePfj15HIP_vector_typeIjLj3EEjjjS8_jjjS8_jjjj.uses_flat_scratch, 0
	.set _ZL13mul_mat_vec_qIL9ggml_type3ELi2ELb0ELb0EEvPKvS2_PKi31ggml_cuda_mm_fusion_args_devicePfj15HIP_vector_typeIjLj3EEjjjS8_jjjS8_jjjj.has_dyn_sized_stack, 0
	.set _ZL13mul_mat_vec_qIL9ggml_type3ELi2ELb0ELb0EEvPKvS2_PKi31ggml_cuda_mm_fusion_args_devicePfj15HIP_vector_typeIjLj3EEjjjS8_jjjS8_jjjj.has_recursion, 0
	.set _ZL13mul_mat_vec_qIL9ggml_type3ELi2ELb0ELb0EEvPKvS2_PKi31ggml_cuda_mm_fusion_args_devicePfj15HIP_vector_typeIjLj3EEjjjS8_jjjS8_jjjj.has_indirect_call, 0
	.section	.AMDGPU.csdata,"",@progbits
; Kernel info:
; codeLenInByte = 1620
; TotalNumSgprs: 30
; NumVgprs: 31
; ScratchSize: 0
; MemoryBound: 0
; FloatMode: 240
; IeeeMode: 1
; LDSByteSize: 1024 bytes/workgroup (compile time only)
; SGPRBlocks: 3
; VGPRBlocks: 7
; NumSGPRsForWavesPerEU: 30
; NumVGPRsForWavesPerEU: 31
; Occupancy: 8
; WaveLimiterHint : 0
; COMPUTE_PGM_RSRC2:SCRATCH_EN: 0
; COMPUTE_PGM_RSRC2:USER_SGPR: 6
; COMPUTE_PGM_RSRC2:TRAP_HANDLER: 0
; COMPUTE_PGM_RSRC2:TGID_X_EN: 1
; COMPUTE_PGM_RSRC2:TGID_Y_EN: 1
; COMPUTE_PGM_RSRC2:TGID_Z_EN: 1
; COMPUTE_PGM_RSRC2:TIDIG_COMP_CNT: 1
	.section	.text._ZL13mul_mat_vec_qIL9ggml_type3ELi3ELb0ELb0EEvPKvS2_PKi31ggml_cuda_mm_fusion_args_devicePfj15HIP_vector_typeIjLj3EEjjjS8_jjjS8_jjjj,"axG",@progbits,_ZL13mul_mat_vec_qIL9ggml_type3ELi3ELb0ELb0EEvPKvS2_PKi31ggml_cuda_mm_fusion_args_devicePfj15HIP_vector_typeIjLj3EEjjjS8_jjjS8_jjjj,comdat
	.globl	_ZL13mul_mat_vec_qIL9ggml_type3ELi3ELb0ELb0EEvPKvS2_PKi31ggml_cuda_mm_fusion_args_devicePfj15HIP_vector_typeIjLj3EEjjjS8_jjjS8_jjjj ; -- Begin function _ZL13mul_mat_vec_qIL9ggml_type3ELi3ELb0ELb0EEvPKvS2_PKi31ggml_cuda_mm_fusion_args_devicePfj15HIP_vector_typeIjLj3EEjjjS8_jjjS8_jjjj
	.p2align	8
	.type	_ZL13mul_mat_vec_qIL9ggml_type3ELi3ELb0ELb0EEvPKvS2_PKi31ggml_cuda_mm_fusion_args_devicePfj15HIP_vector_typeIjLj3EEjjjS8_jjjS8_jjjj,@function
_ZL13mul_mat_vec_qIL9ggml_type3ELi3ELb0ELb0EEvPKvS2_PKi31ggml_cuda_mm_fusion_args_devicePfj15HIP_vector_typeIjLj3EEjjjS8_jjjS8_jjjj: ; @_ZL13mul_mat_vec_qIL9ggml_type3ELi3ELb0ELb0EEvPKvS2_PKi31ggml_cuda_mm_fusion_args_devicePfj15HIP_vector_typeIjLj3EEjjjS8_jjjS8_jjjj
; %bb.0:
	v_lshlrev_b32_e32 v2, 6, v1
	s_load_dword s9, s[4:5], 0x40
	s_load_dwordx4 s[0:3], s[4:5], 0x50
	s_load_dword s25, s[4:5], 0x60
	s_load_dwordx4 s[12:15], s[4:5], 0x68
	;; [unrolled: 2-line block ×3, first 2 shown]
	v_add_u16_e32 v2, v2, v0
	s_waitcnt lgkmcnt(0)
	s_lshr_b32 s9, s9, 5
	v_lshrrev_b16_e32 v10, 1, v2
	v_mov_b32_e32 v8, 0
	s_lshl_b32 s6, s6, 1
	v_cmp_gt_u32_e32 vcc, s9, v10
	v_mov_b32_e32 v9, 0
	v_mov_b32_e32 v7, 0
	;; [unrolled: 1-line block ×5, first 2 shown]
	s_and_saveexec_b64 s[10:11], vcc
	s_cbranch_execz .LBB30_4
; %bb.1:
	s_load_dwordx4 s[20:23], s[4:5], 0x0
	s_mul_i32 s17, s17, s8
	s_mul_hi_u32 s19, s17, 36
	s_mul_i32 s17, s17, 36
	s_mul_i32 s13, s13, s7
	s_waitcnt lgkmcnt(0)
	s_add_u32 s17, s22, s17
	s_addc_u32 s19, s23, s19
	s_mul_hi_u32 s23, s13, 36
	s_mul_i32 s13, s13, 36
	s_add_u32 s22, s17, s13
	s_mul_hi_u32 s3, s3, s7
	s_addc_u32 s23, s19, s23
	s_add_i32 s3, s7, s3
	s_lshr_b32 s3, s3, s25
	s_mul_i32 s3, s3, s12
	s_mul_hi_u32 s12, s15, s8
	s_add_i32 s12, s8, s12
	s_lshr_b32 s12, s12, s24
	s_mul_i32 s12, s12, s16
	v_lshlrev_b32_e32 v3, 1, v0
	s_add_i32 s13, s6, 1
	v_and_b32_e32 v5, 2, v3
	s_add_i32 s12, s12, s3
	s_mul_i32 s3, s6, s0
	s_mul_i32 s0, s0, s13
	v_and_b32_e32 v3, 1, v0
	v_lshrrev_b16_e32 v2, 1, v2
	s_add_i32 s3, s12, s3
	s_add_i32 s0, s12, s0
	v_lshlrev_b32_e32 v11, 3, v3
	v_mad_u64_u32 v[2:3], s[12:13], v2, 36, s[22:23]
	v_mov_b32_e32 v4, 0
	s_lshl_b32 s15, s1, 1
	s_mov_b64 s[12:13], 0
	v_lshlrev_b32_e32 v12, 2, v5
	v_mov_b32_e32 v5, v4
	v_mov_b32_e32 v6, v4
	;; [unrolled: 1-line block ×5, first 2 shown]
.LBB30_2:                               ; =>This Inner Loop Header: Depth=1
	v_add_co_u32_e32 v13, vcc, v2, v11
	v_add_u32_e32 v19, s3, v10
	v_addc_co_u32_e32 v14, vcc, 0, v3, vcc
	global_load_dwordx2 v[15:16], v[13:14], off offset:4
	global_load_dwordx2 v[17:18], v[13:14], off offset:20
	global_load_dword v23, v[2:3], off
	v_mad_i64_i32 v[13:14], s[16:17], v19, 20, s[20:21]
	v_add_co_u32_e32 v19, vcc, v13, v12
	v_addc_co_u32_e32 v20, vcc, 0, v14, vcc
	global_load_dwordx2 v[21:22], v[19:20], off offset:4
	global_load_dword v24, v[13:14], off
	s_waitcnt vmcnt(1)
	v_and_b32_e32 v25, 0xf0f0f0f, v21
	v_lshrrev_b32_e32 v13, 4, v21
	v_and_b32_e32 v26, 0xf0f0f0f, v13
	v_dot4_i32_i8 v13, v25, v15, 0
	v_dot4_i32_i8 v13, v26, v17, v13
	v_and_b32_e32 v27, 0xf0f0f0f, v22
	v_lshrrev_b32_e32 v14, 4, v22
	v_and_b32_e32 v28, 0xf0f0f0f, v14
	v_dot4_i32_i8 v13, v27, v16, v13
	s_waitcnt vmcnt(0)
	v_pk_mul_f16 v14, v24, v23
	v_dot4_i32_i8 v13, v28, v18, v13
	v_cvt_f32_f16_sdwa v19, v14 dst_sel:DWORD dst_unused:UNUSED_PAD src0_sel:WORD_1
	v_cvt_f32_i32_e32 v13, v13
	v_mul_f32_e32 v19, 0.5, v19
	v_fma_mix_f32 v13, v13, v14, v19 op_sel_hi:[0,1,0]
	v_add_f32_e32 v9, v9, v13
	v_add_u32_e32 v13, s0, v10
	v_mad_i64_i32 v[13:14], s[16:17], v13, 20, s[20:21]
	v_add_co_u32_e32 v19, vcc, v13, v12
	v_addc_co_u32_e32 v20, vcc, 0, v14, vcc
	global_load_dwordx2 v[21:22], v[19:20], off offset:4
	global_load_dword v29, v[13:14], off
	s_waitcnt vmcnt(1)
	v_and_b32_e32 v30, 0xf0f0f0f, v21
	v_lshrrev_b32_e32 v13, 4, v21
	v_and_b32_e32 v21, 0xf0f0f0f, v13
	v_dot4_i32_i8 v13, v30, v15, 0
	v_dot4_i32_i8 v13, v21, v17, v13
	v_and_b32_e32 v31, 0xf0f0f0f, v22
	v_lshrrev_b32_e32 v14, 4, v22
	v_and_b32_e32 v22, 0xf0f0f0f, v14
	v_dot4_i32_i8 v13, v31, v16, v13
	s_waitcnt vmcnt(0)
	v_pk_mul_f16 v14, v29, v23
	v_dot4_i32_i8 v13, v22, v18, v13
	v_cvt_f32_f16_sdwa v15, v14 dst_sel:DWORD dst_unused:UNUSED_PAD src0_sel:WORD_1
	v_cvt_f32_i32_e32 v13, v13
	v_mul_f32_e32 v15, 0.5, v15
	v_fma_mix_f32 v13, v13, v14, v15 op_sel_hi:[0,1,0]
	v_add_f32_e32 v8, v8, v13
	v_add_u32_e32 v13, s1, v10
	v_mad_u64_u32 v[13:14], s[16:17], v13, 36, s[22:23]
	v_add_co_u32_e32 v15, vcc, v13, v12
	v_addc_co_u32_e32 v16, vcc, 0, v14, vcc
	global_load_dwordx2 v[17:18], v[15:16], off offset:4
	global_load_dwordx2 v[19:20], v[15:16], off offset:20
	global_load_dword v23, v[13:14], off
	s_waitcnt vmcnt(2)
	v_dot4_i32_i8 v13, v25, v17, 0
	s_waitcnt vmcnt(1)
	v_dot4_i32_i8 v13, v26, v19, v13
	v_dot4_i32_i8 v13, v27, v18, v13
	s_waitcnt vmcnt(0)
	v_pk_mul_f16 v14, v24, v23
	v_dot4_i32_i8 v13, v28, v20, v13
	v_cvt_f32_f16_sdwa v15, v14 dst_sel:DWORD dst_unused:UNUSED_PAD src0_sel:WORD_1
	v_cvt_f32_i32_e32 v13, v13
	v_mul_f32_e32 v15, 0.5, v15
	v_fma_mix_f32 v13, v13, v14, v15 op_sel_hi:[0,1,0]
	v_add_f32_e32 v7, v7, v13
	v_dot4_i32_i8 v13, v30, v17, 0
	v_dot4_i32_i8 v13, v21, v19, v13
	;; [unrolled: 1-line block ×3, first 2 shown]
	v_pk_mul_f16 v14, v29, v23
	v_dot4_i32_i8 v13, v22, v20, v13
	v_cvt_f32_f16_sdwa v15, v14 dst_sel:DWORD dst_unused:UNUSED_PAD src0_sel:WORD_1
	v_cvt_f32_i32_e32 v13, v13
	v_mul_f32_e32 v15, 0.5, v15
	v_fma_mix_f32 v13, v13, v14, v15 op_sel_hi:[0,1,0]
	v_add_f32_e32 v6, v6, v13
	v_add_u32_e32 v13, s15, v10
	v_mad_u64_u32 v[13:14], s[16:17], v13, 36, s[22:23]
	v_add_u32_e32 v10, 64, v10
	v_add_co_u32_e32 v15, vcc, v13, v12
	v_addc_co_u32_e32 v16, vcc, 0, v14, vcc
	global_load_dwordx2 v[17:18], v[15:16], off offset:4
	global_load_dwordx2 v[19:20], v[15:16], off offset:20
	global_load_dword v23, v[13:14], off
	v_add_co_u32_e32 v2, vcc, 0x900, v2
	v_addc_co_u32_e32 v3, vcc, 0, v3, vcc
	v_cmp_le_u32_e32 vcc, s9, v10
	s_or_b64 s[12:13], vcc, s[12:13]
	s_waitcnt vmcnt(2)
	v_dot4_i32_i8 v13, v25, v17, 0
	s_waitcnt vmcnt(1)
	v_dot4_i32_i8 v13, v26, v19, v13
	v_dot4_i32_i8 v13, v27, v18, v13
	s_waitcnt vmcnt(0)
	v_pk_mul_f16 v14, v24, v23
	v_dot4_i32_i8 v13, v28, v20, v13
	v_cvt_f32_f16_sdwa v15, v14 dst_sel:DWORD dst_unused:UNUSED_PAD src0_sel:WORD_1
	v_cvt_f32_i32_e32 v13, v13
	v_mul_f32_e32 v15, 0.5, v15
	v_fma_mix_f32 v13, v13, v14, v15 op_sel_hi:[0,1,0]
	v_add_f32_e32 v5, v5, v13
	v_dot4_i32_i8 v13, v30, v17, 0
	v_dot4_i32_i8 v13, v21, v19, v13
	;; [unrolled: 1-line block ×3, first 2 shown]
	v_pk_mul_f16 v14, v29, v23
	v_dot4_i32_i8 v13, v22, v20, v13
	v_cvt_f32_f16_sdwa v15, v14 dst_sel:DWORD dst_unused:UNUSED_PAD src0_sel:WORD_1
	v_cvt_f32_i32_e32 v13, v13
	v_mul_f32_e32 v15, 0.5, v15
	v_fma_mix_f32 v13, v13, v14, v15 op_sel_hi:[0,1,0]
	v_add_f32_e32 v4, v4, v13
	s_andn2_b64 exec, exec, s[12:13]
	s_cbranch_execnz .LBB30_2
; %bb.3:
	s_or_b64 exec, exec, s[12:13]
.LBB30_4:
	s_or_b64 exec, exec, s[10:11]
	v_cmp_eq_u32_e32 vcc, 0, v1
	v_cmp_ne_u32_e64 s[0:1], 0, v1
	s_and_saveexec_b64 s[10:11], s[0:1]
	s_cbranch_execz .LBB30_6
; %bb.5:
	v_mul_u32_u24_e32 v1, 0x600, v1
	v_lshl_or_b32 v1, v0, 2, v1
	v_add_u32_e32 v1, 0xfffffa00, v1
	ds_write2st64_b32 v1, v9, v8 offset1:1
	ds_write2st64_b32 v1, v7, v6 offset0:2 offset1:3
	ds_write2st64_b32 v1, v5, v4 offset0:4 offset1:5
.LBB30_6:
	s_or_b64 exec, exec, s[10:11]
	s_waitcnt lgkmcnt(0)
	s_barrier
	s_and_saveexec_b64 s[0:1], vcc
	s_cbranch_execz .LBB30_13
; %bb.7:
	v_lshlrev_b32_e32 v3, 2, v0
	v_mbcnt_lo_u32_b32 v1, -1, 0
	v_mbcnt_hi_u32_b32 v13, -1, v1
	ds_read2st64_b32 v[11:12], v3 offset1:1
	v_and_b32_e32 v1, 64, v13
	v_add_u32_e32 v14, 64, v1
	v_xor_b32_e32 v1, 32, v13
	v_cmp_lt_i32_e32 vcc, v1, v14
	v_cndmask_b32_e32 v1, v13, v1, vcc
	v_lshlrev_b32_e32 v1, 2, v1
	s_waitcnt lgkmcnt(0)
	v_add_f32_e32 v9, v11, v9
	v_add_f32_e32 v12, v12, v8
	ds_bpermute_b32 v11, v1, v9
	ds_bpermute_b32 v16, v1, v12
	v_xor_b32_e32 v2, 16, v13
	v_cmp_lt_i32_e32 vcc, v2, v14
	v_cndmask_b32_e32 v2, v13, v2, vcc
	v_lshlrev_b32_e32 v2, 2, v2
	s_waitcnt lgkmcnt(1)
	v_add_f32_e32 v9, v9, v11
	s_waitcnt lgkmcnt(0)
	v_add_f32_e32 v12, v12, v16
	ds_bpermute_b32 v11, v2, v9
	ds_bpermute_b32 v16, v2, v12
	v_xor_b32_e32 v10, 8, v13
	v_cmp_lt_i32_e32 vcc, v10, v14
	v_cndmask_b32_e32 v10, v13, v10, vcc
	v_lshlrev_b32_e32 v10, 2, v10
	s_waitcnt lgkmcnt(1)
	v_add_f32_e32 v11, v9, v11
	s_waitcnt lgkmcnt(0)
	;; [unrolled: 10-line block ×3, first 2 shown]
	v_add_f32_e32 v12, v12, v16
	ds_bpermute_b32 v17, v8, v11
	ds_bpermute_b32 v16, v8, v12
	v_xor_b32_e32 v15, 2, v13
	v_cmp_lt_i32_e32 vcc, v15, v14
	v_cndmask_b32_e32 v15, v13, v15, vcc
	v_lshlrev_b32_e32 v9, 2, v15
	v_xor_b32_e32 v15, 1, v13
	v_cmp_lt_i32_e32 vcc, v15, v14
	s_waitcnt lgkmcnt(1)
	v_add_f32_e32 v11, v11, v17
	s_waitcnt lgkmcnt(0)
	v_add_f32_e32 v12, v12, v16
	v_cndmask_b32_e32 v13, v13, v15, vcc
	ds_bpermute_b32 v14, v9, v11
	ds_bpermute_b32 v15, v9, v12
	s_load_dwordx2 s[0:1], s[4:5], 0x38
	s_mul_i32 s4, s14, s7
	v_lshlrev_b32_e32 v13, 2, v13
	s_waitcnt lgkmcnt(0)
	v_add_f32_e32 v11, v11, v14
	v_add_f32_e32 v12, v12, v15
	s_mul_i32 s3, s18, s8
	s_add_i32 s4, s4, s6
	ds_bpermute_b32 v14, v13, v11
	ds_bpermute_b32 v15, v13, v12
	s_add_i32 s4, s4, s3
	s_mov_b32 s5, 0
	s_lshl_b64 s[4:5], s[4:5], 2
	s_add_u32 s4, s0, s4
	v_add_u32_e32 v16, s6, v0
	s_addc_u32 s5, s1, s5
	v_cmp_gt_u32_e32 vcc, 2, v0
	v_cmp_gt_u32_e64 s[0:1], s2, v16
	s_and_b64 s[0:1], vcc, s[0:1]
	s_waitcnt lgkmcnt(1)
	v_add_f32_e32 v11, v11, v14
	s_waitcnt lgkmcnt(0)
	v_add_f32_e32 v12, v12, v15
	s_and_saveexec_b64 s[6:7], s[0:1]
	s_cbranch_execz .LBB30_9
; %bb.8:
	v_cmp_eq_u32_e32 vcc, 1, v0
	v_cndmask_b32_e32 v14, v11, v12, vcc
	v_cmp_eq_u32_e32 vcc, 2, v0
	v_cndmask_b32_e32 v14, v14, v7, vcc
	;; [unrolled: 2-line block ×5, first 2 shown]
	global_store_dword v3, v14, s[4:5]
.LBB30_9:
	s_or_b64 exec, exec, s[6:7]
	ds_read2st64_b32 v[14:15], v3 offset0:2 offset1:3
	s_waitcnt lgkmcnt(0)
	v_add_f32_e32 v7, v14, v7
	v_add_f32_e32 v6, v15, v6
	ds_bpermute_b32 v14, v1, v7
	ds_bpermute_b32 v15, v1, v6
	s_waitcnt lgkmcnt(1)
	v_add_f32_e32 v7, v7, v14
	s_waitcnt lgkmcnt(0)
	v_add_f32_e32 v6, v6, v15
	ds_bpermute_b32 v14, v2, v7
	ds_bpermute_b32 v15, v2, v6
	s_waitcnt lgkmcnt(1)
	v_add_f32_e32 v7, v7, v14
	s_waitcnt lgkmcnt(0)
	;; [unrolled: 6-line block ×6, first 2 shown]
	v_add_f32_e32 v6, v6, v15
	s_and_saveexec_b64 s[6:7], s[0:1]
	s_cbranch_execz .LBB30_11
; %bb.10:
	v_add_u32_e32 v14, 2, v0
	v_cmp_eq_u32_e32 vcc, 1, v14
	v_cndmask_b32_e32 v15, v11, v12, vcc
	v_cmp_eq_u32_e32 vcc, 2, v14
	v_cndmask_b32_e32 v15, v15, v7, vcc
	;; [unrolled: 2-line block ×5, first 2 shown]
	v_add_u32_e32 v14, s2, v0
	v_mov_b32_e32 v15, 0
	v_lshlrev_b64 v[14:15], 2, v[14:15]
	v_mov_b32_e32 v17, s5
	v_add_co_u32_e32 v14, vcc, s4, v14
	v_addc_co_u32_e32 v15, vcc, v17, v15, vcc
	global_store_dword v[14:15], v16, off
.LBB30_11:
	s_or_b64 exec, exec, s[6:7]
	ds_read2st64_b32 v[14:15], v3 offset0:4 offset1:5
	s_waitcnt lgkmcnt(0)
	v_add_f32_e32 v3, v14, v5
	v_add_f32_e32 v4, v15, v4
	ds_bpermute_b32 v5, v1, v3
	ds_bpermute_b32 v1, v1, v4
	s_waitcnt lgkmcnt(1)
	v_add_f32_e32 v3, v3, v5
	s_waitcnt lgkmcnt(0)
	v_add_f32_e32 v1, v4, v1
	ds_bpermute_b32 v4, v2, v3
	ds_bpermute_b32 v2, v2, v1
	s_waitcnt lgkmcnt(1)
	v_add_f32_e32 v3, v3, v4
	s_waitcnt lgkmcnt(0)
	;; [unrolled: 6-line block ×5, first 2 shown]
	v_add_f32_e32 v2, v3, v4
	ds_bpermute_b32 v3, v13, v1
	ds_bpermute_b32 v4, v13, v2
	s_and_b64 exec, exec, s[0:1]
	s_cbranch_execz .LBB30_13
; %bb.12:
	s_waitcnt lgkmcnt(1)
	v_add_f32_e32 v1, v1, v3
	v_add_u32_e32 v3, 4, v0
	v_cmp_eq_u32_e32 vcc, 1, v3
	s_waitcnt lgkmcnt(0)
	v_add_f32_e32 v2, v2, v4
	v_cndmask_b32_e32 v4, v11, v12, vcc
	v_cmp_eq_u32_e32 vcc, 2, v3
	v_cndmask_b32_e32 v4, v4, v7, vcc
	v_cmp_eq_u32_e32 vcc, 3, v3
	;; [unrolled: 2-line block ×4, first 2 shown]
	v_cndmask_b32_e32 v2, v1, v2, vcc
	v_lshl_or_b32 v0, s2, 1, v0
	v_mov_b32_e32 v1, 0
	v_lshlrev_b64 v[0:1], 2, v[0:1]
	v_mov_b32_e32 v3, s5
	v_add_co_u32_e32 v0, vcc, s4, v0
	v_addc_co_u32_e32 v1, vcc, v3, v1, vcc
	global_store_dword v[0:1], v2, off
.LBB30_13:
	s_endpgm
	.section	.rodata,"a",@progbits
	.p2align	6, 0x0
	.amdhsa_kernel _ZL13mul_mat_vec_qIL9ggml_type3ELi3ELb0ELb0EEvPKvS2_PKi31ggml_cuda_mm_fusion_args_devicePfj15HIP_vector_typeIjLj3EEjjjS8_jjjS8_jjjj
		.amdhsa_group_segment_fixed_size 1536
		.amdhsa_private_segment_fixed_size 0
		.amdhsa_kernarg_size 144
		.amdhsa_user_sgpr_count 6
		.amdhsa_user_sgpr_private_segment_buffer 1
		.amdhsa_user_sgpr_dispatch_ptr 0
		.amdhsa_user_sgpr_queue_ptr 0
		.amdhsa_user_sgpr_kernarg_segment_ptr 1
		.amdhsa_user_sgpr_dispatch_id 0
		.amdhsa_user_sgpr_flat_scratch_init 0
		.amdhsa_user_sgpr_private_segment_size 0
		.amdhsa_uses_dynamic_stack 0
		.amdhsa_system_sgpr_private_segment_wavefront_offset 0
		.amdhsa_system_sgpr_workgroup_id_x 1
		.amdhsa_system_sgpr_workgroup_id_y 1
		.amdhsa_system_sgpr_workgroup_id_z 1
		.amdhsa_system_sgpr_workgroup_info 0
		.amdhsa_system_vgpr_workitem_id 1
		.amdhsa_next_free_vgpr 32
		.amdhsa_next_free_sgpr 26
		.amdhsa_reserve_vcc 1
		.amdhsa_reserve_flat_scratch 0
		.amdhsa_float_round_mode_32 0
		.amdhsa_float_round_mode_16_64 0
		.amdhsa_float_denorm_mode_32 3
		.amdhsa_float_denorm_mode_16_64 3
		.amdhsa_dx10_clamp 1
		.amdhsa_ieee_mode 1
		.amdhsa_fp16_overflow 0
		.amdhsa_exception_fp_ieee_invalid_op 0
		.amdhsa_exception_fp_denorm_src 0
		.amdhsa_exception_fp_ieee_div_zero 0
		.amdhsa_exception_fp_ieee_overflow 0
		.amdhsa_exception_fp_ieee_underflow 0
		.amdhsa_exception_fp_ieee_inexact 0
		.amdhsa_exception_int_div_zero 0
	.end_amdhsa_kernel
	.section	.text._ZL13mul_mat_vec_qIL9ggml_type3ELi3ELb0ELb0EEvPKvS2_PKi31ggml_cuda_mm_fusion_args_devicePfj15HIP_vector_typeIjLj3EEjjjS8_jjjS8_jjjj,"axG",@progbits,_ZL13mul_mat_vec_qIL9ggml_type3ELi3ELb0ELb0EEvPKvS2_PKi31ggml_cuda_mm_fusion_args_devicePfj15HIP_vector_typeIjLj3EEjjjS8_jjjS8_jjjj,comdat
.Lfunc_end30:
	.size	_ZL13mul_mat_vec_qIL9ggml_type3ELi3ELb0ELb0EEvPKvS2_PKi31ggml_cuda_mm_fusion_args_devicePfj15HIP_vector_typeIjLj3EEjjjS8_jjjS8_jjjj, .Lfunc_end30-_ZL13mul_mat_vec_qIL9ggml_type3ELi3ELb0ELb0EEvPKvS2_PKi31ggml_cuda_mm_fusion_args_devicePfj15HIP_vector_typeIjLj3EEjjjS8_jjjS8_jjjj
                                        ; -- End function
	.set _ZL13mul_mat_vec_qIL9ggml_type3ELi3ELb0ELb0EEvPKvS2_PKi31ggml_cuda_mm_fusion_args_devicePfj15HIP_vector_typeIjLj3EEjjjS8_jjjS8_jjjj.num_vgpr, 32
	.set _ZL13mul_mat_vec_qIL9ggml_type3ELi3ELb0ELb0EEvPKvS2_PKi31ggml_cuda_mm_fusion_args_devicePfj15HIP_vector_typeIjLj3EEjjjS8_jjjS8_jjjj.num_agpr, 0
	.set _ZL13mul_mat_vec_qIL9ggml_type3ELi3ELb0ELb0EEvPKvS2_PKi31ggml_cuda_mm_fusion_args_devicePfj15HIP_vector_typeIjLj3EEjjjS8_jjjS8_jjjj.numbered_sgpr, 26
	.set _ZL13mul_mat_vec_qIL9ggml_type3ELi3ELb0ELb0EEvPKvS2_PKi31ggml_cuda_mm_fusion_args_devicePfj15HIP_vector_typeIjLj3EEjjjS8_jjjS8_jjjj.num_named_barrier, 0
	.set _ZL13mul_mat_vec_qIL9ggml_type3ELi3ELb0ELb0EEvPKvS2_PKi31ggml_cuda_mm_fusion_args_devicePfj15HIP_vector_typeIjLj3EEjjjS8_jjjS8_jjjj.private_seg_size, 0
	.set _ZL13mul_mat_vec_qIL9ggml_type3ELi3ELb0ELb0EEvPKvS2_PKi31ggml_cuda_mm_fusion_args_devicePfj15HIP_vector_typeIjLj3EEjjjS8_jjjS8_jjjj.uses_vcc, 1
	.set _ZL13mul_mat_vec_qIL9ggml_type3ELi3ELb0ELb0EEvPKvS2_PKi31ggml_cuda_mm_fusion_args_devicePfj15HIP_vector_typeIjLj3EEjjjS8_jjjS8_jjjj.uses_flat_scratch, 0
	.set _ZL13mul_mat_vec_qIL9ggml_type3ELi3ELb0ELb0EEvPKvS2_PKi31ggml_cuda_mm_fusion_args_devicePfj15HIP_vector_typeIjLj3EEjjjS8_jjjS8_jjjj.has_dyn_sized_stack, 0
	.set _ZL13mul_mat_vec_qIL9ggml_type3ELi3ELb0ELb0EEvPKvS2_PKi31ggml_cuda_mm_fusion_args_devicePfj15HIP_vector_typeIjLj3EEjjjS8_jjjS8_jjjj.has_recursion, 0
	.set _ZL13mul_mat_vec_qIL9ggml_type3ELi3ELb0ELb0EEvPKvS2_PKi31ggml_cuda_mm_fusion_args_devicePfj15HIP_vector_typeIjLj3EEjjjS8_jjjS8_jjjj.has_indirect_call, 0
	.section	.AMDGPU.csdata,"",@progbits
; Kernel info:
; codeLenInByte = 2192
; TotalNumSgprs: 30
; NumVgprs: 32
; ScratchSize: 0
; MemoryBound: 0
; FloatMode: 240
; IeeeMode: 1
; LDSByteSize: 1536 bytes/workgroup (compile time only)
; SGPRBlocks: 3
; VGPRBlocks: 7
; NumSGPRsForWavesPerEU: 30
; NumVGPRsForWavesPerEU: 32
; Occupancy: 8
; WaveLimiterHint : 0
; COMPUTE_PGM_RSRC2:SCRATCH_EN: 0
; COMPUTE_PGM_RSRC2:USER_SGPR: 6
; COMPUTE_PGM_RSRC2:TRAP_HANDLER: 0
; COMPUTE_PGM_RSRC2:TGID_X_EN: 1
; COMPUTE_PGM_RSRC2:TGID_Y_EN: 1
; COMPUTE_PGM_RSRC2:TGID_Z_EN: 1
; COMPUTE_PGM_RSRC2:TIDIG_COMP_CNT: 1
	.section	.text._ZL13mul_mat_vec_qIL9ggml_type3ELi4ELb0ELb0EEvPKvS2_PKi31ggml_cuda_mm_fusion_args_devicePfj15HIP_vector_typeIjLj3EEjjjS8_jjjS8_jjjj,"axG",@progbits,_ZL13mul_mat_vec_qIL9ggml_type3ELi4ELb0ELb0EEvPKvS2_PKi31ggml_cuda_mm_fusion_args_devicePfj15HIP_vector_typeIjLj3EEjjjS8_jjjS8_jjjj,comdat
	.globl	_ZL13mul_mat_vec_qIL9ggml_type3ELi4ELb0ELb0EEvPKvS2_PKi31ggml_cuda_mm_fusion_args_devicePfj15HIP_vector_typeIjLj3EEjjjS8_jjjS8_jjjj ; -- Begin function _ZL13mul_mat_vec_qIL9ggml_type3ELi4ELb0ELb0EEvPKvS2_PKi31ggml_cuda_mm_fusion_args_devicePfj15HIP_vector_typeIjLj3EEjjjS8_jjjS8_jjjj
	.p2align	8
	.type	_ZL13mul_mat_vec_qIL9ggml_type3ELi4ELb0ELb0EEvPKvS2_PKi31ggml_cuda_mm_fusion_args_devicePfj15HIP_vector_typeIjLj3EEjjjS8_jjjS8_jjjj,@function
_ZL13mul_mat_vec_qIL9ggml_type3ELi4ELb0ELb0EEvPKvS2_PKi31ggml_cuda_mm_fusion_args_devicePfj15HIP_vector_typeIjLj3EEjjjS8_jjjS8_jjjj: ; @_ZL13mul_mat_vec_qIL9ggml_type3ELi4ELb0ELb0EEvPKvS2_PKi31ggml_cuda_mm_fusion_args_devicePfj15HIP_vector_typeIjLj3EEjjjS8_jjjS8_jjjj
; %bb.0:
	v_lshlrev_b32_e32 v2, 6, v1
	s_load_dword s9, s[4:5], 0x40
	s_load_dwordx4 s[0:3], s[4:5], 0x50
	s_load_dword s25, s[4:5], 0x60
	s_load_dwordx4 s[12:15], s[4:5], 0x68
	;; [unrolled: 2-line block ×3, first 2 shown]
	v_add_u16_e32 v2, v2, v0
	s_waitcnt lgkmcnt(0)
	s_lshr_b32 s9, s9, 5
	v_lshrrev_b16_e32 v12, 1, v2
	v_mov_b32_e32 v8, 0
	s_lshl_b32 s6, s6, 1
	v_cmp_gt_u32_e32 vcc, s9, v12
	v_mov_b32_e32 v9, v8
	v_mov_b32_e32 v10, v8
	;; [unrolled: 1-line block ×7, first 2 shown]
	s_and_saveexec_b64 s[10:11], vcc
	s_cbranch_execz .LBB31_4
; %bb.1:
	s_load_dwordx4 s[20:23], s[4:5], 0x0
	s_mul_i32 s17, s17, s8
	s_mul_hi_u32 s19, s17, 36
	s_mul_i32 s17, s17, 36
	s_mul_i32 s13, s13, s7
	s_waitcnt lgkmcnt(0)
	s_add_u32 s17, s22, s17
	s_addc_u32 s19, s23, s19
	s_mul_hi_u32 s23, s13, 36
	s_mul_i32 s13, s13, 36
	s_add_u32 s22, s17, s13
	s_mul_hi_u32 s3, s3, s7
	s_addc_u32 s23, s19, s23
	s_add_i32 s3, s7, s3
	s_lshr_b32 s3, s3, s25
	s_mul_i32 s3, s3, s12
	s_mul_hi_u32 s12, s15, s8
	s_add_i32 s12, s8, s12
	s_lshr_b32 s12, s12, s24
	s_mul_i32 s12, s12, s16
	v_lshlrev_b32_e32 v3, 1, v0
	s_add_i32 s13, s6, 1
	v_and_b32_e32 v5, 2, v3
	s_add_i32 s12, s12, s3
	s_mul_i32 s3, s6, s0
	s_mul_i32 s0, s0, s13
	v_and_b32_e32 v3, 1, v0
	v_lshrrev_b16_e32 v2, 1, v2
	s_add_i32 s3, s12, s3
	s_add_i32 s0, s12, s0
	v_lshlrev_b32_e32 v13, 3, v3
	v_mad_u64_u32 v[2:3], s[12:13], v2, 36, s[22:23]
	v_mov_b32_e32 v4, 0
	s_lshl_b32 s15, s1, 1
	s_mul_i32 s16, s1, 3
	s_mov_b64 s[12:13], 0
	v_lshlrev_b32_e32 v14, 2, v5
	v_mov_b32_e32 v5, v4
	v_mov_b32_e32 v6, v4
	;; [unrolled: 1-line block ×7, first 2 shown]
.LBB31_2:                               ; =>This Inner Loop Header: Depth=1
	v_add_co_u32_e32 v15, vcc, v2, v13
	v_add_u32_e32 v21, s3, v12
	v_addc_co_u32_e32 v16, vcc, 0, v3, vcc
	global_load_dwordx2 v[17:18], v[15:16], off offset:4
	global_load_dwordx2 v[19:20], v[15:16], off offset:20
	global_load_dword v25, v[2:3], off
	v_mad_i64_i32 v[15:16], s[24:25], v21, 20, s[20:21]
	v_add_co_u32_e32 v21, vcc, v15, v14
	v_addc_co_u32_e32 v22, vcc, 0, v16, vcc
	global_load_dwordx2 v[23:24], v[21:22], off offset:4
	global_load_dword v26, v[15:16], off
	s_waitcnt vmcnt(1)
	v_and_b32_e32 v27, 0xf0f0f0f, v23
	v_lshrrev_b32_e32 v15, 4, v23
	v_and_b32_e32 v28, 0xf0f0f0f, v15
	v_dot4_i32_i8 v15, v27, v17, 0
	v_dot4_i32_i8 v15, v28, v19, v15
	v_and_b32_e32 v29, 0xf0f0f0f, v24
	v_lshrrev_b32_e32 v16, 4, v24
	v_and_b32_e32 v30, 0xf0f0f0f, v16
	v_dot4_i32_i8 v15, v29, v18, v15
	s_waitcnt vmcnt(0)
	v_pk_mul_f16 v16, v26, v25
	v_dot4_i32_i8 v15, v30, v20, v15
	v_cvt_f32_f16_sdwa v21, v16 dst_sel:DWORD dst_unused:UNUSED_PAD src0_sel:WORD_1
	v_cvt_f32_i32_e32 v15, v15
	v_mul_f32_e32 v21, 0.5, v21
	v_fma_mix_f32 v15, v15, v16, v21 op_sel_hi:[0,1,0]
	v_add_f32_e32 v11, v11, v15
	v_add_u32_e32 v15, s0, v12
	v_mad_i64_i32 v[15:16], s[24:25], v15, 20, s[20:21]
	v_add_co_u32_e32 v21, vcc, v15, v14
	v_addc_co_u32_e32 v22, vcc, 0, v16, vcc
	global_load_dwordx2 v[23:24], v[21:22], off offset:4
	global_load_dword v31, v[15:16], off
	s_waitcnt vmcnt(1)
	v_and_b32_e32 v32, 0xf0f0f0f, v23
	v_lshrrev_b32_e32 v15, 4, v23
	v_and_b32_e32 v23, 0xf0f0f0f, v15
	v_dot4_i32_i8 v15, v32, v17, 0
	v_dot4_i32_i8 v15, v23, v19, v15
	v_and_b32_e32 v33, 0xf0f0f0f, v24
	v_lshrrev_b32_e32 v16, 4, v24
	v_and_b32_e32 v24, 0xf0f0f0f, v16
	v_dot4_i32_i8 v15, v33, v18, v15
	s_waitcnt vmcnt(0)
	v_pk_mul_f16 v16, v31, v25
	v_dot4_i32_i8 v15, v24, v20, v15
	v_cvt_f32_f16_sdwa v17, v16 dst_sel:DWORD dst_unused:UNUSED_PAD src0_sel:WORD_1
	v_cvt_f32_i32_e32 v15, v15
	v_mul_f32_e32 v17, 0.5, v17
	v_fma_mix_f32 v15, v15, v16, v17 op_sel_hi:[0,1,0]
	v_add_f32_e32 v10, v10, v15
	v_add_u32_e32 v15, s1, v12
	v_mad_u64_u32 v[15:16], s[24:25], v15, 36, s[22:23]
	v_add_co_u32_e32 v17, vcc, v15, v14
	v_addc_co_u32_e32 v18, vcc, 0, v16, vcc
	global_load_dwordx2 v[19:20], v[17:18], off offset:4
	global_load_dwordx2 v[21:22], v[17:18], off offset:20
	global_load_dword v25, v[15:16], off
	s_waitcnt vmcnt(2)
	v_dot4_i32_i8 v15, v27, v19, 0
	s_waitcnt vmcnt(1)
	v_dot4_i32_i8 v15, v28, v21, v15
	v_dot4_i32_i8 v15, v29, v20, v15
	s_waitcnt vmcnt(0)
	v_pk_mul_f16 v16, v26, v25
	v_dot4_i32_i8 v15, v30, v22, v15
	v_cvt_f32_f16_sdwa v17, v16 dst_sel:DWORD dst_unused:UNUSED_PAD src0_sel:WORD_1
	v_cvt_f32_i32_e32 v15, v15
	v_mul_f32_e32 v17, 0.5, v17
	v_fma_mix_f32 v15, v15, v16, v17 op_sel_hi:[0,1,0]
	v_add_f32_e32 v9, v9, v15
	v_dot4_i32_i8 v15, v32, v19, 0
	v_dot4_i32_i8 v15, v23, v21, v15
	;; [unrolled: 1-line block ×3, first 2 shown]
	v_pk_mul_f16 v16, v31, v25
	v_dot4_i32_i8 v15, v24, v22, v15
	v_cvt_f32_f16_sdwa v17, v16 dst_sel:DWORD dst_unused:UNUSED_PAD src0_sel:WORD_1
	v_cvt_f32_i32_e32 v15, v15
	v_mul_f32_e32 v17, 0.5, v17
	v_fma_mix_f32 v15, v15, v16, v17 op_sel_hi:[0,1,0]
	v_add_f32_e32 v8, v8, v15
	v_add_u32_e32 v15, s15, v12
	v_mad_u64_u32 v[15:16], s[24:25], v15, 36, s[22:23]
	v_add_co_u32_e32 v17, vcc, v15, v14
	v_addc_co_u32_e32 v18, vcc, 0, v16, vcc
	global_load_dwordx2 v[19:20], v[17:18], off offset:4
	global_load_dwordx2 v[21:22], v[17:18], off offset:20
	global_load_dword v25, v[15:16], off
	s_waitcnt vmcnt(2)
	v_dot4_i32_i8 v15, v27, v19, 0
	s_waitcnt vmcnt(1)
	v_dot4_i32_i8 v15, v28, v21, v15
	v_dot4_i32_i8 v15, v29, v20, v15
	s_waitcnt vmcnt(0)
	v_pk_mul_f16 v16, v26, v25
	v_dot4_i32_i8 v15, v30, v22, v15
	v_cvt_f32_f16_sdwa v17, v16 dst_sel:DWORD dst_unused:UNUSED_PAD src0_sel:WORD_1
	v_cvt_f32_i32_e32 v15, v15
	v_mul_f32_e32 v17, 0.5, v17
	v_fma_mix_f32 v15, v15, v16, v17 op_sel_hi:[0,1,0]
	v_add_f32_e32 v7, v7, v15
	v_dot4_i32_i8 v15, v32, v19, 0
	v_dot4_i32_i8 v15, v23, v21, v15
	;; [unrolled: 1-line block ×3, first 2 shown]
	v_pk_mul_f16 v16, v31, v25
	v_dot4_i32_i8 v15, v24, v22, v15
	v_cvt_f32_f16_sdwa v17, v16 dst_sel:DWORD dst_unused:UNUSED_PAD src0_sel:WORD_1
	v_cvt_f32_i32_e32 v15, v15
	v_mul_f32_e32 v17, 0.5, v17
	v_fma_mix_f32 v15, v15, v16, v17 op_sel_hi:[0,1,0]
	v_add_f32_e32 v6, v6, v15
	v_add_u32_e32 v15, s16, v12
	v_mad_u64_u32 v[15:16], s[24:25], v15, 36, s[22:23]
	v_add_u32_e32 v12, 64, v12
	v_add_co_u32_e32 v17, vcc, v15, v14
	v_addc_co_u32_e32 v18, vcc, 0, v16, vcc
	global_load_dwordx2 v[19:20], v[17:18], off offset:4
	global_load_dwordx2 v[21:22], v[17:18], off offset:20
	global_load_dword v25, v[15:16], off
	v_add_co_u32_e32 v2, vcc, 0x900, v2
	v_addc_co_u32_e32 v3, vcc, 0, v3, vcc
	v_cmp_le_u32_e32 vcc, s9, v12
	s_or_b64 s[12:13], vcc, s[12:13]
	s_waitcnt vmcnt(2)
	v_dot4_i32_i8 v15, v27, v19, 0
	s_waitcnt vmcnt(1)
	v_dot4_i32_i8 v15, v28, v21, v15
	v_dot4_i32_i8 v15, v29, v20, v15
	s_waitcnt vmcnt(0)
	v_pk_mul_f16 v16, v26, v25
	v_dot4_i32_i8 v15, v30, v22, v15
	v_cvt_f32_f16_sdwa v17, v16 dst_sel:DWORD dst_unused:UNUSED_PAD src0_sel:WORD_1
	v_cvt_f32_i32_e32 v15, v15
	v_mul_f32_e32 v17, 0.5, v17
	v_fma_mix_f32 v15, v15, v16, v17 op_sel_hi:[0,1,0]
	v_add_f32_e32 v5, v5, v15
	v_dot4_i32_i8 v15, v32, v19, 0
	v_dot4_i32_i8 v15, v23, v21, v15
	v_dot4_i32_i8 v15, v33, v20, v15
	v_pk_mul_f16 v16, v31, v25
	v_dot4_i32_i8 v15, v24, v22, v15
	v_cvt_f32_f16_sdwa v17, v16 dst_sel:DWORD dst_unused:UNUSED_PAD src0_sel:WORD_1
	v_cvt_f32_i32_e32 v15, v15
	v_mul_f32_e32 v17, 0.5, v17
	v_fma_mix_f32 v15, v15, v16, v17 op_sel_hi:[0,1,0]
	v_add_f32_e32 v4, v4, v15
	s_andn2_b64 exec, exec, s[12:13]
	s_cbranch_execnz .LBB31_2
; %bb.3:
	s_or_b64 exec, exec, s[12:13]
.LBB31_4:
	s_or_b64 exec, exec, s[10:11]
	v_cmp_eq_u32_e32 vcc, 0, v1
	v_cmp_ne_u32_e64 s[0:1], 0, v1
	v_lshlrev_b32_e32 v2, 2, v0
	s_and_saveexec_b64 s[10:11], s[0:1]
	s_cbranch_execz .LBB31_6
; %bb.5:
	v_lshl_or_b32 v1, v1, 11, v2
	v_add_u32_e32 v1, 0xfffff800, v1
	ds_write2st64_b32 v1, v11, v10 offset1:1
	ds_write2st64_b32 v1, v9, v8 offset0:2 offset1:3
	ds_write2st64_b32 v1, v7, v6 offset0:4 offset1:5
	;; [unrolled: 1-line block ×3, first 2 shown]
.LBB31_6:
	s_or_b64 exec, exec, s[10:11]
	s_waitcnt lgkmcnt(0)
	s_barrier
	s_and_saveexec_b64 s[0:1], vcc
	s_cbranch_execz .LBB31_15
; %bb.7:
	v_mbcnt_lo_u32_b32 v1, -1, 0
	v_mbcnt_hi_u32_b32 v15, -1, v1
	ds_read2st64_b32 v[13:14], v2 offset1:1
	v_and_b32_e32 v1, 64, v15
	v_add_u32_e32 v16, 64, v1
	v_xor_b32_e32 v1, 32, v15
	v_cmp_lt_i32_e32 vcc, v1, v16
	v_cndmask_b32_e32 v1, v15, v1, vcc
	v_lshlrev_b32_e32 v1, 2, v1
	s_waitcnt lgkmcnt(0)
	v_add_f32_e32 v11, v13, v11
	v_add_f32_e32 v14, v14, v10
	ds_bpermute_b32 v13, v1, v11
	ds_bpermute_b32 v18, v1, v14
	v_xor_b32_e32 v3, 16, v15
	v_cmp_lt_i32_e32 vcc, v3, v16
	v_cndmask_b32_e32 v3, v15, v3, vcc
	v_lshlrev_b32_e32 v3, 2, v3
	s_waitcnt lgkmcnt(1)
	v_add_f32_e32 v11, v11, v13
	s_waitcnt lgkmcnt(0)
	v_add_f32_e32 v14, v14, v18
	ds_bpermute_b32 v13, v3, v11
	ds_bpermute_b32 v18, v3, v14
	v_xor_b32_e32 v12, 8, v15
	v_cmp_lt_i32_e32 vcc, v12, v16
	v_cndmask_b32_e32 v12, v15, v12, vcc
	v_lshlrev_b32_e32 v12, 2, v12
	s_waitcnt lgkmcnt(1)
	v_add_f32_e32 v13, v11, v13
	s_waitcnt lgkmcnt(0)
	;; [unrolled: 10-line block ×3, first 2 shown]
	v_add_f32_e32 v14, v14, v18
	ds_bpermute_b32 v19, v10, v13
	ds_bpermute_b32 v18, v10, v14
	v_xor_b32_e32 v17, 2, v15
	v_cmp_lt_i32_e32 vcc, v17, v16
	v_cndmask_b32_e32 v17, v15, v17, vcc
	v_lshlrev_b32_e32 v11, 2, v17
	v_xor_b32_e32 v17, 1, v15
	v_cmp_lt_i32_e32 vcc, v17, v16
	s_waitcnt lgkmcnt(1)
	v_add_f32_e32 v13, v13, v19
	s_waitcnt lgkmcnt(0)
	v_add_f32_e32 v14, v14, v18
	v_cndmask_b32_e32 v15, v15, v17, vcc
	ds_bpermute_b32 v16, v11, v13
	ds_bpermute_b32 v17, v11, v14
	s_load_dwordx2 s[0:1], s[4:5], 0x38
	s_mul_i32 s4, s14, s7
	v_lshlrev_b32_e32 v15, 2, v15
	s_waitcnt lgkmcnt(0)
	v_add_f32_e32 v13, v13, v16
	v_add_f32_e32 v14, v14, v17
	s_mul_i32 s3, s18, s8
	s_add_i32 s4, s4, s6
	ds_bpermute_b32 v16, v15, v13
	ds_bpermute_b32 v17, v15, v14
	s_add_i32 s4, s4, s3
	s_mov_b32 s5, 0
	s_lshl_b64 s[4:5], s[4:5], 2
	s_add_u32 s4, s0, s4
	v_add_u32_e32 v18, s6, v0
	s_addc_u32 s5, s1, s5
	v_cmp_gt_u32_e32 vcc, 2, v0
	v_cmp_gt_u32_e64 s[0:1], s2, v18
	s_and_b64 s[0:1], vcc, s[0:1]
	s_waitcnt lgkmcnt(1)
	v_add_f32_e32 v13, v13, v16
	s_waitcnt lgkmcnt(0)
	v_add_f32_e32 v14, v14, v17
	s_and_saveexec_b64 s[6:7], s[0:1]
	s_cbranch_execz .LBB31_9
; %bb.8:
	v_cmp_eq_u32_e32 vcc, 1, v0
	v_cndmask_b32_e32 v16, v13, v14, vcc
	v_cmp_eq_u32_e32 vcc, 2, v0
	v_cndmask_b32_e32 v16, v16, v9, vcc
	;; [unrolled: 2-line block ×7, first 2 shown]
	global_store_dword v2, v16, s[4:5]
.LBB31_9:
	s_or_b64 exec, exec, s[6:7]
	ds_read2st64_b32 v[16:17], v2 offset0:2 offset1:3
	s_waitcnt lgkmcnt(0)
	v_add_f32_e32 v9, v16, v9
	v_add_f32_e32 v8, v17, v8
	ds_bpermute_b32 v16, v1, v9
	ds_bpermute_b32 v17, v1, v8
	s_waitcnt lgkmcnt(1)
	v_add_f32_e32 v9, v9, v16
	s_waitcnt lgkmcnt(0)
	v_add_f32_e32 v8, v8, v17
	ds_bpermute_b32 v16, v3, v9
	ds_bpermute_b32 v17, v3, v8
	s_waitcnt lgkmcnt(1)
	v_add_f32_e32 v9, v9, v16
	s_waitcnt lgkmcnt(0)
	;; [unrolled: 6-line block ×6, first 2 shown]
	v_add_f32_e32 v8, v8, v17
	s_and_saveexec_b64 s[6:7], s[0:1]
	s_cbranch_execz .LBB31_11
; %bb.10:
	v_add_u32_e32 v16, 2, v0
	v_cmp_eq_u32_e32 vcc, 1, v16
	v_cndmask_b32_e32 v17, v13, v14, vcc
	v_cmp_eq_u32_e32 vcc, 2, v16
	v_cndmask_b32_e32 v17, v17, v9, vcc
	;; [unrolled: 2-line block ×7, first 2 shown]
	v_add_u32_e32 v16, s2, v0
	v_mov_b32_e32 v17, 0
	v_lshlrev_b64 v[16:17], 2, v[16:17]
	v_mov_b32_e32 v19, s5
	v_add_co_u32_e32 v16, vcc, s4, v16
	v_addc_co_u32_e32 v17, vcc, v19, v17, vcc
	global_store_dword v[16:17], v18, off
.LBB31_11:
	s_or_b64 exec, exec, s[6:7]
	ds_read2st64_b32 v[16:17], v2 offset0:4 offset1:5
	s_waitcnt lgkmcnt(0)
	v_add_f32_e32 v7, v16, v7
	v_add_f32_e32 v6, v17, v6
	ds_bpermute_b32 v16, v1, v7
	ds_bpermute_b32 v17, v1, v6
	s_waitcnt lgkmcnt(1)
	v_add_f32_e32 v7, v7, v16
	s_waitcnt lgkmcnt(0)
	v_add_f32_e32 v6, v6, v17
	ds_bpermute_b32 v16, v3, v7
	ds_bpermute_b32 v17, v3, v6
	s_waitcnt lgkmcnt(1)
	v_add_f32_e32 v7, v7, v16
	s_waitcnt lgkmcnt(0)
	;; [unrolled: 6-line block ×6, first 2 shown]
	v_add_f32_e32 v6, v6, v17
	s_and_saveexec_b64 s[6:7], s[0:1]
	s_cbranch_execz .LBB31_13
; %bb.12:
	v_add_u32_e32 v16, 4, v0
	v_cmp_eq_u32_e32 vcc, 1, v16
	v_cndmask_b32_e32 v17, v13, v14, vcc
	v_cmp_eq_u32_e32 vcc, 2, v16
	v_cndmask_b32_e32 v17, v17, v9, vcc
	;; [unrolled: 2-line block ×7, first 2 shown]
	v_lshl_or_b32 v16, s2, 1, v0
	v_mov_b32_e32 v17, 0
	v_lshlrev_b64 v[16:17], 2, v[16:17]
	v_mov_b32_e32 v19, s5
	v_add_co_u32_e32 v16, vcc, s4, v16
	v_addc_co_u32_e32 v17, vcc, v19, v17, vcc
	global_store_dword v[16:17], v18, off
.LBB31_13:
	s_or_b64 exec, exec, s[6:7]
	ds_read2st64_b32 v[16:17], v2 offset0:6 offset1:7
	s_waitcnt lgkmcnt(0)
	v_add_f32_e32 v2, v16, v5
	v_add_f32_e32 v4, v17, v4
	ds_bpermute_b32 v5, v1, v2
	ds_bpermute_b32 v1, v1, v4
	s_waitcnt lgkmcnt(1)
	v_add_f32_e32 v2, v2, v5
	s_waitcnt lgkmcnt(0)
	v_add_f32_e32 v1, v4, v1
	ds_bpermute_b32 v4, v3, v2
	ds_bpermute_b32 v3, v3, v1
	s_waitcnt lgkmcnt(1)
	v_add_f32_e32 v2, v2, v4
	s_waitcnt lgkmcnt(0)
	;; [unrolled: 6-line block ×5, first 2 shown]
	v_add_f32_e32 v2, v3, v4
	ds_bpermute_b32 v3, v15, v1
	ds_bpermute_b32 v4, v15, v2
	s_and_b64 exec, exec, s[0:1]
	s_cbranch_execz .LBB31_15
; %bb.14:
	s_waitcnt lgkmcnt(1)
	v_add_f32_e32 v1, v1, v3
	v_add_u32_e32 v3, 6, v0
	v_cmp_eq_u32_e32 vcc, 1, v3
	s_waitcnt lgkmcnt(0)
	v_add_f32_e32 v2, v2, v4
	v_cndmask_b32_e32 v4, v13, v14, vcc
	v_cmp_eq_u32_e32 vcc, 2, v3
	v_cndmask_b32_e32 v4, v4, v9, vcc
	v_cmp_eq_u32_e32 vcc, 3, v3
	;; [unrolled: 2-line block ×5, first 2 shown]
	v_cndmask_b32_e32 v4, v4, v1, vcc
	v_mad_u64_u32 v[0:1], s[0:1], s2, 3, v[0:1]
	v_mov_b32_e32 v1, 0
	v_cmp_eq_u32_e32 vcc, 7, v3
	v_lshlrev_b64 v[0:1], 2, v[0:1]
	v_cndmask_b32_e32 v2, v4, v2, vcc
	v_mov_b32_e32 v3, s5
	v_add_co_u32_e32 v0, vcc, s4, v0
	v_addc_co_u32_e32 v1, vcc, v3, v1, vcc
	global_store_dword v[0:1], v2, off
.LBB31_15:
	s_endpgm
	.section	.rodata,"a",@progbits
	.p2align	6, 0x0
	.amdhsa_kernel _ZL13mul_mat_vec_qIL9ggml_type3ELi4ELb0ELb0EEvPKvS2_PKi31ggml_cuda_mm_fusion_args_devicePfj15HIP_vector_typeIjLj3EEjjjS8_jjjS8_jjjj
		.amdhsa_group_segment_fixed_size 2048
		.amdhsa_private_segment_fixed_size 0
		.amdhsa_kernarg_size 144
		.amdhsa_user_sgpr_count 6
		.amdhsa_user_sgpr_private_segment_buffer 1
		.amdhsa_user_sgpr_dispatch_ptr 0
		.amdhsa_user_sgpr_queue_ptr 0
		.amdhsa_user_sgpr_kernarg_segment_ptr 1
		.amdhsa_user_sgpr_dispatch_id 0
		.amdhsa_user_sgpr_flat_scratch_init 0
		.amdhsa_user_sgpr_private_segment_size 0
		.amdhsa_uses_dynamic_stack 0
		.amdhsa_system_sgpr_private_segment_wavefront_offset 0
		.amdhsa_system_sgpr_workgroup_id_x 1
		.amdhsa_system_sgpr_workgroup_id_y 1
		.amdhsa_system_sgpr_workgroup_id_z 1
		.amdhsa_system_sgpr_workgroup_info 0
		.amdhsa_system_vgpr_workitem_id 1
		.amdhsa_next_free_vgpr 34
		.amdhsa_next_free_sgpr 61
		.amdhsa_reserve_vcc 1
		.amdhsa_reserve_flat_scratch 0
		.amdhsa_float_round_mode_32 0
		.amdhsa_float_round_mode_16_64 0
		.amdhsa_float_denorm_mode_32 3
		.amdhsa_float_denorm_mode_16_64 3
		.amdhsa_dx10_clamp 1
		.amdhsa_ieee_mode 1
		.amdhsa_fp16_overflow 0
		.amdhsa_exception_fp_ieee_invalid_op 0
		.amdhsa_exception_fp_denorm_src 0
		.amdhsa_exception_fp_ieee_div_zero 0
		.amdhsa_exception_fp_ieee_overflow 0
		.amdhsa_exception_fp_ieee_underflow 0
		.amdhsa_exception_fp_ieee_inexact 0
		.amdhsa_exception_int_div_zero 0
	.end_amdhsa_kernel
	.section	.text._ZL13mul_mat_vec_qIL9ggml_type3ELi4ELb0ELb0EEvPKvS2_PKi31ggml_cuda_mm_fusion_args_devicePfj15HIP_vector_typeIjLj3EEjjjS8_jjjS8_jjjj,"axG",@progbits,_ZL13mul_mat_vec_qIL9ggml_type3ELi4ELb0ELb0EEvPKvS2_PKi31ggml_cuda_mm_fusion_args_devicePfj15HIP_vector_typeIjLj3EEjjjS8_jjjS8_jjjj,comdat
.Lfunc_end31:
	.size	_ZL13mul_mat_vec_qIL9ggml_type3ELi4ELb0ELb0EEvPKvS2_PKi31ggml_cuda_mm_fusion_args_devicePfj15HIP_vector_typeIjLj3EEjjjS8_jjjS8_jjjj, .Lfunc_end31-_ZL13mul_mat_vec_qIL9ggml_type3ELi4ELb0ELb0EEvPKvS2_PKi31ggml_cuda_mm_fusion_args_devicePfj15HIP_vector_typeIjLj3EEjjjS8_jjjS8_jjjj
                                        ; -- End function
	.set _ZL13mul_mat_vec_qIL9ggml_type3ELi4ELb0ELb0EEvPKvS2_PKi31ggml_cuda_mm_fusion_args_devicePfj15HIP_vector_typeIjLj3EEjjjS8_jjjS8_jjjj.num_vgpr, 34
	.set _ZL13mul_mat_vec_qIL9ggml_type3ELi4ELb0ELb0EEvPKvS2_PKi31ggml_cuda_mm_fusion_args_devicePfj15HIP_vector_typeIjLj3EEjjjS8_jjjS8_jjjj.num_agpr, 0
	.set _ZL13mul_mat_vec_qIL9ggml_type3ELi4ELb0ELb0EEvPKvS2_PKi31ggml_cuda_mm_fusion_args_devicePfj15HIP_vector_typeIjLj3EEjjjS8_jjjS8_jjjj.numbered_sgpr, 26
	.set _ZL13mul_mat_vec_qIL9ggml_type3ELi4ELb0ELb0EEvPKvS2_PKi31ggml_cuda_mm_fusion_args_devicePfj15HIP_vector_typeIjLj3EEjjjS8_jjjS8_jjjj.num_named_barrier, 0
	.set _ZL13mul_mat_vec_qIL9ggml_type3ELi4ELb0ELb0EEvPKvS2_PKi31ggml_cuda_mm_fusion_args_devicePfj15HIP_vector_typeIjLj3EEjjjS8_jjjS8_jjjj.private_seg_size, 0
	.set _ZL13mul_mat_vec_qIL9ggml_type3ELi4ELb0ELb0EEvPKvS2_PKi31ggml_cuda_mm_fusion_args_devicePfj15HIP_vector_typeIjLj3EEjjjS8_jjjS8_jjjj.uses_vcc, 1
	.set _ZL13mul_mat_vec_qIL9ggml_type3ELi4ELb0ELb0EEvPKvS2_PKi31ggml_cuda_mm_fusion_args_devicePfj15HIP_vector_typeIjLj3EEjjjS8_jjjS8_jjjj.uses_flat_scratch, 0
	.set _ZL13mul_mat_vec_qIL9ggml_type3ELi4ELb0ELb0EEvPKvS2_PKi31ggml_cuda_mm_fusion_args_devicePfj15HIP_vector_typeIjLj3EEjjjS8_jjjS8_jjjj.has_dyn_sized_stack, 0
	.set _ZL13mul_mat_vec_qIL9ggml_type3ELi4ELb0ELb0EEvPKvS2_PKi31ggml_cuda_mm_fusion_args_devicePfj15HIP_vector_typeIjLj3EEjjjS8_jjjS8_jjjj.has_recursion, 0
	.set _ZL13mul_mat_vec_qIL9ggml_type3ELi4ELb0ELb0EEvPKvS2_PKi31ggml_cuda_mm_fusion_args_devicePfj15HIP_vector_typeIjLj3EEjjjS8_jjjS8_jjjj.has_indirect_call, 0
	.section	.AMDGPU.csdata,"",@progbits
; Kernel info:
; codeLenInByte = 2776
; TotalNumSgprs: 30
; NumVgprs: 34
; ScratchSize: 0
; MemoryBound: 0
; FloatMode: 240
; IeeeMode: 1
; LDSByteSize: 2048 bytes/workgroup (compile time only)
; SGPRBlocks: 8
; VGPRBlocks: 8
; NumSGPRsForWavesPerEU: 65
; NumVGPRsForWavesPerEU: 34
; Occupancy: 7
; WaveLimiterHint : 0
; COMPUTE_PGM_RSRC2:SCRATCH_EN: 0
; COMPUTE_PGM_RSRC2:USER_SGPR: 6
; COMPUTE_PGM_RSRC2:TRAP_HANDLER: 0
; COMPUTE_PGM_RSRC2:TGID_X_EN: 1
; COMPUTE_PGM_RSRC2:TGID_Y_EN: 1
; COMPUTE_PGM_RSRC2:TGID_Z_EN: 1
; COMPUTE_PGM_RSRC2:TIDIG_COMP_CNT: 1
	.section	.text._ZL13mul_mat_vec_qIL9ggml_type3ELi5ELb0ELb0EEvPKvS2_PKi31ggml_cuda_mm_fusion_args_devicePfj15HIP_vector_typeIjLj3EEjjjS8_jjjS8_jjjj,"axG",@progbits,_ZL13mul_mat_vec_qIL9ggml_type3ELi5ELb0ELb0EEvPKvS2_PKi31ggml_cuda_mm_fusion_args_devicePfj15HIP_vector_typeIjLj3EEjjjS8_jjjS8_jjjj,comdat
	.globl	_ZL13mul_mat_vec_qIL9ggml_type3ELi5ELb0ELb0EEvPKvS2_PKi31ggml_cuda_mm_fusion_args_devicePfj15HIP_vector_typeIjLj3EEjjjS8_jjjS8_jjjj ; -- Begin function _ZL13mul_mat_vec_qIL9ggml_type3ELi5ELb0ELb0EEvPKvS2_PKi31ggml_cuda_mm_fusion_args_devicePfj15HIP_vector_typeIjLj3EEjjjS8_jjjS8_jjjj
	.p2align	8
	.type	_ZL13mul_mat_vec_qIL9ggml_type3ELi5ELb0ELb0EEvPKvS2_PKi31ggml_cuda_mm_fusion_args_devicePfj15HIP_vector_typeIjLj3EEjjjS8_jjjS8_jjjj,@function
_ZL13mul_mat_vec_qIL9ggml_type3ELi5ELb0ELb0EEvPKvS2_PKi31ggml_cuda_mm_fusion_args_devicePfj15HIP_vector_typeIjLj3EEjjjS8_jjjS8_jjjj: ; @_ZL13mul_mat_vec_qIL9ggml_type3ELi5ELb0ELb0EEvPKvS2_PKi31ggml_cuda_mm_fusion_args_devicePfj15HIP_vector_typeIjLj3EEjjjS8_jjjS8_jjjj
; %bb.0:
	s_load_dword s9, s[4:5], 0x40
	s_load_dwordx4 s[0:3], s[4:5], 0x50
	s_load_dword s25, s[4:5], 0x60
	s_load_dwordx4 s[12:15], s[4:5], 0x68
	;; [unrolled: 2-line block ×3, first 2 shown]
	v_lshl_or_b32 v2, v1, 6, v0
	s_waitcnt lgkmcnt(0)
	s_lshr_b32 s9, s9, 5
	v_lshrrev_b16_e32 v14, 1, v2
	v_mov_b32_e32 v4, 0
	s_lshl_b32 s6, s6, 1
	v_cmp_gt_u32_e32 vcc, s9, v14
	v_mov_b32_e32 v5, v4
	v_mov_b32_e32 v6, v4
	;; [unrolled: 1-line block ×9, first 2 shown]
	s_and_saveexec_b64 s[10:11], vcc
	s_cbranch_execz .LBB32_4
; %bb.1:
	s_load_dwordx4 s[20:23], s[4:5], 0x0
	s_mul_i32 s17, s17, s8
	s_mul_hi_u32 s19, s17, 36
	s_mul_i32 s17, s17, 36
	s_mul_i32 s13, s13, s7
	s_waitcnt lgkmcnt(0)
	s_add_u32 s17, s22, s17
	s_addc_u32 s19, s23, s19
	s_mul_hi_u32 s23, s13, 36
	s_mul_i32 s13, s13, 36
	s_add_u32 s22, s17, s13
	s_mul_hi_u32 s3, s3, s7
	s_addc_u32 s23, s19, s23
	s_add_i32 s3, s7, s3
	s_lshr_b32 s3, s3, s25
	s_mul_i32 s3, s3, s12
	s_mul_hi_u32 s12, s15, s8
	s_add_i32 s12, s8, s12
	s_lshr_b32 s12, s12, s24
	s_mul_i32 s12, s12, s16
	v_lshlrev_b32_e32 v3, 1, v0
	s_add_i32 s13, s6, 1
	v_and_b32_e32 v5, 2, v3
	s_add_i32 s12, s12, s3
	s_mul_i32 s3, s6, s0
	s_mul_i32 s0, s0, s13
	v_and_b32_e32 v3, 1, v0
	v_lshrrev_b32_e32 v2, 1, v2
	s_add_i32 s3, s12, s3
	s_add_i32 s0, s12, s0
	v_lshlrev_b32_e32 v15, 3, v3
	v_mad_u64_u32 v[2:3], s[12:13], v2, 36, s[22:23]
	v_mov_b32_e32 v4, 0
	s_lshl_b32 s15, s1, 1
	s_mul_i32 s16, s1, 3
	s_lshl_b32 s17, s1, 2
	s_mov_b64 s[12:13], 0
	v_lshlrev_b32_e32 v16, 2, v5
	v_mov_b32_e32 v5, v4
	v_mov_b32_e32 v6, v4
	;; [unrolled: 1-line block ×9, first 2 shown]
.LBB32_2:                               ; =>This Inner Loop Header: Depth=1
	v_add_co_u32_e32 v17, vcc, v2, v15
	v_add_u32_e32 v19, s3, v14
	v_addc_co_u32_e32 v18, vcc, 0, v3, vcc
	global_load_dwordx2 v[23:24], v[17:18], off offset:4
	global_load_dwordx2 v[25:26], v[17:18], off offset:20
	global_load_dword v33, v[2:3], off
	v_mad_i64_i32 v[18:19], s[24:25], v19, 20, s[20:21]
	v_add_co_u32_e32 v20, vcc, v18, v16
	v_addc_co_u32_e32 v21, vcc, 0, v19, vcc
	global_load_dwordx2 v[27:28], v[20:21], off offset:4
	global_load_dword v17, v[18:19], off
	s_waitcnt vmcnt(1)
	v_and_b32_e32 v18, 0xf0f0f0f, v27
	v_lshrrev_b32_e32 v19, 4, v27
	v_and_b32_e32 v19, 0xf0f0f0f, v19
	v_dot4_i32_i8 v20, v18, v23, 0
	v_dot4_i32_i8 v22, v19, v25, v20
	v_and_b32_e32 v20, 0xf0f0f0f, v28
	v_lshrrev_b32_e32 v21, 4, v28
	v_and_b32_e32 v21, 0xf0f0f0f, v21
	v_dot4_i32_i8 v22, v20, v24, v22
	s_waitcnt vmcnt(0)
	v_pk_mul_f16 v27, v17, v33
	v_dot4_i32_i8 v22, v21, v26, v22
	v_cvt_f32_f16_sdwa v28, v27 dst_sel:DWORD dst_unused:UNUSED_PAD src0_sel:WORD_1
	v_cvt_f32_i32_e32 v22, v22
	v_mul_f32_e32 v28, 0.5, v28
	v_fma_mix_f32 v22, v22, v27, v28 op_sel_hi:[0,1,0]
	v_add_f32_e32 v13, v13, v22
	v_add_u32_e32 v22, s0, v14
	v_mad_i64_i32 v[27:28], s[24:25], v22, 20, s[20:21]
	v_add_co_u32_e32 v29, vcc, v27, v16
	v_addc_co_u32_e32 v30, vcc, 0, v28, vcc
	global_load_dwordx2 v[31:32], v[29:30], off offset:4
	global_load_dword v22, v[27:28], off
	s_waitcnt vmcnt(1)
	v_and_b32_e32 v34, 0xf0f0f0f, v31
	v_lshrrev_b32_e32 v27, 4, v31
	v_and_b32_e32 v31, 0xf0f0f0f, v27
	v_dot4_i32_i8 v23, v34, v23, 0
	v_dot4_i32_i8 v23, v31, v25, v23
	v_and_b32_e32 v35, 0xf0f0f0f, v32
	v_lshrrev_b32_e32 v25, 4, v32
	v_and_b32_e32 v32, 0xf0f0f0f, v25
	v_dot4_i32_i8 v23, v35, v24, v23
	s_waitcnt vmcnt(0)
	v_pk_mul_f16 v24, v22, v33
	v_dot4_i32_i8 v23, v32, v26, v23
	v_cvt_f32_f16_sdwa v25, v24 dst_sel:DWORD dst_unused:UNUSED_PAD src0_sel:WORD_1
	v_cvt_f32_i32_e32 v23, v23
	v_mul_f32_e32 v25, 0.5, v25
	v_fma_mix_f32 v23, v23, v24, v25 op_sel_hi:[0,1,0]
	v_add_f32_e32 v12, v12, v23
	v_add_u32_e32 v23, s1, v14
	v_mad_u64_u32 v[23:24], s[24:25], v23, 36, s[22:23]
	v_add_co_u32_e32 v25, vcc, v23, v16
	v_addc_co_u32_e32 v26, vcc, 0, v24, vcc
	global_load_dwordx2 v[27:28], v[25:26], off offset:4
	global_load_dwordx2 v[29:30], v[25:26], off offset:20
	global_load_dword v33, v[23:24], off
	s_waitcnt vmcnt(2)
	v_dot4_i32_i8 v23, v18, v27, 0
	s_waitcnt vmcnt(1)
	v_dot4_i32_i8 v23, v19, v29, v23
	v_dot4_i32_i8 v23, v20, v28, v23
	s_waitcnt vmcnt(0)
	v_pk_mul_f16 v24, v17, v33
	v_dot4_i32_i8 v23, v21, v30, v23
	v_cvt_f32_f16_sdwa v25, v24 dst_sel:DWORD dst_unused:UNUSED_PAD src0_sel:WORD_1
	v_cvt_f32_i32_e32 v23, v23
	v_mul_f32_e32 v25, 0.5, v25
	v_fma_mix_f32 v23, v23, v24, v25 op_sel_hi:[0,1,0]
	v_add_f32_e32 v11, v11, v23
	v_dot4_i32_i8 v23, v34, v27, 0
	v_dot4_i32_i8 v23, v31, v29, v23
	v_dot4_i32_i8 v23, v35, v28, v23
	v_pk_mul_f16 v24, v22, v33
	v_dot4_i32_i8 v23, v32, v30, v23
	v_cvt_f32_f16_sdwa v25, v24 dst_sel:DWORD dst_unused:UNUSED_PAD src0_sel:WORD_1
	v_cvt_f32_i32_e32 v23, v23
	v_mul_f32_e32 v25, 0.5, v25
	v_fma_mix_f32 v23, v23, v24, v25 op_sel_hi:[0,1,0]
	v_add_f32_e32 v10, v10, v23
	v_add_u32_e32 v23, s15, v14
	v_mad_u64_u32 v[23:24], s[24:25], v23, 36, s[22:23]
	v_add_co_u32_e32 v25, vcc, v23, v16
	v_addc_co_u32_e32 v26, vcc, 0, v24, vcc
	global_load_dwordx2 v[27:28], v[25:26], off offset:4
	global_load_dwordx2 v[29:30], v[25:26], off offset:20
	global_load_dword v33, v[23:24], off
	s_waitcnt vmcnt(2)
	v_dot4_i32_i8 v23, v18, v27, 0
	s_waitcnt vmcnt(1)
	v_dot4_i32_i8 v23, v19, v29, v23
	v_dot4_i32_i8 v23, v20, v28, v23
	s_waitcnt vmcnt(0)
	v_pk_mul_f16 v24, v17, v33
	v_dot4_i32_i8 v23, v21, v30, v23
	v_cvt_f32_f16_sdwa v25, v24 dst_sel:DWORD dst_unused:UNUSED_PAD src0_sel:WORD_1
	v_cvt_f32_i32_e32 v23, v23
	v_mul_f32_e32 v25, 0.5, v25
	v_fma_mix_f32 v23, v23, v24, v25 op_sel_hi:[0,1,0]
	v_add_f32_e32 v9, v9, v23
	v_dot4_i32_i8 v23, v34, v27, 0
	v_dot4_i32_i8 v23, v31, v29, v23
	v_dot4_i32_i8 v23, v35, v28, v23
	;; [unrolled: 30-line block ×3, first 2 shown]
	v_pk_mul_f16 v24, v22, v33
	v_dot4_i32_i8 v23, v32, v30, v23
	v_cvt_f32_f16_sdwa v25, v24 dst_sel:DWORD dst_unused:UNUSED_PAD src0_sel:WORD_1
	v_cvt_f32_i32_e32 v23, v23
	v_mul_f32_e32 v25, 0.5, v25
	v_fma_mix_f32 v23, v23, v24, v25 op_sel_hi:[0,1,0]
	v_add_f32_e32 v6, v6, v23
	v_add_u32_e32 v23, s17, v14
	v_mad_u64_u32 v[23:24], s[24:25], v23, 36, s[22:23]
	v_add_u32_e32 v14, 32, v14
	v_add_co_u32_e32 v25, vcc, v23, v16
	v_addc_co_u32_e32 v26, vcc, 0, v24, vcc
	global_load_dwordx2 v[27:28], v[25:26], off offset:4
	global_load_dwordx2 v[29:30], v[25:26], off offset:20
	global_load_dword v33, v[23:24], off
	v_add_co_u32_e32 v2, vcc, 0x480, v2
	v_addc_co_u32_e32 v3, vcc, 0, v3, vcc
	v_cmp_le_u32_e32 vcc, s9, v14
	s_or_b64 s[12:13], vcc, s[12:13]
	s_waitcnt vmcnt(2)
	v_dot4_i32_i8 v18, v18, v27, 0
	s_waitcnt vmcnt(1)
	v_dot4_i32_i8 v18, v19, v29, v18
	v_dot4_i32_i8 v18, v20, v28, v18
	s_waitcnt vmcnt(0)
	v_pk_mul_f16 v17, v17, v33
	v_dot4_i32_i8 v18, v21, v30, v18
	v_cvt_f32_f16_sdwa v19, v17 dst_sel:DWORD dst_unused:UNUSED_PAD src0_sel:WORD_1
	v_cvt_f32_i32_e32 v18, v18
	v_mul_f32_e32 v19, 0.5, v19
	v_fma_mix_f32 v17, v18, v17, v19 op_sel_hi:[0,1,0]
	v_add_f32_e32 v5, v5, v17
	v_dot4_i32_i8 v17, v34, v27, 0
	v_dot4_i32_i8 v17, v31, v29, v17
	;; [unrolled: 1-line block ×3, first 2 shown]
	v_pk_mul_f16 v18, v22, v33
	v_dot4_i32_i8 v17, v32, v30, v17
	v_cvt_f32_f16_sdwa v19, v18 dst_sel:DWORD dst_unused:UNUSED_PAD src0_sel:WORD_1
	v_cvt_f32_i32_e32 v17, v17
	v_mul_f32_e32 v19, 0.5, v19
	v_fma_mix_f32 v17, v17, v18, v19 op_sel_hi:[0,1,0]
	v_add_f32_e32 v4, v4, v17
	s_andn2_b64 exec, exec, s[12:13]
	s_cbranch_execnz .LBB32_2
; %bb.3:
	s_or_b64 exec, exec, s[12:13]
.LBB32_4:
	s_or_b64 exec, exec, s[10:11]
	s_mov_b32 s1, 0
	v_cmp_eq_u32_e32 vcc, 0, v1
	; wave barrier
	s_and_saveexec_b64 s[10:11], vcc
	s_cbranch_execz .LBB32_15
; %bb.5:
	v_mbcnt_lo_u32_b32 v1, -1, 0
	v_mbcnt_hi_u32_b32 v15, -1, v1
	v_and_b32_e32 v1, 64, v15
	v_add_u32_e32 v16, 64, v1
	v_xor_b32_e32 v1, 32, v15
	v_cmp_lt_i32_e32 vcc, v1, v16
	v_cndmask_b32_e32 v1, v15, v1, vcc
	v_lshlrev_b32_e32 v1, 2, v1
	ds_bpermute_b32 v17, v1, v13
	ds_bpermute_b32 v18, v1, v12
	v_xor_b32_e32 v2, 16, v15
	v_cmp_lt_i32_e32 vcc, v2, v16
	v_cndmask_b32_e32 v2, v15, v2, vcc
	v_lshlrev_b32_e32 v2, 2, v2
	s_waitcnt lgkmcnt(1)
	v_add_f32_e32 v13, v13, v17
	s_waitcnt lgkmcnt(0)
	v_add_f32_e32 v12, v12, v18
	ds_bpermute_b32 v17, v2, v13
	ds_bpermute_b32 v18, v2, v12
	v_xor_b32_e32 v3, 8, v15
	v_cmp_lt_i32_e32 vcc, v3, v16
	v_cndmask_b32_e32 v3, v15, v3, vcc
	v_lshlrev_b32_e32 v3, 2, v3
	s_waitcnt lgkmcnt(1)
	v_add_f32_e32 v13, v13, v17
	s_waitcnt lgkmcnt(0)
	v_add_f32_e32 v18, v12, v18
	;; [unrolled: 10-line block ×3, first 2 shown]
	ds_bpermute_b32 v17, v14, v13
	ds_bpermute_b32 v20, v14, v18
	v_xor_b32_e32 v19, 2, v15
	v_cmp_lt_i32_e32 vcc, v19, v16
	v_cndmask_b32_e32 v19, v15, v19, vcc
	v_lshlrev_b32_e32 v12, 2, v19
	v_xor_b32_e32 v19, 1, v15
	v_cmp_lt_i32_e32 vcc, v19, v16
	s_waitcnt lgkmcnt(1)
	v_add_f32_e32 v13, v13, v17
	s_waitcnt lgkmcnt(0)
	v_add_f32_e32 v18, v18, v20
	v_cndmask_b32_e32 v15, v15, v19, vcc
	ds_bpermute_b32 v17, v12, v13
	ds_bpermute_b32 v19, v12, v18
	s_load_dwordx2 s[4:5], s[4:5], 0x38
	s_mul_i32 s3, s14, s7
	v_lshlrev_b32_e32 v16, 2, v15
	s_waitcnt lgkmcnt(0)
	v_add_f32_e32 v13, v13, v17
	v_add_f32_e32 v17, v18, v19
	s_mul_i32 s0, s18, s8
	s_add_i32 s3, s3, s6
	ds_bpermute_b32 v15, v16, v13
	ds_bpermute_b32 v18, v16, v17
	s_add_i32 s0, s3, s0
	s_lshl_b64 s[0:1], s[0:1], 2
	s_add_u32 s4, s4, s0
	v_add_u32_e32 v19, s6, v0
	s_addc_u32 s5, s5, s1
	v_cmp_gt_u32_e32 vcc, 2, v0
	v_cmp_gt_u32_e64 s[0:1], s2, v19
	s_and_b64 s[0:1], vcc, s[0:1]
	s_waitcnt lgkmcnt(1)
	v_add_f32_e32 v13, v13, v15
	s_waitcnt lgkmcnt(0)
	v_add_f32_e32 v15, v17, v18
	s_and_saveexec_b64 s[6:7], s[0:1]
	s_cbranch_execz .LBB32_7
; %bb.6:
	v_cmp_eq_u32_e32 vcc, 1, v0
	v_cndmask_b32_e32 v17, v13, v15, vcc
	v_cmp_eq_u32_e32 vcc, 2, v0
	v_cndmask_b32_e32 v17, v17, v11, vcc
	;; [unrolled: 2-line block ×9, first 2 shown]
	v_lshlrev_b32_e32 v18, 2, v0
	global_store_dword v18, v17, s[4:5]
.LBB32_7:
	s_or_b64 exec, exec, s[6:7]
	ds_bpermute_b32 v17, v1, v11
	ds_bpermute_b32 v18, v1, v10
	s_waitcnt lgkmcnt(1)
	v_add_f32_e32 v11, v11, v17
	s_waitcnt lgkmcnt(0)
	v_add_f32_e32 v10, v10, v18
	ds_bpermute_b32 v17, v2, v11
	ds_bpermute_b32 v18, v2, v10
	s_waitcnt lgkmcnt(1)
	v_add_f32_e32 v11, v11, v17
	s_waitcnt lgkmcnt(0)
	v_add_f32_e32 v10, v10, v18
	;; [unrolled: 6-line block ×6, first 2 shown]
	s_and_saveexec_b64 s[6:7], s[0:1]
	s_cbranch_execz .LBB32_9
; %bb.8:
	v_add_u32_e32 v17, 2, v0
	v_cmp_eq_u32_e32 vcc, 1, v17
	v_cndmask_b32_e32 v18, v13, v15, vcc
	v_cmp_eq_u32_e32 vcc, 2, v17
	v_cndmask_b32_e32 v18, v18, v11, vcc
	;; [unrolled: 2-line block ×9, first 2 shown]
	v_add_u32_e32 v17, s2, v0
	v_mov_b32_e32 v18, 0
	v_lshlrev_b64 v[17:18], 2, v[17:18]
	v_mov_b32_e32 v20, s5
	v_add_co_u32_e32 v17, vcc, s4, v17
	v_addc_co_u32_e32 v18, vcc, v20, v18, vcc
	global_store_dword v[17:18], v19, off
.LBB32_9:
	s_or_b64 exec, exec, s[6:7]
	ds_bpermute_b32 v17, v1, v9
	ds_bpermute_b32 v18, v1, v8
	s_waitcnt lgkmcnt(1)
	v_add_f32_e32 v9, v9, v17
	s_waitcnt lgkmcnt(0)
	v_add_f32_e32 v8, v8, v18
	ds_bpermute_b32 v17, v2, v9
	ds_bpermute_b32 v18, v2, v8
	s_waitcnt lgkmcnt(1)
	v_add_f32_e32 v9, v9, v17
	s_waitcnt lgkmcnt(0)
	v_add_f32_e32 v8, v8, v18
	ds_bpermute_b32 v17, v3, v9
	ds_bpermute_b32 v18, v3, v8
	s_waitcnt lgkmcnt(1)
	v_add_f32_e32 v9, v9, v17
	s_waitcnt lgkmcnt(0)
	v_add_f32_e32 v8, v8, v18
	ds_bpermute_b32 v17, v14, v9
	ds_bpermute_b32 v18, v14, v8
	s_waitcnt lgkmcnt(1)
	v_add_f32_e32 v9, v9, v17
	s_waitcnt lgkmcnt(0)
	v_add_f32_e32 v8, v8, v18
	ds_bpermute_b32 v17, v12, v9
	ds_bpermute_b32 v18, v12, v8
	s_waitcnt lgkmcnt(1)
	v_add_f32_e32 v9, v9, v17
	s_waitcnt lgkmcnt(0)
	v_add_f32_e32 v8, v8, v18
	ds_bpermute_b32 v17, v16, v9
	ds_bpermute_b32 v18, v16, v8
	s_waitcnt lgkmcnt(1)
	v_add_f32_e32 v9, v9, v17
	s_waitcnt lgkmcnt(0)
	v_add_f32_e32 v8, v8, v18
	s_and_saveexec_b64 s[6:7], s[0:1]
	s_cbranch_execz .LBB32_11
; %bb.10:
	v_add_u32_e32 v17, 4, v0
	v_cmp_eq_u32_e32 vcc, 1, v17
	v_cndmask_b32_e32 v18, v13, v15, vcc
	v_cmp_eq_u32_e32 vcc, 2, v17
	v_cndmask_b32_e32 v18, v18, v11, vcc
	v_cmp_eq_u32_e32 vcc, 3, v17
	v_cndmask_b32_e32 v18, v18, v10, vcc
	v_cmp_eq_u32_e32 vcc, 4, v17
	v_cndmask_b32_e32 v18, v18, v9, vcc
	v_cmp_eq_u32_e32 vcc, 5, v17
	v_cndmask_b32_e32 v18, v18, v8, vcc
	v_cmp_eq_u32_e32 vcc, 6, v17
	v_cndmask_b32_e32 v18, v18, v7, vcc
	v_cmp_eq_u32_e32 vcc, 7, v17
	v_cndmask_b32_e32 v18, v18, v6, vcc
	v_cmp_eq_u32_e32 vcc, 8, v17
	v_cndmask_b32_e32 v18, v18, v5, vcc
	v_cmp_eq_u32_e32 vcc, 9, v17
	v_cndmask_b32_e32 v19, v18, v4, vcc
	v_lshl_or_b32 v17, s2, 1, v0
	v_mov_b32_e32 v18, 0
	v_lshlrev_b64 v[17:18], 2, v[17:18]
	v_mov_b32_e32 v20, s5
	v_add_co_u32_e32 v17, vcc, s4, v17
	v_addc_co_u32_e32 v18, vcc, v20, v18, vcc
	global_store_dword v[17:18], v19, off
.LBB32_11:
	s_or_b64 exec, exec, s[6:7]
	ds_bpermute_b32 v17, v1, v7
	ds_bpermute_b32 v18, v1, v6
	s_waitcnt lgkmcnt(1)
	v_add_f32_e32 v7, v7, v17
	s_waitcnt lgkmcnt(0)
	v_add_f32_e32 v6, v6, v18
	ds_bpermute_b32 v17, v2, v7
	ds_bpermute_b32 v18, v2, v6
	s_waitcnt lgkmcnt(1)
	v_add_f32_e32 v7, v7, v17
	s_waitcnt lgkmcnt(0)
	v_add_f32_e32 v6, v6, v18
	;; [unrolled: 6-line block ×6, first 2 shown]
	s_and_saveexec_b64 s[6:7], s[0:1]
	s_cbranch_execz .LBB32_13
; %bb.12:
	v_add_u32_e32 v19, 6, v0
	v_cmp_eq_u32_e32 vcc, 1, v19
	v_cndmask_b32_e32 v17, v13, v15, vcc
	v_cmp_eq_u32_e32 vcc, 2, v19
	v_cndmask_b32_e32 v17, v17, v11, vcc
	;; [unrolled: 2-line block ×8, first 2 shown]
	v_mad_u64_u32 v[17:18], s[8:9], s2, 3, v[0:1]
	v_mov_b32_e32 v18, 0
	v_cmp_eq_u32_e32 vcc, 9, v19
	v_lshlrev_b64 v[17:18], 2, v[17:18]
	v_cndmask_b32_e32 v19, v20, v4, vcc
	v_mov_b32_e32 v20, s5
	v_add_co_u32_e32 v17, vcc, s4, v17
	v_addc_co_u32_e32 v18, vcc, v20, v18, vcc
	global_store_dword v[17:18], v19, off
.LBB32_13:
	s_or_b64 exec, exec, s[6:7]
	ds_bpermute_b32 v17, v1, v5
	ds_bpermute_b32 v1, v1, v4
	s_waitcnt lgkmcnt(1)
	v_add_f32_e32 v5, v5, v17
	s_waitcnt lgkmcnt(0)
	v_add_f32_e32 v1, v4, v1
	ds_bpermute_b32 v4, v2, v5
	ds_bpermute_b32 v2, v2, v1
	s_waitcnt lgkmcnt(1)
	v_add_f32_e32 v4, v5, v4
	s_waitcnt lgkmcnt(0)
	v_add_f32_e32 v1, v1, v2
	ds_bpermute_b32 v2, v3, v4
	ds_bpermute_b32 v3, v3, v1
	s_waitcnt lgkmcnt(1)
	v_add_f32_e32 v2, v4, v2
	s_waitcnt lgkmcnt(0)
	v_add_f32_e32 v1, v1, v3
	ds_bpermute_b32 v3, v14, v2
	ds_bpermute_b32 v4, v14, v1
	s_waitcnt lgkmcnt(1)
	v_add_f32_e32 v2, v2, v3
	s_waitcnt lgkmcnt(0)
	v_add_f32_e32 v3, v1, v4
	ds_bpermute_b32 v1, v12, v2
	ds_bpermute_b32 v4, v12, v3
	s_waitcnt lgkmcnt(1)
	v_add_f32_e32 v1, v2, v1
	s_waitcnt lgkmcnt(0)
	v_add_f32_e32 v2, v3, v4
	ds_bpermute_b32 v3, v16, v1
	ds_bpermute_b32 v4, v16, v2
	s_and_b64 exec, exec, s[0:1]
	s_cbranch_execz .LBB32_15
; %bb.14:
	s_waitcnt lgkmcnt(1)
	v_add_f32_e32 v1, v1, v3
	v_add_u32_e32 v3, 8, v0
	v_cmp_eq_u32_e32 vcc, 1, v3
	s_waitcnt lgkmcnt(0)
	v_add_f32_e32 v2, v2, v4
	v_cndmask_b32_e32 v4, v13, v15, vcc
	v_cmp_eq_u32_e32 vcc, 2, v3
	v_cndmask_b32_e32 v4, v4, v11, vcc
	v_cmp_eq_u32_e32 vcc, 3, v3
	;; [unrolled: 2-line block ×8, first 2 shown]
	v_cndmask_b32_e32 v2, v1, v2, vcc
	v_lshl_or_b32 v0, s2, 2, v0
	v_mov_b32_e32 v1, 0
	v_lshlrev_b64 v[0:1], 2, v[0:1]
	v_mov_b32_e32 v3, s5
	v_add_co_u32_e32 v0, vcc, s4, v0
	v_addc_co_u32_e32 v1, vcc, v3, v1, vcc
	global_store_dword v[0:1], v2, off
.LBB32_15:
	s_endpgm
	.section	.rodata,"a",@progbits
	.p2align	6, 0x0
	.amdhsa_kernel _ZL13mul_mat_vec_qIL9ggml_type3ELi5ELb0ELb0EEvPKvS2_PKi31ggml_cuda_mm_fusion_args_devicePfj15HIP_vector_typeIjLj3EEjjjS8_jjjS8_jjjj
		.amdhsa_group_segment_fixed_size 0
		.amdhsa_private_segment_fixed_size 0
		.amdhsa_kernarg_size 144
		.amdhsa_user_sgpr_count 6
		.amdhsa_user_sgpr_private_segment_buffer 1
		.amdhsa_user_sgpr_dispatch_ptr 0
		.amdhsa_user_sgpr_queue_ptr 0
		.amdhsa_user_sgpr_kernarg_segment_ptr 1
		.amdhsa_user_sgpr_dispatch_id 0
		.amdhsa_user_sgpr_flat_scratch_init 0
		.amdhsa_user_sgpr_private_segment_size 0
		.amdhsa_uses_dynamic_stack 0
		.amdhsa_system_sgpr_private_segment_wavefront_offset 0
		.amdhsa_system_sgpr_workgroup_id_x 1
		.amdhsa_system_sgpr_workgroup_id_y 1
		.amdhsa_system_sgpr_workgroup_id_z 1
		.amdhsa_system_sgpr_workgroup_info 0
		.amdhsa_system_vgpr_workitem_id 1
		.amdhsa_next_free_vgpr 36
		.amdhsa_next_free_sgpr 26
		.amdhsa_reserve_vcc 1
		.amdhsa_reserve_flat_scratch 0
		.amdhsa_float_round_mode_32 0
		.amdhsa_float_round_mode_16_64 0
		.amdhsa_float_denorm_mode_32 3
		.amdhsa_float_denorm_mode_16_64 3
		.amdhsa_dx10_clamp 1
		.amdhsa_ieee_mode 1
		.amdhsa_fp16_overflow 0
		.amdhsa_exception_fp_ieee_invalid_op 0
		.amdhsa_exception_fp_denorm_src 0
		.amdhsa_exception_fp_ieee_div_zero 0
		.amdhsa_exception_fp_ieee_overflow 0
		.amdhsa_exception_fp_ieee_underflow 0
		.amdhsa_exception_fp_ieee_inexact 0
		.amdhsa_exception_int_div_zero 0
	.end_amdhsa_kernel
	.section	.text._ZL13mul_mat_vec_qIL9ggml_type3ELi5ELb0ELb0EEvPKvS2_PKi31ggml_cuda_mm_fusion_args_devicePfj15HIP_vector_typeIjLj3EEjjjS8_jjjS8_jjjj,"axG",@progbits,_ZL13mul_mat_vec_qIL9ggml_type3ELi5ELb0ELb0EEvPKvS2_PKi31ggml_cuda_mm_fusion_args_devicePfj15HIP_vector_typeIjLj3EEjjjS8_jjjS8_jjjj,comdat
.Lfunc_end32:
	.size	_ZL13mul_mat_vec_qIL9ggml_type3ELi5ELb0ELb0EEvPKvS2_PKi31ggml_cuda_mm_fusion_args_devicePfj15HIP_vector_typeIjLj3EEjjjS8_jjjS8_jjjj, .Lfunc_end32-_ZL13mul_mat_vec_qIL9ggml_type3ELi5ELb0ELb0EEvPKvS2_PKi31ggml_cuda_mm_fusion_args_devicePfj15HIP_vector_typeIjLj3EEjjjS8_jjjS8_jjjj
                                        ; -- End function
	.set _ZL13mul_mat_vec_qIL9ggml_type3ELi5ELb0ELb0EEvPKvS2_PKi31ggml_cuda_mm_fusion_args_devicePfj15HIP_vector_typeIjLj3EEjjjS8_jjjS8_jjjj.num_vgpr, 36
	.set _ZL13mul_mat_vec_qIL9ggml_type3ELi5ELb0ELb0EEvPKvS2_PKi31ggml_cuda_mm_fusion_args_devicePfj15HIP_vector_typeIjLj3EEjjjS8_jjjS8_jjjj.num_agpr, 0
	.set _ZL13mul_mat_vec_qIL9ggml_type3ELi5ELb0ELb0EEvPKvS2_PKi31ggml_cuda_mm_fusion_args_devicePfj15HIP_vector_typeIjLj3EEjjjS8_jjjS8_jjjj.numbered_sgpr, 26
	.set _ZL13mul_mat_vec_qIL9ggml_type3ELi5ELb0ELb0EEvPKvS2_PKi31ggml_cuda_mm_fusion_args_devicePfj15HIP_vector_typeIjLj3EEjjjS8_jjjS8_jjjj.num_named_barrier, 0
	.set _ZL13mul_mat_vec_qIL9ggml_type3ELi5ELb0ELb0EEvPKvS2_PKi31ggml_cuda_mm_fusion_args_devicePfj15HIP_vector_typeIjLj3EEjjjS8_jjjS8_jjjj.private_seg_size, 0
	.set _ZL13mul_mat_vec_qIL9ggml_type3ELi5ELb0ELb0EEvPKvS2_PKi31ggml_cuda_mm_fusion_args_devicePfj15HIP_vector_typeIjLj3EEjjjS8_jjjS8_jjjj.uses_vcc, 1
	.set _ZL13mul_mat_vec_qIL9ggml_type3ELi5ELb0ELb0EEvPKvS2_PKi31ggml_cuda_mm_fusion_args_devicePfj15HIP_vector_typeIjLj3EEjjjS8_jjjS8_jjjj.uses_flat_scratch, 0
	.set _ZL13mul_mat_vec_qIL9ggml_type3ELi5ELb0ELb0EEvPKvS2_PKi31ggml_cuda_mm_fusion_args_devicePfj15HIP_vector_typeIjLj3EEjjjS8_jjjS8_jjjj.has_dyn_sized_stack, 0
	.set _ZL13mul_mat_vec_qIL9ggml_type3ELi5ELb0ELb0EEvPKvS2_PKi31ggml_cuda_mm_fusion_args_devicePfj15HIP_vector_typeIjLj3EEjjjS8_jjjS8_jjjj.has_recursion, 0
	.set _ZL13mul_mat_vec_qIL9ggml_type3ELi5ELb0ELb0EEvPKvS2_PKi31ggml_cuda_mm_fusion_args_devicePfj15HIP_vector_typeIjLj3EEjjjS8_jjjS8_jjjj.has_indirect_call, 0
	.section	.AMDGPU.csdata,"",@progbits
; Kernel info:
; codeLenInByte = 3216
; TotalNumSgprs: 30
; NumVgprs: 36
; ScratchSize: 0
; MemoryBound: 0
; FloatMode: 240
; IeeeMode: 1
; LDSByteSize: 0 bytes/workgroup (compile time only)
; SGPRBlocks: 3
; VGPRBlocks: 8
; NumSGPRsForWavesPerEU: 30
; NumVGPRsForWavesPerEU: 36
; Occupancy: 7
; WaveLimiterHint : 0
; COMPUTE_PGM_RSRC2:SCRATCH_EN: 0
; COMPUTE_PGM_RSRC2:USER_SGPR: 6
; COMPUTE_PGM_RSRC2:TRAP_HANDLER: 0
; COMPUTE_PGM_RSRC2:TGID_X_EN: 1
; COMPUTE_PGM_RSRC2:TGID_Y_EN: 1
; COMPUTE_PGM_RSRC2:TGID_Z_EN: 1
; COMPUTE_PGM_RSRC2:TIDIG_COMP_CNT: 1
	.section	.text._ZL13mul_mat_vec_qIL9ggml_type3ELi6ELb0ELb0EEvPKvS2_PKi31ggml_cuda_mm_fusion_args_devicePfj15HIP_vector_typeIjLj3EEjjjS8_jjjS8_jjjj,"axG",@progbits,_ZL13mul_mat_vec_qIL9ggml_type3ELi6ELb0ELb0EEvPKvS2_PKi31ggml_cuda_mm_fusion_args_devicePfj15HIP_vector_typeIjLj3EEjjjS8_jjjS8_jjjj,comdat
	.globl	_ZL13mul_mat_vec_qIL9ggml_type3ELi6ELb0ELb0EEvPKvS2_PKi31ggml_cuda_mm_fusion_args_devicePfj15HIP_vector_typeIjLj3EEjjjS8_jjjS8_jjjj ; -- Begin function _ZL13mul_mat_vec_qIL9ggml_type3ELi6ELb0ELb0EEvPKvS2_PKi31ggml_cuda_mm_fusion_args_devicePfj15HIP_vector_typeIjLj3EEjjjS8_jjjS8_jjjj
	.p2align	8
	.type	_ZL13mul_mat_vec_qIL9ggml_type3ELi6ELb0ELb0EEvPKvS2_PKi31ggml_cuda_mm_fusion_args_devicePfj15HIP_vector_typeIjLj3EEjjjS8_jjjS8_jjjj,@function
_ZL13mul_mat_vec_qIL9ggml_type3ELi6ELb0ELb0EEvPKvS2_PKi31ggml_cuda_mm_fusion_args_devicePfj15HIP_vector_typeIjLj3EEjjjS8_jjjS8_jjjj: ; @_ZL13mul_mat_vec_qIL9ggml_type3ELi6ELb0ELb0EEvPKvS2_PKi31ggml_cuda_mm_fusion_args_devicePfj15HIP_vector_typeIjLj3EEjjjS8_jjjS8_jjjj
; %bb.0:
	s_load_dword s9, s[4:5], 0x40
	s_load_dwordx4 s[0:3], s[4:5], 0x50
	s_load_dword s25, s[4:5], 0x60
	s_load_dwordx4 s[12:15], s[4:5], 0x68
	;; [unrolled: 2-line block ×3, first 2 shown]
	v_lshl_or_b32 v2, v1, 6, v0
	s_waitcnt lgkmcnt(0)
	s_lshr_b32 s9, s9, 5
	v_lshrrev_b16_e32 v16, 1, v2
	v_mov_b32_e32 v4, 0
	s_lshl_b32 s6, s6, 1
	v_cmp_gt_u32_e32 vcc, s9, v16
	v_mov_b32_e32 v5, v4
	v_mov_b32_e32 v6, v4
	;; [unrolled: 1-line block ×11, first 2 shown]
	s_and_saveexec_b64 s[10:11], vcc
	s_cbranch_execz .LBB33_4
; %bb.1:
	s_load_dwordx4 s[20:23], s[4:5], 0x0
	s_mul_i32 s17, s17, s8
	s_mul_hi_u32 s19, s17, 36
	s_mul_i32 s17, s17, 36
	s_mul_i32 s13, s13, s7
	s_waitcnt lgkmcnt(0)
	s_add_u32 s17, s22, s17
	s_addc_u32 s19, s23, s19
	s_mul_hi_u32 s23, s13, 36
	s_mul_i32 s13, s13, 36
	s_add_u32 s22, s17, s13
	s_mul_hi_u32 s3, s3, s7
	s_addc_u32 s23, s19, s23
	s_add_i32 s3, s7, s3
	s_lshr_b32 s3, s3, s25
	s_mul_i32 s3, s3, s12
	s_mul_hi_u32 s12, s15, s8
	s_add_i32 s12, s8, s12
	s_lshr_b32 s12, s12, s24
	s_mul_i32 s12, s12, s16
	v_lshlrev_b32_e32 v3, 1, v0
	s_add_i32 s13, s6, 1
	v_and_b32_e32 v5, 2, v3
	s_add_i32 s12, s12, s3
	s_mul_i32 s3, s6, s0
	s_mul_i32 s0, s0, s13
	v_and_b32_e32 v3, 1, v0
	v_lshrrev_b32_e32 v2, 1, v2
	s_add_i32 s3, s12, s3
	s_add_i32 s0, s12, s0
	v_lshlrev_b32_e32 v17, 3, v3
	v_mad_u64_u32 v[2:3], s[12:13], v2, 36, s[22:23]
	v_mov_b32_e32 v4, 0
	s_lshl_b32 s15, s1, 1
	s_mul_i32 s16, s1, 3
	s_lshl_b32 s17, s1, 2
	s_mul_i32 s19, s1, 5
	s_mov_b64 s[12:13], 0
	v_lshlrev_b32_e32 v18, 2, v5
	v_mov_b32_e32 v5, v4
	v_mov_b32_e32 v6, v4
	;; [unrolled: 1-line block ×11, first 2 shown]
.LBB33_2:                               ; =>This Inner Loop Header: Depth=1
	v_add_co_u32_e32 v19, vcc, v2, v17
	v_add_u32_e32 v21, s3, v16
	v_addc_co_u32_e32 v20, vcc, 0, v3, vcc
	global_load_dwordx2 v[29:30], v[19:20], off offset:4
	global_load_dwordx2 v[31:32], v[19:20], off offset:20
	global_load_dword v35, v[2:3], off
	v_mad_i64_i32 v[20:21], s[24:25], v21, 20, s[20:21]
	v_add_co_u32_e32 v22, vcc, v20, v18
	v_addc_co_u32_e32 v23, vcc, 0, v21, vcc
	global_load_dwordx2 v[24:25], v[22:23], off offset:4
	global_load_dword v19, v[20:21], off
	s_waitcnt vmcnt(1)
	v_and_b32_e32 v20, 0xf0f0f0f, v24
	v_lshrrev_b32_e32 v21, 4, v24
	v_and_b32_e32 v21, 0xf0f0f0f, v21
	v_dot4_i32_i8 v22, v20, v29, 0
	v_dot4_i32_i8 v24, v21, v31, v22
	v_and_b32_e32 v22, 0xf0f0f0f, v25
	v_lshrrev_b32_e32 v23, 4, v25
	v_and_b32_e32 v23, 0xf0f0f0f, v23
	v_dot4_i32_i8 v24, v22, v30, v24
	s_waitcnt vmcnt(0)
	v_pk_mul_f16 v25, v19, v35
	v_dot4_i32_i8 v24, v23, v32, v24
	v_cvt_f32_f16_sdwa v26, v25 dst_sel:DWORD dst_unused:UNUSED_PAD src0_sel:WORD_1
	v_cvt_f32_i32_e32 v24, v24
	v_mul_f32_e32 v26, 0.5, v26
	v_fma_mix_f32 v24, v24, v25, v26 op_sel_hi:[0,1,0]
	v_add_f32_e32 v15, v15, v24
	v_add_u32_e32 v24, s0, v16
	v_mad_i64_i32 v[25:26], s[24:25], v24, 20, s[20:21]
	v_add_co_u32_e32 v27, vcc, v25, v18
	v_addc_co_u32_e32 v28, vcc, 0, v26, vcc
	global_load_dwordx2 v[33:34], v[27:28], off offset:4
	global_load_dword v24, v[25:26], off
	s_waitcnt vmcnt(1)
	v_and_b32_e32 v26, 0xf0f0f0f, v33
	v_lshrrev_b32_e32 v25, 4, v33
	v_and_b32_e32 v28, 0xf0f0f0f, v25
	v_dot4_i32_i8 v25, v26, v29, 0
	v_dot4_i32_i8 v29, v28, v31, v25
	v_and_b32_e32 v27, 0xf0f0f0f, v34
	v_lshrrev_b32_e32 v25, 4, v34
	v_and_b32_e32 v25, 0xf0f0f0f, v25
	v_dot4_i32_i8 v29, v27, v30, v29
	s_waitcnt vmcnt(0)
	v_pk_mul_f16 v30, v24, v35
	v_dot4_i32_i8 v29, v25, v32, v29
	v_cvt_f32_f16_sdwa v31, v30 dst_sel:DWORD dst_unused:UNUSED_PAD src0_sel:WORD_1
	v_cvt_f32_i32_e32 v29, v29
	v_mul_f32_e32 v31, 0.5, v31
	v_fma_mix_f32 v29, v29, v30, v31 op_sel_hi:[0,1,0]
	v_add_f32_e32 v14, v14, v29
	v_add_u32_e32 v29, s1, v16
	v_mad_u64_u32 v[29:30], s[24:25], v29, 36, s[22:23]
	v_add_co_u32_e32 v31, vcc, v29, v18
	v_addc_co_u32_e32 v32, vcc, 0, v30, vcc
	global_load_dwordx2 v[33:34], v[31:32], off offset:4
	global_load_dwordx2 v[35:36], v[31:32], off offset:20
	global_load_dword v37, v[29:30], off
	s_waitcnt vmcnt(2)
	v_dot4_i32_i8 v29, v20, v33, 0
	s_waitcnt vmcnt(1)
	v_dot4_i32_i8 v29, v21, v35, v29
	v_dot4_i32_i8 v29, v22, v34, v29
	s_waitcnt vmcnt(0)
	v_pk_mul_f16 v30, v19, v37
	v_dot4_i32_i8 v29, v23, v36, v29
	v_cvt_f32_f16_sdwa v31, v30 dst_sel:DWORD dst_unused:UNUSED_PAD src0_sel:WORD_1
	v_cvt_f32_i32_e32 v29, v29
	v_mul_f32_e32 v31, 0.5, v31
	v_fma_mix_f32 v29, v29, v30, v31 op_sel_hi:[0,1,0]
	v_add_f32_e32 v13, v13, v29
	v_dot4_i32_i8 v29, v26, v33, 0
	v_dot4_i32_i8 v29, v28, v35, v29
	v_dot4_i32_i8 v29, v27, v34, v29
	v_pk_mul_f16 v30, v24, v37
	v_dot4_i32_i8 v29, v25, v36, v29
	v_cvt_f32_f16_sdwa v31, v30 dst_sel:DWORD dst_unused:UNUSED_PAD src0_sel:WORD_1
	v_cvt_f32_i32_e32 v29, v29
	v_mul_f32_e32 v31, 0.5, v31
	v_fma_mix_f32 v29, v29, v30, v31 op_sel_hi:[0,1,0]
	v_add_f32_e32 v12, v12, v29
	v_add_u32_e32 v29, s15, v16
	v_mad_u64_u32 v[29:30], s[24:25], v29, 36, s[22:23]
	v_add_co_u32_e32 v31, vcc, v29, v18
	v_addc_co_u32_e32 v32, vcc, 0, v30, vcc
	global_load_dwordx2 v[33:34], v[31:32], off offset:4
	global_load_dwordx2 v[35:36], v[31:32], off offset:20
	global_load_dword v37, v[29:30], off
	s_waitcnt vmcnt(2)
	v_dot4_i32_i8 v29, v20, v33, 0
	s_waitcnt vmcnt(1)
	v_dot4_i32_i8 v29, v21, v35, v29
	v_dot4_i32_i8 v29, v22, v34, v29
	s_waitcnt vmcnt(0)
	v_pk_mul_f16 v30, v19, v37
	v_dot4_i32_i8 v29, v23, v36, v29
	v_cvt_f32_f16_sdwa v31, v30 dst_sel:DWORD dst_unused:UNUSED_PAD src0_sel:WORD_1
	v_cvt_f32_i32_e32 v29, v29
	v_mul_f32_e32 v31, 0.5, v31
	v_fma_mix_f32 v29, v29, v30, v31 op_sel_hi:[0,1,0]
	v_add_f32_e32 v11, v11, v29
	v_dot4_i32_i8 v29, v26, v33, 0
	v_dot4_i32_i8 v29, v28, v35, v29
	v_dot4_i32_i8 v29, v27, v34, v29
	;; [unrolled: 30-line block ×4, first 2 shown]
	v_pk_mul_f16 v30, v24, v37
	v_dot4_i32_i8 v29, v25, v36, v29
	v_cvt_f32_f16_sdwa v31, v30 dst_sel:DWORD dst_unused:UNUSED_PAD src0_sel:WORD_1
	v_cvt_f32_i32_e32 v29, v29
	v_mul_f32_e32 v31, 0.5, v31
	v_fma_mix_f32 v29, v29, v30, v31 op_sel_hi:[0,1,0]
	v_add_f32_e32 v6, v6, v29
	v_add_u32_e32 v29, s19, v16
	v_mad_u64_u32 v[29:30], s[24:25], v29, 36, s[22:23]
	v_add_u32_e32 v16, 32, v16
	v_add_co_u32_e32 v31, vcc, v29, v18
	v_addc_co_u32_e32 v32, vcc, 0, v30, vcc
	global_load_dwordx2 v[33:34], v[31:32], off offset:4
	global_load_dwordx2 v[35:36], v[31:32], off offset:20
	global_load_dword v37, v[29:30], off
	v_add_co_u32_e32 v2, vcc, 0x480, v2
	v_addc_co_u32_e32 v3, vcc, 0, v3, vcc
	v_cmp_le_u32_e32 vcc, s9, v16
	s_or_b64 s[12:13], vcc, s[12:13]
	s_waitcnt vmcnt(2)
	v_dot4_i32_i8 v20, v20, v33, 0
	s_waitcnt vmcnt(1)
	v_dot4_i32_i8 v20, v21, v35, v20
	v_dot4_i32_i8 v20, v22, v34, v20
	s_waitcnt vmcnt(0)
	v_pk_mul_f16 v19, v19, v37
	v_dot4_i32_i8 v20, v23, v36, v20
	v_cvt_f32_f16_sdwa v21, v19 dst_sel:DWORD dst_unused:UNUSED_PAD src0_sel:WORD_1
	v_cvt_f32_i32_e32 v20, v20
	v_mul_f32_e32 v21, 0.5, v21
	v_fma_mix_f32 v19, v20, v19, v21 op_sel_hi:[0,1,0]
	v_add_f32_e32 v5, v5, v19
	v_dot4_i32_i8 v19, v26, v33, 0
	v_dot4_i32_i8 v19, v28, v35, v19
	;; [unrolled: 1-line block ×3, first 2 shown]
	v_pk_mul_f16 v20, v24, v37
	v_dot4_i32_i8 v19, v25, v36, v19
	v_cvt_f32_f16_sdwa v21, v20 dst_sel:DWORD dst_unused:UNUSED_PAD src0_sel:WORD_1
	v_cvt_f32_i32_e32 v19, v19
	v_mul_f32_e32 v21, 0.5, v21
	v_fma_mix_f32 v19, v19, v20, v21 op_sel_hi:[0,1,0]
	v_add_f32_e32 v4, v4, v19
	s_andn2_b64 exec, exec, s[12:13]
	s_cbranch_execnz .LBB33_2
; %bb.3:
	s_or_b64 exec, exec, s[12:13]
.LBB33_4:
	s_or_b64 exec, exec, s[10:11]
	s_mov_b32 s1, 0
	v_cmp_eq_u32_e32 vcc, 0, v1
	; wave barrier
	s_and_saveexec_b64 s[10:11], vcc
	s_cbranch_execz .LBB33_17
; %bb.5:
	v_mbcnt_lo_u32_b32 v1, -1, 0
	v_mbcnt_hi_u32_b32 v17, -1, v1
	v_and_b32_e32 v1, 64, v17
	v_add_u32_e32 v18, 64, v1
	v_xor_b32_e32 v1, 32, v17
	v_cmp_lt_i32_e32 vcc, v1, v18
	v_cndmask_b32_e32 v1, v17, v1, vcc
	v_lshlrev_b32_e32 v1, 2, v1
	ds_bpermute_b32 v19, v1, v15
	ds_bpermute_b32 v20, v1, v14
	v_xor_b32_e32 v2, 16, v17
	v_cmp_lt_i32_e32 vcc, v2, v18
	v_cndmask_b32_e32 v2, v17, v2, vcc
	v_lshlrev_b32_e32 v2, 2, v2
	s_waitcnt lgkmcnt(1)
	v_add_f32_e32 v15, v15, v19
	s_waitcnt lgkmcnt(0)
	v_add_f32_e32 v14, v14, v20
	ds_bpermute_b32 v19, v2, v15
	ds_bpermute_b32 v20, v2, v14
	v_xor_b32_e32 v3, 8, v17
	v_cmp_lt_i32_e32 vcc, v3, v18
	v_cndmask_b32_e32 v3, v17, v3, vcc
	v_lshlrev_b32_e32 v3, 2, v3
	s_waitcnt lgkmcnt(1)
	v_add_f32_e32 v15, v15, v19
	s_waitcnt lgkmcnt(0)
	v_add_f32_e32 v20, v14, v20
	ds_bpermute_b32 v19, v3, v15
	ds_bpermute_b32 v22, v3, v20
	v_xor_b32_e32 v16, 4, v17
	v_cmp_lt_i32_e32 vcc, v16, v18
	v_cndmask_b32_e32 v16, v17, v16, vcc
	v_lshlrev_b32_e32 v16, 2, v16
	s_waitcnt lgkmcnt(1)
	v_add_f32_e32 v15, v15, v19
	s_waitcnt lgkmcnt(0)
	v_add_f32_e32 v20, v20, v22
	ds_bpermute_b32 v19, v16, v15
	ds_bpermute_b32 v22, v16, v20
	v_xor_b32_e32 v21, 2, v17
	v_cmp_lt_i32_e32 vcc, v21, v18
	v_cndmask_b32_e32 v21, v17, v21, vcc
	v_lshlrev_b32_e32 v14, 2, v21
	v_xor_b32_e32 v21, 1, v17
	v_cmp_lt_i32_e32 vcc, v21, v18
	s_waitcnt lgkmcnt(1)
	v_add_f32_e32 v15, v15, v19
	s_waitcnt lgkmcnt(0)
	v_add_f32_e32 v20, v20, v22
	v_cndmask_b32_e32 v17, v17, v21, vcc
	ds_bpermute_b32 v19, v14, v15
	ds_bpermute_b32 v21, v14, v20
	s_load_dwordx2 s[4:5], s[4:5], 0x38
	s_mul_i32 s3, s14, s7
	v_lshlrev_b32_e32 v18, 2, v17
	s_waitcnt lgkmcnt(0)
	v_add_f32_e32 v15, v15, v19
	v_add_f32_e32 v19, v20, v21
	s_mul_i32 s0, s18, s8
	s_add_i32 s3, s3, s6
	ds_bpermute_b32 v17, v18, v15
	ds_bpermute_b32 v20, v18, v19
	s_add_i32 s0, s3, s0
	s_lshl_b64 s[0:1], s[0:1], 2
	s_add_u32 s4, s4, s0
	v_add_u32_e32 v21, s6, v0
	s_addc_u32 s5, s5, s1
	v_cmp_gt_u32_e32 vcc, 2, v0
	v_cmp_gt_u32_e64 s[0:1], s2, v21
	s_and_b64 s[0:1], vcc, s[0:1]
	s_waitcnt lgkmcnt(1)
	v_add_f32_e32 v15, v15, v17
	s_waitcnt lgkmcnt(0)
	v_add_f32_e32 v17, v19, v20
	s_and_saveexec_b64 s[6:7], s[0:1]
	s_cbranch_execz .LBB33_7
; %bb.6:
	v_cmp_eq_u32_e32 vcc, 1, v0
	v_cndmask_b32_e32 v19, v15, v17, vcc
	v_cmp_eq_u32_e32 vcc, 2, v0
	v_cndmask_b32_e32 v19, v19, v13, vcc
	;; [unrolled: 2-line block ×11, first 2 shown]
	v_lshlrev_b32_e32 v20, 2, v0
	global_store_dword v20, v19, s[4:5]
.LBB33_7:
	s_or_b64 exec, exec, s[6:7]
	ds_bpermute_b32 v19, v1, v13
	ds_bpermute_b32 v20, v1, v12
	s_waitcnt lgkmcnt(1)
	v_add_f32_e32 v13, v13, v19
	s_waitcnt lgkmcnt(0)
	v_add_f32_e32 v12, v12, v20
	ds_bpermute_b32 v19, v2, v13
	ds_bpermute_b32 v20, v2, v12
	s_waitcnt lgkmcnt(1)
	v_add_f32_e32 v13, v13, v19
	s_waitcnt lgkmcnt(0)
	v_add_f32_e32 v12, v12, v20
	;; [unrolled: 6-line block ×6, first 2 shown]
	s_and_saveexec_b64 s[6:7], s[0:1]
	s_cbranch_execz .LBB33_9
; %bb.8:
	v_add_u32_e32 v19, 2, v0
	v_cmp_eq_u32_e32 vcc, 1, v19
	v_cndmask_b32_e32 v20, v15, v17, vcc
	v_cmp_eq_u32_e32 vcc, 2, v19
	v_cndmask_b32_e32 v20, v20, v13, vcc
	;; [unrolled: 2-line block ×11, first 2 shown]
	v_add_u32_e32 v19, s2, v0
	v_mov_b32_e32 v20, 0
	v_lshlrev_b64 v[19:20], 2, v[19:20]
	v_mov_b32_e32 v22, s5
	v_add_co_u32_e32 v19, vcc, s4, v19
	v_addc_co_u32_e32 v20, vcc, v22, v20, vcc
	global_store_dword v[19:20], v21, off
.LBB33_9:
	s_or_b64 exec, exec, s[6:7]
	ds_bpermute_b32 v19, v1, v11
	ds_bpermute_b32 v20, v1, v10
	s_waitcnt lgkmcnt(1)
	v_add_f32_e32 v11, v11, v19
	s_waitcnt lgkmcnt(0)
	v_add_f32_e32 v10, v10, v20
	ds_bpermute_b32 v19, v2, v11
	ds_bpermute_b32 v20, v2, v10
	s_waitcnt lgkmcnt(1)
	v_add_f32_e32 v11, v11, v19
	s_waitcnt lgkmcnt(0)
	v_add_f32_e32 v10, v10, v20
	ds_bpermute_b32 v19, v3, v11
	ds_bpermute_b32 v20, v3, v10
	s_waitcnt lgkmcnt(1)
	v_add_f32_e32 v11, v11, v19
	s_waitcnt lgkmcnt(0)
	v_add_f32_e32 v10, v10, v20
	ds_bpermute_b32 v19, v16, v11
	ds_bpermute_b32 v20, v16, v10
	s_waitcnt lgkmcnt(1)
	v_add_f32_e32 v11, v11, v19
	s_waitcnt lgkmcnt(0)
	v_add_f32_e32 v10, v10, v20
	ds_bpermute_b32 v19, v14, v11
	ds_bpermute_b32 v20, v14, v10
	s_waitcnt lgkmcnt(1)
	v_add_f32_e32 v11, v11, v19
	s_waitcnt lgkmcnt(0)
	v_add_f32_e32 v10, v10, v20
	ds_bpermute_b32 v19, v18, v11
	ds_bpermute_b32 v20, v18, v10
	s_waitcnt lgkmcnt(1)
	v_add_f32_e32 v11, v11, v19
	s_waitcnt lgkmcnt(0)
	v_add_f32_e32 v10, v10, v20
	s_and_saveexec_b64 s[6:7], s[0:1]
	s_cbranch_execz .LBB33_11
; %bb.10:
	v_add_u32_e32 v19, 4, v0
	v_cmp_eq_u32_e32 vcc, 1, v19
	v_cndmask_b32_e32 v20, v15, v17, vcc
	v_cmp_eq_u32_e32 vcc, 2, v19
	v_cndmask_b32_e32 v20, v20, v13, vcc
	;; [unrolled: 2-line block ×11, first 2 shown]
	v_lshl_or_b32 v19, s2, 1, v0
	v_mov_b32_e32 v20, 0
	v_lshlrev_b64 v[19:20], 2, v[19:20]
	v_mov_b32_e32 v22, s5
	v_add_co_u32_e32 v19, vcc, s4, v19
	v_addc_co_u32_e32 v20, vcc, v22, v20, vcc
	global_store_dword v[19:20], v21, off
.LBB33_11:
	s_or_b64 exec, exec, s[6:7]
	ds_bpermute_b32 v19, v1, v9
	ds_bpermute_b32 v20, v1, v8
	s_waitcnt lgkmcnt(1)
	v_add_f32_e32 v9, v9, v19
	s_waitcnt lgkmcnt(0)
	v_add_f32_e32 v8, v8, v20
	ds_bpermute_b32 v19, v2, v9
	ds_bpermute_b32 v20, v2, v8
	s_waitcnt lgkmcnt(1)
	v_add_f32_e32 v9, v9, v19
	s_waitcnt lgkmcnt(0)
	v_add_f32_e32 v8, v8, v20
	;; [unrolled: 6-line block ×6, first 2 shown]
	s_and_saveexec_b64 s[6:7], s[0:1]
	s_cbranch_execz .LBB33_13
; %bb.12:
	v_add_u32_e32 v21, 6, v0
	v_cmp_eq_u32_e32 vcc, 1, v21
	v_cndmask_b32_e32 v19, v15, v17, vcc
	v_cmp_eq_u32_e32 vcc, 2, v21
	v_cndmask_b32_e32 v19, v19, v13, vcc
	;; [unrolled: 2-line block ×10, first 2 shown]
	v_mad_u64_u32 v[19:20], s[8:9], s2, 3, v[0:1]
	v_mov_b32_e32 v20, 0
	v_cmp_eq_u32_e32 vcc, 11, v21
	v_lshlrev_b64 v[19:20], 2, v[19:20]
	v_cndmask_b32_e32 v21, v22, v4, vcc
	v_mov_b32_e32 v22, s5
	v_add_co_u32_e32 v19, vcc, s4, v19
	v_addc_co_u32_e32 v20, vcc, v22, v20, vcc
	global_store_dword v[19:20], v21, off
.LBB33_13:
	s_or_b64 exec, exec, s[6:7]
	ds_bpermute_b32 v19, v1, v7
	ds_bpermute_b32 v20, v1, v6
	s_waitcnt lgkmcnt(1)
	v_add_f32_e32 v7, v7, v19
	s_waitcnt lgkmcnt(0)
	v_add_f32_e32 v6, v6, v20
	ds_bpermute_b32 v19, v2, v7
	ds_bpermute_b32 v20, v2, v6
	s_waitcnt lgkmcnt(1)
	v_add_f32_e32 v7, v7, v19
	s_waitcnt lgkmcnt(0)
	v_add_f32_e32 v6, v6, v20
	;; [unrolled: 6-line block ×6, first 2 shown]
	s_and_saveexec_b64 s[6:7], s[0:1]
	s_cbranch_execz .LBB33_15
; %bb.14:
	v_add_u32_e32 v19, 8, v0
	v_cmp_eq_u32_e32 vcc, 1, v19
	v_cndmask_b32_e32 v20, v15, v17, vcc
	v_cmp_eq_u32_e32 vcc, 2, v19
	v_cndmask_b32_e32 v20, v20, v13, vcc
	;; [unrolled: 2-line block ×11, first 2 shown]
	v_lshl_or_b32 v19, s2, 2, v0
	v_mov_b32_e32 v20, 0
	v_lshlrev_b64 v[19:20], 2, v[19:20]
	v_mov_b32_e32 v22, s5
	v_add_co_u32_e32 v19, vcc, s4, v19
	v_addc_co_u32_e32 v20, vcc, v22, v20, vcc
	global_store_dword v[19:20], v21, off
.LBB33_15:
	s_or_b64 exec, exec, s[6:7]
	ds_bpermute_b32 v19, v1, v5
	ds_bpermute_b32 v1, v1, v4
	s_waitcnt lgkmcnt(1)
	v_add_f32_e32 v5, v5, v19
	s_waitcnt lgkmcnt(0)
	v_add_f32_e32 v1, v4, v1
	ds_bpermute_b32 v4, v2, v5
	ds_bpermute_b32 v2, v2, v1
	s_waitcnt lgkmcnt(1)
	v_add_f32_e32 v4, v5, v4
	s_waitcnt lgkmcnt(0)
	v_add_f32_e32 v1, v1, v2
	;; [unrolled: 6-line block ×5, first 2 shown]
	ds_bpermute_b32 v3, v18, v1
	ds_bpermute_b32 v4, v18, v2
	s_and_b64 exec, exec, s[0:1]
	s_cbranch_execz .LBB33_17
; %bb.16:
	s_waitcnt lgkmcnt(1)
	v_add_f32_e32 v1, v1, v3
	v_add_u32_e32 v3, 10, v0
	v_cmp_eq_u32_e32 vcc, 1, v3
	s_waitcnt lgkmcnt(0)
	v_add_f32_e32 v2, v2, v4
	v_cndmask_b32_e32 v4, v15, v17, vcc
	v_cmp_eq_u32_e32 vcc, 2, v3
	v_cndmask_b32_e32 v4, v4, v13, vcc
	v_cmp_eq_u32_e32 vcc, 3, v3
	;; [unrolled: 2-line block ×9, first 2 shown]
	v_cndmask_b32_e32 v4, v4, v1, vcc
	v_mad_u64_u32 v[0:1], s[0:1], s2, 5, v[0:1]
	v_mov_b32_e32 v1, 0
	v_cmp_eq_u32_e32 vcc, 11, v3
	v_lshlrev_b64 v[0:1], 2, v[0:1]
	v_cndmask_b32_e32 v2, v4, v2, vcc
	v_mov_b32_e32 v3, s5
	v_add_co_u32_e32 v0, vcc, s4, v0
	v_addc_co_u32_e32 v1, vcc, v3, v1, vcc
	global_store_dword v[0:1], v2, off
.LBB33_17:
	s_endpgm
	.section	.rodata,"a",@progbits
	.p2align	6, 0x0
	.amdhsa_kernel _ZL13mul_mat_vec_qIL9ggml_type3ELi6ELb0ELb0EEvPKvS2_PKi31ggml_cuda_mm_fusion_args_devicePfj15HIP_vector_typeIjLj3EEjjjS8_jjjS8_jjjj
		.amdhsa_group_segment_fixed_size 0
		.amdhsa_private_segment_fixed_size 0
		.amdhsa_kernarg_size 144
		.amdhsa_user_sgpr_count 6
		.amdhsa_user_sgpr_private_segment_buffer 1
		.amdhsa_user_sgpr_dispatch_ptr 0
		.amdhsa_user_sgpr_queue_ptr 0
		.amdhsa_user_sgpr_kernarg_segment_ptr 1
		.amdhsa_user_sgpr_dispatch_id 0
		.amdhsa_user_sgpr_flat_scratch_init 0
		.amdhsa_user_sgpr_private_segment_size 0
		.amdhsa_uses_dynamic_stack 0
		.amdhsa_system_sgpr_private_segment_wavefront_offset 0
		.amdhsa_system_sgpr_workgroup_id_x 1
		.amdhsa_system_sgpr_workgroup_id_y 1
		.amdhsa_system_sgpr_workgroup_id_z 1
		.amdhsa_system_sgpr_workgroup_info 0
		.amdhsa_system_vgpr_workitem_id 1
		.amdhsa_next_free_vgpr 38
		.amdhsa_next_free_sgpr 26
		.amdhsa_reserve_vcc 1
		.amdhsa_reserve_flat_scratch 0
		.amdhsa_float_round_mode_32 0
		.amdhsa_float_round_mode_16_64 0
		.amdhsa_float_denorm_mode_32 3
		.amdhsa_float_denorm_mode_16_64 3
		.amdhsa_dx10_clamp 1
		.amdhsa_ieee_mode 1
		.amdhsa_fp16_overflow 0
		.amdhsa_exception_fp_ieee_invalid_op 0
		.amdhsa_exception_fp_denorm_src 0
		.amdhsa_exception_fp_ieee_div_zero 0
		.amdhsa_exception_fp_ieee_overflow 0
		.amdhsa_exception_fp_ieee_underflow 0
		.amdhsa_exception_fp_ieee_inexact 0
		.amdhsa_exception_int_div_zero 0
	.end_amdhsa_kernel
	.section	.text._ZL13mul_mat_vec_qIL9ggml_type3ELi6ELb0ELb0EEvPKvS2_PKi31ggml_cuda_mm_fusion_args_devicePfj15HIP_vector_typeIjLj3EEjjjS8_jjjS8_jjjj,"axG",@progbits,_ZL13mul_mat_vec_qIL9ggml_type3ELi6ELb0ELb0EEvPKvS2_PKi31ggml_cuda_mm_fusion_args_devicePfj15HIP_vector_typeIjLj3EEjjjS8_jjjS8_jjjj,comdat
.Lfunc_end33:
	.size	_ZL13mul_mat_vec_qIL9ggml_type3ELi6ELb0ELb0EEvPKvS2_PKi31ggml_cuda_mm_fusion_args_devicePfj15HIP_vector_typeIjLj3EEjjjS8_jjjS8_jjjj, .Lfunc_end33-_ZL13mul_mat_vec_qIL9ggml_type3ELi6ELb0ELb0EEvPKvS2_PKi31ggml_cuda_mm_fusion_args_devicePfj15HIP_vector_typeIjLj3EEjjjS8_jjjS8_jjjj
                                        ; -- End function
	.set _ZL13mul_mat_vec_qIL9ggml_type3ELi6ELb0ELb0EEvPKvS2_PKi31ggml_cuda_mm_fusion_args_devicePfj15HIP_vector_typeIjLj3EEjjjS8_jjjS8_jjjj.num_vgpr, 38
	.set _ZL13mul_mat_vec_qIL9ggml_type3ELi6ELb0ELb0EEvPKvS2_PKi31ggml_cuda_mm_fusion_args_devicePfj15HIP_vector_typeIjLj3EEjjjS8_jjjS8_jjjj.num_agpr, 0
	.set _ZL13mul_mat_vec_qIL9ggml_type3ELi6ELb0ELb0EEvPKvS2_PKi31ggml_cuda_mm_fusion_args_devicePfj15HIP_vector_typeIjLj3EEjjjS8_jjjS8_jjjj.numbered_sgpr, 26
	.set _ZL13mul_mat_vec_qIL9ggml_type3ELi6ELb0ELb0EEvPKvS2_PKi31ggml_cuda_mm_fusion_args_devicePfj15HIP_vector_typeIjLj3EEjjjS8_jjjS8_jjjj.num_named_barrier, 0
	.set _ZL13mul_mat_vec_qIL9ggml_type3ELi6ELb0ELb0EEvPKvS2_PKi31ggml_cuda_mm_fusion_args_devicePfj15HIP_vector_typeIjLj3EEjjjS8_jjjS8_jjjj.private_seg_size, 0
	.set _ZL13mul_mat_vec_qIL9ggml_type3ELi6ELb0ELb0EEvPKvS2_PKi31ggml_cuda_mm_fusion_args_devicePfj15HIP_vector_typeIjLj3EEjjjS8_jjjS8_jjjj.uses_vcc, 1
	.set _ZL13mul_mat_vec_qIL9ggml_type3ELi6ELb0ELb0EEvPKvS2_PKi31ggml_cuda_mm_fusion_args_devicePfj15HIP_vector_typeIjLj3EEjjjS8_jjjS8_jjjj.uses_flat_scratch, 0
	.set _ZL13mul_mat_vec_qIL9ggml_type3ELi6ELb0ELb0EEvPKvS2_PKi31ggml_cuda_mm_fusion_args_devicePfj15HIP_vector_typeIjLj3EEjjjS8_jjjS8_jjjj.has_dyn_sized_stack, 0
	.set _ZL13mul_mat_vec_qIL9ggml_type3ELi6ELb0ELb0EEvPKvS2_PKi31ggml_cuda_mm_fusion_args_devicePfj15HIP_vector_typeIjLj3EEjjjS8_jjjS8_jjjj.has_recursion, 0
	.set _ZL13mul_mat_vec_qIL9ggml_type3ELi6ELb0ELb0EEvPKvS2_PKi31ggml_cuda_mm_fusion_args_devicePfj15HIP_vector_typeIjLj3EEjjjS8_jjjS8_jjjj.has_indirect_call, 0
	.section	.AMDGPU.csdata,"",@progbits
; Kernel info:
; codeLenInByte = 3844
; TotalNumSgprs: 30
; NumVgprs: 38
; ScratchSize: 0
; MemoryBound: 0
; FloatMode: 240
; IeeeMode: 1
; LDSByteSize: 0 bytes/workgroup (compile time only)
; SGPRBlocks: 3
; VGPRBlocks: 9
; NumSGPRsForWavesPerEU: 30
; NumVGPRsForWavesPerEU: 38
; Occupancy: 6
; WaveLimiterHint : 0
; COMPUTE_PGM_RSRC2:SCRATCH_EN: 0
; COMPUTE_PGM_RSRC2:USER_SGPR: 6
; COMPUTE_PGM_RSRC2:TRAP_HANDLER: 0
; COMPUTE_PGM_RSRC2:TGID_X_EN: 1
; COMPUTE_PGM_RSRC2:TGID_Y_EN: 1
; COMPUTE_PGM_RSRC2:TGID_Z_EN: 1
; COMPUTE_PGM_RSRC2:TIDIG_COMP_CNT: 1
	.section	.text._ZL13mul_mat_vec_qIL9ggml_type3ELi7ELb0ELb0EEvPKvS2_PKi31ggml_cuda_mm_fusion_args_devicePfj15HIP_vector_typeIjLj3EEjjjS8_jjjS8_jjjj,"axG",@progbits,_ZL13mul_mat_vec_qIL9ggml_type3ELi7ELb0ELb0EEvPKvS2_PKi31ggml_cuda_mm_fusion_args_devicePfj15HIP_vector_typeIjLj3EEjjjS8_jjjS8_jjjj,comdat
	.globl	_ZL13mul_mat_vec_qIL9ggml_type3ELi7ELb0ELb0EEvPKvS2_PKi31ggml_cuda_mm_fusion_args_devicePfj15HIP_vector_typeIjLj3EEjjjS8_jjjS8_jjjj ; -- Begin function _ZL13mul_mat_vec_qIL9ggml_type3ELi7ELb0ELb0EEvPKvS2_PKi31ggml_cuda_mm_fusion_args_devicePfj15HIP_vector_typeIjLj3EEjjjS8_jjjS8_jjjj
	.p2align	8
	.type	_ZL13mul_mat_vec_qIL9ggml_type3ELi7ELb0ELb0EEvPKvS2_PKi31ggml_cuda_mm_fusion_args_devicePfj15HIP_vector_typeIjLj3EEjjjS8_jjjS8_jjjj,@function
_ZL13mul_mat_vec_qIL9ggml_type3ELi7ELb0ELb0EEvPKvS2_PKi31ggml_cuda_mm_fusion_args_devicePfj15HIP_vector_typeIjLj3EEjjjS8_jjjS8_jjjj: ; @_ZL13mul_mat_vec_qIL9ggml_type3ELi7ELb0ELb0EEvPKvS2_PKi31ggml_cuda_mm_fusion_args_devicePfj15HIP_vector_typeIjLj3EEjjjS8_jjjS8_jjjj
; %bb.0:
	s_load_dword s9, s[4:5], 0x40
	s_load_dwordx4 s[0:3], s[4:5], 0x50
	s_load_dword s25, s[4:5], 0x60
	s_load_dwordx4 s[12:15], s[4:5], 0x68
	;; [unrolled: 2-line block ×3, first 2 shown]
	v_lshl_or_b32 v2, v1, 6, v0
	s_waitcnt lgkmcnt(0)
	s_lshr_b32 s9, s9, 5
	v_lshrrev_b16_e32 v18, 1, v2
	s_lshl_b32 s6, s6, 1
	v_cmp_gt_u32_e32 vcc, s9, v18
	v_mov_b32_e32 v4, 0
	v_mov_b32_e32 v5, 0
	;; [unrolled: 1-line block ×14, first 2 shown]
	s_and_saveexec_b64 s[10:11], vcc
	s_cbranch_execz .LBB34_4
; %bb.1:
	s_load_dwordx4 s[20:23], s[4:5], 0x0
	s_mul_i32 s17, s17, s8
	s_mul_hi_u32 s19, s17, 36
	s_mul_i32 s17, s17, 36
	s_mul_i32 s13, s13, s7
	s_waitcnt lgkmcnt(0)
	s_add_u32 s17, s22, s17
	s_addc_u32 s19, s23, s19
	s_mul_hi_u32 s23, s13, 36
	s_mul_i32 s13, s13, 36
	s_add_u32 s22, s17, s13
	s_mul_hi_u32 s3, s3, s7
	s_addc_u32 s23, s19, s23
	s_add_i32 s3, s7, s3
	s_lshr_b32 s3, s3, s25
	s_mul_i32 s3, s3, s12
	s_mul_hi_u32 s12, s15, s8
	s_add_i32 s12, s8, s12
	s_lshr_b32 s12, s12, s24
	s_mul_i32 s12, s12, s16
	v_lshlrev_b32_e32 v3, 1, v0
	s_add_i32 s13, s6, 1
	v_and_b32_e32 v5, 2, v3
	s_add_i32 s12, s12, s3
	s_mul_i32 s3, s6, s0
	s_mul_i32 s0, s0, s13
	v_and_b32_e32 v3, 1, v0
	v_lshrrev_b32_e32 v2, 1, v2
	s_add_i32 s3, s12, s3
	s_add_i32 s0, s12, s0
	v_lshlrev_b32_e32 v19, 3, v3
	v_mad_u64_u32 v[2:3], s[12:13], v2, 36, s[22:23]
	v_mov_b32_e32 v4, 0
	s_lshl_b32 s15, s1, 1
	s_mul_i32 s16, s1, 3
	s_lshl_b32 s17, s1, 2
	s_mul_i32 s19, s1, 5
	s_mul_i32 s24, s1, 6
	s_mov_b64 s[12:13], 0
	v_lshlrev_b32_e32 v20, 2, v5
	v_mov_b32_e32 v5, 0
	v_mov_b32_e32 v6, 0
	;; [unrolled: 1-line block ×13, first 2 shown]
.LBB34_2:                               ; =>This Inner Loop Header: Depth=1
	v_add_co_u32_e32 v21, vcc, v2, v19
	v_add_u32_e32 v23, s3, v18
	v_addc_co_u32_e32 v22, vcc, 0, v3, vcc
	global_load_dwordx2 v[30:31], v[21:22], off offset:4
	global_load_dwordx2 v[32:33], v[21:22], off offset:20
	global_load_dword v38, v[2:3], off
	v_mad_i64_i32 v[22:23], s[26:27], v23, 20, s[20:21]
	v_add_co_u32_e32 v24, vcc, v22, v20
	v_addc_co_u32_e32 v25, vcc, 0, v23, vcc
	global_load_dwordx2 v[26:27], v[24:25], off offset:4
	global_load_dword v21, v[22:23], off
	s_waitcnt vmcnt(1)
	v_and_b32_e32 v22, 0xf0f0f0f, v26
	v_lshrrev_b32_e32 v23, 4, v26
	v_and_b32_e32 v23, 0xf0f0f0f, v23
	v_dot4_i32_i8 v24, v22, v30, 0
	v_dot4_i32_i8 v26, v23, v32, v24
	v_and_b32_e32 v24, 0xf0f0f0f, v27
	v_lshrrev_b32_e32 v25, 4, v27
	v_and_b32_e32 v25, 0xf0f0f0f, v25
	v_dot4_i32_i8 v26, v24, v31, v26
	s_waitcnt vmcnt(0)
	v_pk_mul_f16 v27, v21, v38
	v_dot4_i32_i8 v26, v25, v33, v26
	v_cvt_f32_f16_sdwa v28, v27 dst_sel:DWORD dst_unused:UNUSED_PAD src0_sel:WORD_1
	v_cvt_f32_i32_e32 v26, v26
	v_mul_f32_e32 v28, 0.5, v28
	v_fma_mix_f32 v26, v26, v27, v28 op_sel_hi:[0,1,0]
	v_add_f32_e32 v17, v17, v26
	v_add_u32_e32 v26, s0, v18
	v_mad_i64_i32 v[27:28], s[26:27], v26, 20, s[20:21]
	v_add_co_u32_e32 v34, vcc, v27, v20
	v_addc_co_u32_e32 v35, vcc, 0, v28, vcc
	global_load_dwordx2 v[36:37], v[34:35], off offset:4
	global_load_dword v26, v[27:28], off
	s_waitcnt vmcnt(1)
	v_and_b32_e32 v28, 0xf0f0f0f, v36
	v_lshrrev_b32_e32 v27, 4, v36
	v_and_b32_e32 v29, 0xf0f0f0f, v27
	v_dot4_i32_i8 v27, v28, v30, 0
	v_dot4_i32_i8 v32, v29, v32, v27
	v_and_b32_e32 v30, 0xf0f0f0f, v37
	v_lshrrev_b32_e32 v27, 4, v37
	v_and_b32_e32 v27, 0xf0f0f0f, v27
	v_dot4_i32_i8 v31, v30, v31, v32
	s_waitcnt vmcnt(0)
	v_pk_mul_f16 v32, v26, v38
	v_dot4_i32_i8 v31, v27, v33, v31
	v_cvt_f32_f16_sdwa v33, v32 dst_sel:DWORD dst_unused:UNUSED_PAD src0_sel:WORD_1
	v_cvt_f32_i32_e32 v31, v31
	v_mul_f32_e32 v33, 0.5, v33
	v_fma_mix_f32 v31, v31, v32, v33 op_sel_hi:[0,1,0]
	v_add_f32_e32 v16, v16, v31
	v_add_u32_e32 v31, s1, v18
	v_mad_u64_u32 v[31:32], s[26:27], v31, 36, s[22:23]
	v_add_co_u32_e32 v33, vcc, v31, v20
	v_addc_co_u32_e32 v34, vcc, 0, v32, vcc
	global_load_dwordx2 v[35:36], v[33:34], off offset:4
	global_load_dwordx2 v[37:38], v[33:34], off offset:20
	global_load_dword v39, v[31:32], off
	s_waitcnt vmcnt(2)
	v_dot4_i32_i8 v31, v22, v35, 0
	s_waitcnt vmcnt(1)
	v_dot4_i32_i8 v31, v23, v37, v31
	v_dot4_i32_i8 v31, v24, v36, v31
	s_waitcnt vmcnt(0)
	v_pk_mul_f16 v32, v21, v39
	v_dot4_i32_i8 v31, v25, v38, v31
	v_cvt_f32_f16_sdwa v33, v32 dst_sel:DWORD dst_unused:UNUSED_PAD src0_sel:WORD_1
	v_cvt_f32_i32_e32 v31, v31
	v_mul_f32_e32 v33, 0.5, v33
	v_fma_mix_f32 v31, v31, v32, v33 op_sel_hi:[0,1,0]
	v_add_f32_e32 v15, v15, v31
	v_dot4_i32_i8 v31, v28, v35, 0
	v_dot4_i32_i8 v31, v29, v37, v31
	v_dot4_i32_i8 v31, v30, v36, v31
	v_pk_mul_f16 v32, v26, v39
	v_dot4_i32_i8 v31, v27, v38, v31
	v_cvt_f32_f16_sdwa v33, v32 dst_sel:DWORD dst_unused:UNUSED_PAD src0_sel:WORD_1
	v_cvt_f32_i32_e32 v31, v31
	v_mul_f32_e32 v33, 0.5, v33
	v_fma_mix_f32 v31, v31, v32, v33 op_sel_hi:[0,1,0]
	v_add_f32_e32 v14, v14, v31
	v_add_u32_e32 v31, s15, v18
	v_mad_u64_u32 v[31:32], s[26:27], v31, 36, s[22:23]
	v_add_co_u32_e32 v33, vcc, v31, v20
	v_addc_co_u32_e32 v34, vcc, 0, v32, vcc
	global_load_dwordx2 v[35:36], v[33:34], off offset:4
	global_load_dwordx2 v[37:38], v[33:34], off offset:20
	global_load_dword v39, v[31:32], off
	s_waitcnt vmcnt(2)
	v_dot4_i32_i8 v31, v22, v35, 0
	s_waitcnt vmcnt(1)
	v_dot4_i32_i8 v31, v23, v37, v31
	v_dot4_i32_i8 v31, v24, v36, v31
	s_waitcnt vmcnt(0)
	v_pk_mul_f16 v32, v21, v39
	v_dot4_i32_i8 v31, v25, v38, v31
	v_cvt_f32_f16_sdwa v33, v32 dst_sel:DWORD dst_unused:UNUSED_PAD src0_sel:WORD_1
	v_cvt_f32_i32_e32 v31, v31
	v_mul_f32_e32 v33, 0.5, v33
	v_fma_mix_f32 v31, v31, v32, v33 op_sel_hi:[0,1,0]
	v_add_f32_e32 v13, v13, v31
	v_dot4_i32_i8 v31, v28, v35, 0
	v_dot4_i32_i8 v31, v29, v37, v31
	v_dot4_i32_i8 v31, v30, v36, v31
	;; [unrolled: 30-line block ×5, first 2 shown]
	v_pk_mul_f16 v32, v26, v39
	v_dot4_i32_i8 v31, v27, v38, v31
	v_cvt_f32_f16_sdwa v33, v32 dst_sel:DWORD dst_unused:UNUSED_PAD src0_sel:WORD_1
	v_cvt_f32_i32_e32 v31, v31
	v_mul_f32_e32 v33, 0.5, v33
	v_fma_mix_f32 v31, v31, v32, v33 op_sel_hi:[0,1,0]
	v_add_f32_e32 v6, v6, v31
	v_add_u32_e32 v31, s24, v18
	v_mad_u64_u32 v[31:32], s[26:27], v31, 36, s[22:23]
	v_add_u32_e32 v18, 32, v18
	v_add_co_u32_e32 v33, vcc, v31, v20
	v_addc_co_u32_e32 v34, vcc, 0, v32, vcc
	global_load_dwordx2 v[35:36], v[33:34], off offset:4
	global_load_dwordx2 v[37:38], v[33:34], off offset:20
	global_load_dword v39, v[31:32], off
	v_add_co_u32_e32 v2, vcc, 0x480, v2
	v_addc_co_u32_e32 v3, vcc, 0, v3, vcc
	v_cmp_le_u32_e32 vcc, s9, v18
	s_or_b64 s[12:13], vcc, s[12:13]
	s_waitcnt vmcnt(2)
	v_dot4_i32_i8 v22, v22, v35, 0
	s_waitcnt vmcnt(1)
	v_dot4_i32_i8 v22, v23, v37, v22
	v_dot4_i32_i8 v22, v24, v36, v22
	s_waitcnt vmcnt(0)
	v_pk_mul_f16 v21, v21, v39
	v_dot4_i32_i8 v22, v25, v38, v22
	v_cvt_f32_f16_sdwa v23, v21 dst_sel:DWORD dst_unused:UNUSED_PAD src0_sel:WORD_1
	v_cvt_f32_i32_e32 v22, v22
	v_mul_f32_e32 v23, 0.5, v23
	v_fma_mix_f32 v21, v22, v21, v23 op_sel_hi:[0,1,0]
	v_add_f32_e32 v5, v5, v21
	v_dot4_i32_i8 v21, v28, v35, 0
	v_dot4_i32_i8 v21, v29, v37, v21
	;; [unrolled: 1-line block ×3, first 2 shown]
	v_pk_mul_f16 v22, v26, v39
	v_dot4_i32_i8 v21, v27, v38, v21
	v_cvt_f32_f16_sdwa v23, v22 dst_sel:DWORD dst_unused:UNUSED_PAD src0_sel:WORD_1
	v_cvt_f32_i32_e32 v21, v21
	v_mul_f32_e32 v23, 0.5, v23
	v_fma_mix_f32 v21, v21, v22, v23 op_sel_hi:[0,1,0]
	v_add_f32_e32 v4, v4, v21
	s_andn2_b64 exec, exec, s[12:13]
	s_cbranch_execnz .LBB34_2
; %bb.3:
	s_or_b64 exec, exec, s[12:13]
.LBB34_4:
	s_or_b64 exec, exec, s[10:11]
	s_mov_b32 s1, 0
	v_cmp_eq_u32_e32 vcc, 0, v1
	; wave barrier
	s_and_saveexec_b64 s[10:11], vcc
	s_cbranch_execz .LBB34_19
; %bb.5:
	v_mbcnt_lo_u32_b32 v1, -1, 0
	v_mbcnt_hi_u32_b32 v19, -1, v1
	v_and_b32_e32 v1, 64, v19
	v_add_u32_e32 v20, 64, v1
	v_xor_b32_e32 v1, 32, v19
	v_cmp_lt_i32_e32 vcc, v1, v20
	v_cndmask_b32_e32 v1, v19, v1, vcc
	v_lshlrev_b32_e32 v1, 2, v1
	ds_bpermute_b32 v21, v1, v17
	ds_bpermute_b32 v22, v1, v16
	v_xor_b32_e32 v2, 16, v19
	v_cmp_lt_i32_e32 vcc, v2, v20
	v_cndmask_b32_e32 v2, v19, v2, vcc
	v_lshlrev_b32_e32 v2, 2, v2
	s_waitcnt lgkmcnt(1)
	v_add_f32_e32 v17, v17, v21
	s_waitcnt lgkmcnt(0)
	v_add_f32_e32 v16, v16, v22
	ds_bpermute_b32 v21, v2, v17
	ds_bpermute_b32 v22, v2, v16
	v_xor_b32_e32 v3, 8, v19
	v_cmp_lt_i32_e32 vcc, v3, v20
	v_cndmask_b32_e32 v3, v19, v3, vcc
	v_lshlrev_b32_e32 v3, 2, v3
	s_waitcnt lgkmcnt(1)
	v_add_f32_e32 v17, v17, v21
	s_waitcnt lgkmcnt(0)
	v_add_f32_e32 v22, v16, v22
	;; [unrolled: 10-line block ×3, first 2 shown]
	ds_bpermute_b32 v21, v18, v17
	ds_bpermute_b32 v24, v18, v22
	v_xor_b32_e32 v23, 2, v19
	v_cmp_lt_i32_e32 vcc, v23, v20
	v_cndmask_b32_e32 v23, v19, v23, vcc
	v_lshlrev_b32_e32 v16, 2, v23
	v_xor_b32_e32 v23, 1, v19
	v_cmp_lt_i32_e32 vcc, v23, v20
	s_waitcnt lgkmcnt(1)
	v_add_f32_e32 v17, v17, v21
	s_waitcnt lgkmcnt(0)
	v_add_f32_e32 v22, v22, v24
	v_cndmask_b32_e32 v19, v19, v23, vcc
	ds_bpermute_b32 v21, v16, v17
	ds_bpermute_b32 v23, v16, v22
	s_load_dwordx2 s[4:5], s[4:5], 0x38
	s_mul_i32 s3, s14, s7
	v_lshlrev_b32_e32 v20, 2, v19
	s_waitcnt lgkmcnt(0)
	v_add_f32_e32 v17, v17, v21
	v_add_f32_e32 v21, v22, v23
	s_mul_i32 s0, s18, s8
	s_add_i32 s3, s3, s6
	ds_bpermute_b32 v19, v20, v17
	ds_bpermute_b32 v22, v20, v21
	s_add_i32 s0, s3, s0
	s_lshl_b64 s[0:1], s[0:1], 2
	s_add_u32 s4, s4, s0
	v_add_u32_e32 v23, s6, v0
	s_addc_u32 s5, s5, s1
	v_cmp_gt_u32_e32 vcc, 2, v0
	v_cmp_gt_u32_e64 s[0:1], s2, v23
	s_and_b64 s[0:1], vcc, s[0:1]
	s_waitcnt lgkmcnt(1)
	v_add_f32_e32 v17, v17, v19
	s_waitcnt lgkmcnt(0)
	v_add_f32_e32 v19, v21, v22
	s_and_saveexec_b64 s[6:7], s[0:1]
	s_cbranch_execz .LBB34_7
; %bb.6:
	v_cmp_eq_u32_e32 vcc, 1, v0
	v_cndmask_b32_e32 v21, v17, v19, vcc
	v_cmp_eq_u32_e32 vcc, 2, v0
	v_cndmask_b32_e32 v21, v21, v15, vcc
	;; [unrolled: 2-line block ×13, first 2 shown]
	v_lshlrev_b32_e32 v22, 2, v0
	global_store_dword v22, v21, s[4:5]
.LBB34_7:
	s_or_b64 exec, exec, s[6:7]
	ds_bpermute_b32 v21, v1, v15
	ds_bpermute_b32 v22, v1, v14
	s_waitcnt lgkmcnt(1)
	v_add_f32_e32 v15, v15, v21
	s_waitcnt lgkmcnt(0)
	v_add_f32_e32 v14, v14, v22
	ds_bpermute_b32 v21, v2, v15
	ds_bpermute_b32 v22, v2, v14
	s_waitcnt lgkmcnt(1)
	v_add_f32_e32 v15, v15, v21
	s_waitcnt lgkmcnt(0)
	v_add_f32_e32 v14, v14, v22
	;; [unrolled: 6-line block ×6, first 2 shown]
	s_and_saveexec_b64 s[6:7], s[0:1]
	s_cbranch_execz .LBB34_9
; %bb.8:
	v_add_u32_e32 v21, 2, v0
	v_cmp_eq_u32_e32 vcc, 1, v21
	v_cndmask_b32_e32 v22, v17, v19, vcc
	v_cmp_eq_u32_e32 vcc, 2, v21
	v_cndmask_b32_e32 v22, v22, v15, vcc
	;; [unrolled: 2-line block ×13, first 2 shown]
	v_add_u32_e32 v21, s2, v0
	v_mov_b32_e32 v22, 0
	v_lshlrev_b64 v[21:22], 2, v[21:22]
	v_mov_b32_e32 v24, s5
	v_add_co_u32_e32 v21, vcc, s4, v21
	v_addc_co_u32_e32 v22, vcc, v24, v22, vcc
	global_store_dword v[21:22], v23, off
.LBB34_9:
	s_or_b64 exec, exec, s[6:7]
	ds_bpermute_b32 v21, v1, v13
	ds_bpermute_b32 v22, v1, v12
	s_waitcnt lgkmcnt(1)
	v_add_f32_e32 v13, v13, v21
	s_waitcnt lgkmcnt(0)
	v_add_f32_e32 v12, v12, v22
	ds_bpermute_b32 v21, v2, v13
	ds_bpermute_b32 v22, v2, v12
	s_waitcnt lgkmcnt(1)
	v_add_f32_e32 v13, v13, v21
	s_waitcnt lgkmcnt(0)
	v_add_f32_e32 v12, v12, v22
	;; [unrolled: 6-line block ×6, first 2 shown]
	s_and_saveexec_b64 s[6:7], s[0:1]
	s_cbranch_execz .LBB34_11
; %bb.10:
	v_add_u32_e32 v21, 4, v0
	v_cmp_eq_u32_e32 vcc, 1, v21
	v_cndmask_b32_e32 v22, v17, v19, vcc
	v_cmp_eq_u32_e32 vcc, 2, v21
	v_cndmask_b32_e32 v22, v22, v15, vcc
	;; [unrolled: 2-line block ×13, first 2 shown]
	v_lshl_or_b32 v21, s2, 1, v0
	v_mov_b32_e32 v22, 0
	v_lshlrev_b64 v[21:22], 2, v[21:22]
	v_mov_b32_e32 v24, s5
	v_add_co_u32_e32 v21, vcc, s4, v21
	v_addc_co_u32_e32 v22, vcc, v24, v22, vcc
	global_store_dword v[21:22], v23, off
.LBB34_11:
	s_or_b64 exec, exec, s[6:7]
	ds_bpermute_b32 v21, v1, v11
	ds_bpermute_b32 v22, v1, v10
	s_waitcnt lgkmcnt(1)
	v_add_f32_e32 v11, v11, v21
	s_waitcnt lgkmcnt(0)
	v_add_f32_e32 v10, v10, v22
	ds_bpermute_b32 v21, v2, v11
	ds_bpermute_b32 v22, v2, v10
	s_waitcnt lgkmcnt(1)
	v_add_f32_e32 v11, v11, v21
	s_waitcnt lgkmcnt(0)
	v_add_f32_e32 v10, v10, v22
	;; [unrolled: 6-line block ×6, first 2 shown]
	s_and_saveexec_b64 s[6:7], s[0:1]
	s_cbranch_execz .LBB34_13
; %bb.12:
	v_add_u32_e32 v23, 6, v0
	v_cmp_eq_u32_e32 vcc, 1, v23
	v_cndmask_b32_e32 v21, v17, v19, vcc
	v_cmp_eq_u32_e32 vcc, 2, v23
	v_cndmask_b32_e32 v21, v21, v15, vcc
	;; [unrolled: 2-line block ×12, first 2 shown]
	v_mad_u64_u32 v[21:22], s[8:9], s2, 3, v[0:1]
	v_mov_b32_e32 v22, 0
	v_cmp_eq_u32_e32 vcc, 13, v23
	v_lshlrev_b64 v[21:22], 2, v[21:22]
	v_cndmask_b32_e32 v23, v24, v4, vcc
	v_mov_b32_e32 v24, s5
	v_add_co_u32_e32 v21, vcc, s4, v21
	v_addc_co_u32_e32 v22, vcc, v24, v22, vcc
	global_store_dword v[21:22], v23, off
.LBB34_13:
	s_or_b64 exec, exec, s[6:7]
	ds_bpermute_b32 v21, v1, v9
	ds_bpermute_b32 v22, v1, v8
	s_waitcnt lgkmcnt(1)
	v_add_f32_e32 v9, v9, v21
	s_waitcnt lgkmcnt(0)
	v_add_f32_e32 v8, v8, v22
	ds_bpermute_b32 v21, v2, v9
	ds_bpermute_b32 v22, v2, v8
	s_waitcnt lgkmcnt(1)
	v_add_f32_e32 v9, v9, v21
	s_waitcnt lgkmcnt(0)
	v_add_f32_e32 v8, v8, v22
	;; [unrolled: 6-line block ×6, first 2 shown]
	s_and_saveexec_b64 s[6:7], s[0:1]
	s_cbranch_execz .LBB34_15
; %bb.14:
	v_add_u32_e32 v21, 8, v0
	v_cmp_eq_u32_e32 vcc, 1, v21
	v_cndmask_b32_e32 v22, v17, v19, vcc
	v_cmp_eq_u32_e32 vcc, 2, v21
	v_cndmask_b32_e32 v22, v22, v15, vcc
	;; [unrolled: 2-line block ×13, first 2 shown]
	v_lshl_or_b32 v21, s2, 2, v0
	v_mov_b32_e32 v22, 0
	v_lshlrev_b64 v[21:22], 2, v[21:22]
	v_mov_b32_e32 v24, s5
	v_add_co_u32_e32 v21, vcc, s4, v21
	v_addc_co_u32_e32 v22, vcc, v24, v22, vcc
	global_store_dword v[21:22], v23, off
.LBB34_15:
	s_or_b64 exec, exec, s[6:7]
	ds_bpermute_b32 v21, v1, v7
	ds_bpermute_b32 v22, v1, v6
	s_waitcnt lgkmcnt(1)
	v_add_f32_e32 v7, v7, v21
	s_waitcnt lgkmcnt(0)
	v_add_f32_e32 v6, v6, v22
	ds_bpermute_b32 v21, v2, v7
	ds_bpermute_b32 v22, v2, v6
	s_waitcnt lgkmcnt(1)
	v_add_f32_e32 v7, v7, v21
	s_waitcnt lgkmcnt(0)
	v_add_f32_e32 v6, v6, v22
	;; [unrolled: 6-line block ×6, first 2 shown]
	s_and_saveexec_b64 s[6:7], s[0:1]
	s_cbranch_execz .LBB34_17
; %bb.16:
	v_add_u32_e32 v23, 10, v0
	v_cmp_eq_u32_e32 vcc, 1, v23
	v_cndmask_b32_e32 v21, v17, v19, vcc
	v_cmp_eq_u32_e32 vcc, 2, v23
	v_cndmask_b32_e32 v21, v21, v15, vcc
	;; [unrolled: 2-line block ×12, first 2 shown]
	v_mad_u64_u32 v[21:22], s[8:9], s2, 5, v[0:1]
	v_mov_b32_e32 v22, 0
	v_cmp_eq_u32_e32 vcc, 13, v23
	v_lshlrev_b64 v[21:22], 2, v[21:22]
	v_cndmask_b32_e32 v23, v24, v4, vcc
	v_mov_b32_e32 v24, s5
	v_add_co_u32_e32 v21, vcc, s4, v21
	v_addc_co_u32_e32 v22, vcc, v24, v22, vcc
	global_store_dword v[21:22], v23, off
.LBB34_17:
	s_or_b64 exec, exec, s[6:7]
	ds_bpermute_b32 v21, v1, v5
	ds_bpermute_b32 v1, v1, v4
	s_waitcnt lgkmcnt(1)
	v_add_f32_e32 v5, v5, v21
	s_waitcnt lgkmcnt(0)
	v_add_f32_e32 v1, v4, v1
	ds_bpermute_b32 v4, v2, v5
	ds_bpermute_b32 v2, v2, v1
	s_waitcnt lgkmcnt(1)
	v_add_f32_e32 v4, v5, v4
	s_waitcnt lgkmcnt(0)
	v_add_f32_e32 v1, v1, v2
	;; [unrolled: 6-line block ×5, first 2 shown]
	ds_bpermute_b32 v3, v20, v1
	ds_bpermute_b32 v4, v20, v2
	s_and_b64 exec, exec, s[0:1]
	s_cbranch_execz .LBB34_19
; %bb.18:
	s_waitcnt lgkmcnt(1)
	v_add_f32_e32 v1, v1, v3
	v_add_u32_e32 v3, 12, v0
	v_cmp_eq_u32_e32 vcc, 1, v3
	s_waitcnt lgkmcnt(0)
	v_add_f32_e32 v2, v2, v4
	v_cndmask_b32_e32 v4, v17, v19, vcc
	v_cmp_eq_u32_e32 vcc, 2, v3
	v_cndmask_b32_e32 v4, v4, v15, vcc
	v_cmp_eq_u32_e32 vcc, 3, v3
	;; [unrolled: 2-line block ×12, first 2 shown]
	s_mul_i32 s0, s2, 6
	v_cndmask_b32_e32 v2, v1, v2, vcc
	v_or_b32_e32 v0, s0, v0
	v_mov_b32_e32 v1, 0
	v_lshlrev_b64 v[0:1], 2, v[0:1]
	v_mov_b32_e32 v3, s5
	v_add_co_u32_e32 v0, vcc, s4, v0
	v_addc_co_u32_e32 v1, vcc, v3, v1, vcc
	global_store_dword v[0:1], v2, off
.LBB34_19:
	s_endpgm
	.section	.rodata,"a",@progbits
	.p2align	6, 0x0
	.amdhsa_kernel _ZL13mul_mat_vec_qIL9ggml_type3ELi7ELb0ELb0EEvPKvS2_PKi31ggml_cuda_mm_fusion_args_devicePfj15HIP_vector_typeIjLj3EEjjjS8_jjjS8_jjjj
		.amdhsa_group_segment_fixed_size 0
		.amdhsa_private_segment_fixed_size 0
		.amdhsa_kernarg_size 144
		.amdhsa_user_sgpr_count 6
		.amdhsa_user_sgpr_private_segment_buffer 1
		.amdhsa_user_sgpr_dispatch_ptr 0
		.amdhsa_user_sgpr_queue_ptr 0
		.amdhsa_user_sgpr_kernarg_segment_ptr 1
		.amdhsa_user_sgpr_dispatch_id 0
		.amdhsa_user_sgpr_flat_scratch_init 0
		.amdhsa_user_sgpr_private_segment_size 0
		.amdhsa_uses_dynamic_stack 0
		.amdhsa_system_sgpr_private_segment_wavefront_offset 0
		.amdhsa_system_sgpr_workgroup_id_x 1
		.amdhsa_system_sgpr_workgroup_id_y 1
		.amdhsa_system_sgpr_workgroup_id_z 1
		.amdhsa_system_sgpr_workgroup_info 0
		.amdhsa_system_vgpr_workitem_id 1
		.amdhsa_next_free_vgpr 40
		.amdhsa_next_free_sgpr 28
		.amdhsa_reserve_vcc 1
		.amdhsa_reserve_flat_scratch 0
		.amdhsa_float_round_mode_32 0
		.amdhsa_float_round_mode_16_64 0
		.amdhsa_float_denorm_mode_32 3
		.amdhsa_float_denorm_mode_16_64 3
		.amdhsa_dx10_clamp 1
		.amdhsa_ieee_mode 1
		.amdhsa_fp16_overflow 0
		.amdhsa_exception_fp_ieee_invalid_op 0
		.amdhsa_exception_fp_denorm_src 0
		.amdhsa_exception_fp_ieee_div_zero 0
		.amdhsa_exception_fp_ieee_overflow 0
		.amdhsa_exception_fp_ieee_underflow 0
		.amdhsa_exception_fp_ieee_inexact 0
		.amdhsa_exception_int_div_zero 0
	.end_amdhsa_kernel
	.section	.text._ZL13mul_mat_vec_qIL9ggml_type3ELi7ELb0ELb0EEvPKvS2_PKi31ggml_cuda_mm_fusion_args_devicePfj15HIP_vector_typeIjLj3EEjjjS8_jjjS8_jjjj,"axG",@progbits,_ZL13mul_mat_vec_qIL9ggml_type3ELi7ELb0ELb0EEvPKvS2_PKi31ggml_cuda_mm_fusion_args_devicePfj15HIP_vector_typeIjLj3EEjjjS8_jjjS8_jjjj,comdat
.Lfunc_end34:
	.size	_ZL13mul_mat_vec_qIL9ggml_type3ELi7ELb0ELb0EEvPKvS2_PKi31ggml_cuda_mm_fusion_args_devicePfj15HIP_vector_typeIjLj3EEjjjS8_jjjS8_jjjj, .Lfunc_end34-_ZL13mul_mat_vec_qIL9ggml_type3ELi7ELb0ELb0EEvPKvS2_PKi31ggml_cuda_mm_fusion_args_devicePfj15HIP_vector_typeIjLj3EEjjjS8_jjjS8_jjjj
                                        ; -- End function
	.set _ZL13mul_mat_vec_qIL9ggml_type3ELi7ELb0ELb0EEvPKvS2_PKi31ggml_cuda_mm_fusion_args_devicePfj15HIP_vector_typeIjLj3EEjjjS8_jjjS8_jjjj.num_vgpr, 40
	.set _ZL13mul_mat_vec_qIL9ggml_type3ELi7ELb0ELb0EEvPKvS2_PKi31ggml_cuda_mm_fusion_args_devicePfj15HIP_vector_typeIjLj3EEjjjS8_jjjS8_jjjj.num_agpr, 0
	.set _ZL13mul_mat_vec_qIL9ggml_type3ELi7ELb0ELb0EEvPKvS2_PKi31ggml_cuda_mm_fusion_args_devicePfj15HIP_vector_typeIjLj3EEjjjS8_jjjS8_jjjj.numbered_sgpr, 28
	.set _ZL13mul_mat_vec_qIL9ggml_type3ELi7ELb0ELb0EEvPKvS2_PKi31ggml_cuda_mm_fusion_args_devicePfj15HIP_vector_typeIjLj3EEjjjS8_jjjS8_jjjj.num_named_barrier, 0
	.set _ZL13mul_mat_vec_qIL9ggml_type3ELi7ELb0ELb0EEvPKvS2_PKi31ggml_cuda_mm_fusion_args_devicePfj15HIP_vector_typeIjLj3EEjjjS8_jjjS8_jjjj.private_seg_size, 0
	.set _ZL13mul_mat_vec_qIL9ggml_type3ELi7ELb0ELb0EEvPKvS2_PKi31ggml_cuda_mm_fusion_args_devicePfj15HIP_vector_typeIjLj3EEjjjS8_jjjS8_jjjj.uses_vcc, 1
	.set _ZL13mul_mat_vec_qIL9ggml_type3ELi7ELb0ELb0EEvPKvS2_PKi31ggml_cuda_mm_fusion_args_devicePfj15HIP_vector_typeIjLj3EEjjjS8_jjjS8_jjjj.uses_flat_scratch, 0
	.set _ZL13mul_mat_vec_qIL9ggml_type3ELi7ELb0ELb0EEvPKvS2_PKi31ggml_cuda_mm_fusion_args_devicePfj15HIP_vector_typeIjLj3EEjjjS8_jjjS8_jjjj.has_dyn_sized_stack, 0
	.set _ZL13mul_mat_vec_qIL9ggml_type3ELi7ELb0ELb0EEvPKvS2_PKi31ggml_cuda_mm_fusion_args_devicePfj15HIP_vector_typeIjLj3EEjjjS8_jjjS8_jjjj.has_recursion, 0
	.set _ZL13mul_mat_vec_qIL9ggml_type3ELi7ELb0ELb0EEvPKvS2_PKi31ggml_cuda_mm_fusion_args_devicePfj15HIP_vector_typeIjLj3EEjjjS8_jjjS8_jjjj.has_indirect_call, 0
	.section	.AMDGPU.csdata,"",@progbits
; Kernel info:
; codeLenInByte = 4504
; TotalNumSgprs: 32
; NumVgprs: 40
; ScratchSize: 0
; MemoryBound: 0
; FloatMode: 240
; IeeeMode: 1
; LDSByteSize: 0 bytes/workgroup (compile time only)
; SGPRBlocks: 3
; VGPRBlocks: 9
; NumSGPRsForWavesPerEU: 32
; NumVGPRsForWavesPerEU: 40
; Occupancy: 6
; WaveLimiterHint : 0
; COMPUTE_PGM_RSRC2:SCRATCH_EN: 0
; COMPUTE_PGM_RSRC2:USER_SGPR: 6
; COMPUTE_PGM_RSRC2:TRAP_HANDLER: 0
; COMPUTE_PGM_RSRC2:TGID_X_EN: 1
; COMPUTE_PGM_RSRC2:TGID_Y_EN: 1
; COMPUTE_PGM_RSRC2:TGID_Z_EN: 1
; COMPUTE_PGM_RSRC2:TIDIG_COMP_CNT: 1
	.section	.text._ZL13mul_mat_vec_qIL9ggml_type3ELi8ELb0ELb0EEvPKvS2_PKi31ggml_cuda_mm_fusion_args_devicePfj15HIP_vector_typeIjLj3EEjjjS8_jjjS8_jjjj,"axG",@progbits,_ZL13mul_mat_vec_qIL9ggml_type3ELi8ELb0ELb0EEvPKvS2_PKi31ggml_cuda_mm_fusion_args_devicePfj15HIP_vector_typeIjLj3EEjjjS8_jjjS8_jjjj,comdat
	.globl	_ZL13mul_mat_vec_qIL9ggml_type3ELi8ELb0ELb0EEvPKvS2_PKi31ggml_cuda_mm_fusion_args_devicePfj15HIP_vector_typeIjLj3EEjjjS8_jjjS8_jjjj ; -- Begin function _ZL13mul_mat_vec_qIL9ggml_type3ELi8ELb0ELb0EEvPKvS2_PKi31ggml_cuda_mm_fusion_args_devicePfj15HIP_vector_typeIjLj3EEjjjS8_jjjS8_jjjj
	.p2align	8
	.type	_ZL13mul_mat_vec_qIL9ggml_type3ELi8ELb0ELb0EEvPKvS2_PKi31ggml_cuda_mm_fusion_args_devicePfj15HIP_vector_typeIjLj3EEjjjS8_jjjS8_jjjj,@function
_ZL13mul_mat_vec_qIL9ggml_type3ELi8ELb0ELb0EEvPKvS2_PKi31ggml_cuda_mm_fusion_args_devicePfj15HIP_vector_typeIjLj3EEjjjS8_jjjS8_jjjj: ; @_ZL13mul_mat_vec_qIL9ggml_type3ELi8ELb0ELb0EEvPKvS2_PKi31ggml_cuda_mm_fusion_args_devicePfj15HIP_vector_typeIjLj3EEjjjS8_jjjS8_jjjj
; %bb.0:
	s_load_dword s9, s[4:5], 0x40
	s_load_dwordx4 s[0:3], s[4:5], 0x50
	s_load_dword s25, s[4:5], 0x60
	s_load_dwordx4 s[12:15], s[4:5], 0x68
	;; [unrolled: 2-line block ×3, first 2 shown]
	v_lshl_or_b32 v2, v1, 6, v0
	s_waitcnt lgkmcnt(0)
	s_lshr_b32 s9, s9, 5
	v_lshrrev_b16_e32 v20, 1, v2
	v_mov_b32_e32 v4, 0
	s_lshl_b32 s6, s6, 1
	v_cmp_gt_u32_e32 vcc, s9, v20
	v_mov_b32_e32 v5, v4
	v_mov_b32_e32 v6, v4
	;; [unrolled: 1-line block ×15, first 2 shown]
	s_and_saveexec_b64 s[10:11], vcc
	s_cbranch_execz .LBB35_4
; %bb.1:
	s_load_dwordx4 s[20:23], s[4:5], 0x0
	s_mul_i32 s17, s17, s8
	s_mul_hi_u32 s19, s17, 36
	s_mul_i32 s17, s17, 36
	s_mul_i32 s13, s13, s7
	s_waitcnt lgkmcnt(0)
	s_add_u32 s17, s22, s17
	s_addc_u32 s19, s23, s19
	s_mul_hi_u32 s23, s13, 36
	s_mul_i32 s13, s13, 36
	s_add_u32 s22, s17, s13
	s_mul_hi_u32 s3, s3, s7
	s_addc_u32 s23, s19, s23
	s_add_i32 s3, s7, s3
	s_lshr_b32 s3, s3, s25
	s_mul_i32 s3, s3, s12
	s_mul_hi_u32 s12, s15, s8
	s_add_i32 s12, s8, s12
	s_lshr_b32 s12, s12, s24
	s_mul_i32 s12, s12, s16
	v_lshlrev_b32_e32 v3, 1, v0
	s_add_i32 s13, s6, 1
	v_and_b32_e32 v5, 2, v3
	s_add_i32 s12, s12, s3
	s_mul_i32 s3, s6, s0
	s_mul_i32 s0, s0, s13
	v_and_b32_e32 v3, 1, v0
	v_lshrrev_b32_e32 v2, 1, v2
	s_add_i32 s3, s12, s3
	s_add_i32 s0, s12, s0
	v_lshlrev_b32_e32 v21, 3, v3
	v_mad_u64_u32 v[2:3], s[12:13], v2, 36, s[22:23]
	v_mov_b32_e32 v4, 0
	s_lshl_b32 s15, s1, 1
	s_mul_i32 s16, s1, 3
	s_lshl_b32 s17, s1, 2
	s_mul_i32 s19, s1, 5
	s_mul_i32 s24, s1, 6
	;; [unrolled: 1-line block ×3, first 2 shown]
	s_mov_b64 s[12:13], 0
	v_lshlrev_b32_e32 v22, 2, v5
	v_mov_b32_e32 v5, v4
	v_mov_b32_e32 v6, v4
	;; [unrolled: 1-line block ×15, first 2 shown]
.LBB35_2:                               ; =>This Inner Loop Header: Depth=1
	v_add_co_u32_e32 v23, vcc, v2, v21
	v_add_u32_e32 v25, s3, v20
	v_addc_co_u32_e32 v24, vcc, 0, v3, vcc
	global_load_dwordx2 v[33:34], v[23:24], off offset:4
	global_load_dwordx2 v[35:36], v[23:24], off offset:20
	global_load_dword v39, v[2:3], off
	v_mad_i64_i32 v[24:25], s[26:27], v25, 20, s[20:21]
	v_add_co_u32_e32 v26, vcc, v24, v22
	v_addc_co_u32_e32 v27, vcc, 0, v25, vcc
	global_load_dwordx2 v[28:29], v[26:27], off offset:4
	global_load_dword v23, v[24:25], off
	s_waitcnt vmcnt(1)
	v_and_b32_e32 v24, 0xf0f0f0f, v28
	v_lshrrev_b32_e32 v25, 4, v28
	v_and_b32_e32 v25, 0xf0f0f0f, v25
	v_dot4_i32_i8 v26, v24, v33, 0
	v_dot4_i32_i8 v28, v25, v35, v26
	v_and_b32_e32 v26, 0xf0f0f0f, v29
	v_lshrrev_b32_e32 v27, 4, v29
	v_and_b32_e32 v27, 0xf0f0f0f, v27
	v_dot4_i32_i8 v28, v26, v34, v28
	s_waitcnt vmcnt(0)
	v_pk_mul_f16 v29, v23, v39
	v_dot4_i32_i8 v28, v27, v36, v28
	v_cvt_f32_f16_sdwa v30, v29 dst_sel:DWORD dst_unused:UNUSED_PAD src0_sel:WORD_1
	v_cvt_f32_i32_e32 v28, v28
	v_mul_f32_e32 v30, 0.5, v30
	v_fma_mix_f32 v28, v28, v29, v30 op_sel_hi:[0,1,0]
	v_add_f32_e32 v19, v19, v28
	v_add_u32_e32 v28, s0, v20
	v_mad_i64_i32 v[29:30], s[26:27], v28, 20, s[20:21]
	v_add_co_u32_e32 v31, vcc, v29, v22
	v_addc_co_u32_e32 v32, vcc, 0, v30, vcc
	global_load_dwordx2 v[37:38], v[31:32], off offset:4
	global_load_dword v28, v[29:30], off
	s_waitcnt vmcnt(1)
	v_and_b32_e32 v30, 0xf0f0f0f, v37
	v_lshrrev_b32_e32 v29, 4, v37
	v_and_b32_e32 v32, 0xf0f0f0f, v29
	v_dot4_i32_i8 v29, v30, v33, 0
	v_dot4_i32_i8 v33, v32, v35, v29
	v_and_b32_e32 v31, 0xf0f0f0f, v38
	v_lshrrev_b32_e32 v29, 4, v38
	v_and_b32_e32 v29, 0xf0f0f0f, v29
	v_dot4_i32_i8 v33, v31, v34, v33
	s_waitcnt vmcnt(0)
	v_pk_mul_f16 v34, v28, v39
	v_dot4_i32_i8 v33, v29, v36, v33
	v_cvt_f32_f16_sdwa v35, v34 dst_sel:DWORD dst_unused:UNUSED_PAD src0_sel:WORD_1
	v_cvt_f32_i32_e32 v33, v33
	v_mul_f32_e32 v35, 0.5, v35
	v_fma_mix_f32 v33, v33, v34, v35 op_sel_hi:[0,1,0]
	v_add_f32_e32 v18, v18, v33
	v_add_u32_e32 v33, s1, v20
	v_mad_u64_u32 v[33:34], s[26:27], v33, 36, s[22:23]
	v_add_co_u32_e32 v35, vcc, v33, v22
	v_addc_co_u32_e32 v36, vcc, 0, v34, vcc
	global_load_dwordx2 v[37:38], v[35:36], off offset:4
	global_load_dwordx2 v[39:40], v[35:36], off offset:20
	global_load_dword v41, v[33:34], off
	s_waitcnt vmcnt(2)
	v_dot4_i32_i8 v33, v24, v37, 0
	s_waitcnt vmcnt(1)
	v_dot4_i32_i8 v33, v25, v39, v33
	v_dot4_i32_i8 v33, v26, v38, v33
	s_waitcnt vmcnt(0)
	v_pk_mul_f16 v34, v23, v41
	v_dot4_i32_i8 v33, v27, v40, v33
	v_cvt_f32_f16_sdwa v35, v34 dst_sel:DWORD dst_unused:UNUSED_PAD src0_sel:WORD_1
	v_cvt_f32_i32_e32 v33, v33
	v_mul_f32_e32 v35, 0.5, v35
	v_fma_mix_f32 v33, v33, v34, v35 op_sel_hi:[0,1,0]
	v_add_f32_e32 v17, v17, v33
	v_dot4_i32_i8 v33, v30, v37, 0
	v_dot4_i32_i8 v33, v32, v39, v33
	v_dot4_i32_i8 v33, v31, v38, v33
	v_pk_mul_f16 v34, v28, v41
	v_dot4_i32_i8 v33, v29, v40, v33
	v_cvt_f32_f16_sdwa v35, v34 dst_sel:DWORD dst_unused:UNUSED_PAD src0_sel:WORD_1
	v_cvt_f32_i32_e32 v33, v33
	v_mul_f32_e32 v35, 0.5, v35
	v_fma_mix_f32 v33, v33, v34, v35 op_sel_hi:[0,1,0]
	v_add_f32_e32 v16, v16, v33
	v_add_u32_e32 v33, s15, v20
	v_mad_u64_u32 v[33:34], s[26:27], v33, 36, s[22:23]
	v_add_co_u32_e32 v35, vcc, v33, v22
	v_addc_co_u32_e32 v36, vcc, 0, v34, vcc
	global_load_dwordx2 v[37:38], v[35:36], off offset:4
	global_load_dwordx2 v[39:40], v[35:36], off offset:20
	global_load_dword v41, v[33:34], off
	s_waitcnt vmcnt(2)
	v_dot4_i32_i8 v33, v24, v37, 0
	s_waitcnt vmcnt(1)
	v_dot4_i32_i8 v33, v25, v39, v33
	v_dot4_i32_i8 v33, v26, v38, v33
	s_waitcnt vmcnt(0)
	v_pk_mul_f16 v34, v23, v41
	v_dot4_i32_i8 v33, v27, v40, v33
	v_cvt_f32_f16_sdwa v35, v34 dst_sel:DWORD dst_unused:UNUSED_PAD src0_sel:WORD_1
	v_cvt_f32_i32_e32 v33, v33
	v_mul_f32_e32 v35, 0.5, v35
	v_fma_mix_f32 v33, v33, v34, v35 op_sel_hi:[0,1,0]
	v_add_f32_e32 v15, v15, v33
	v_dot4_i32_i8 v33, v30, v37, 0
	v_dot4_i32_i8 v33, v32, v39, v33
	v_dot4_i32_i8 v33, v31, v38, v33
	;; [unrolled: 30-line block ×6, first 2 shown]
	v_pk_mul_f16 v34, v28, v41
	v_dot4_i32_i8 v33, v29, v40, v33
	v_cvt_f32_f16_sdwa v35, v34 dst_sel:DWORD dst_unused:UNUSED_PAD src0_sel:WORD_1
	v_cvt_f32_i32_e32 v33, v33
	v_mul_f32_e32 v35, 0.5, v35
	v_fma_mix_f32 v33, v33, v34, v35 op_sel_hi:[0,1,0]
	v_add_f32_e32 v6, v6, v33
	v_add_u32_e32 v33, s25, v20
	v_mad_u64_u32 v[33:34], s[26:27], v33, 36, s[22:23]
	v_add_u32_e32 v20, 32, v20
	v_add_co_u32_e32 v35, vcc, v33, v22
	v_addc_co_u32_e32 v36, vcc, 0, v34, vcc
	global_load_dwordx2 v[37:38], v[35:36], off offset:4
	global_load_dwordx2 v[39:40], v[35:36], off offset:20
	global_load_dword v41, v[33:34], off
	v_add_co_u32_e32 v2, vcc, 0x480, v2
	v_addc_co_u32_e32 v3, vcc, 0, v3, vcc
	v_cmp_le_u32_e32 vcc, s9, v20
	s_or_b64 s[12:13], vcc, s[12:13]
	s_waitcnt vmcnt(2)
	v_dot4_i32_i8 v24, v24, v37, 0
	s_waitcnt vmcnt(1)
	v_dot4_i32_i8 v24, v25, v39, v24
	v_dot4_i32_i8 v24, v26, v38, v24
	s_waitcnt vmcnt(0)
	v_pk_mul_f16 v23, v23, v41
	v_dot4_i32_i8 v24, v27, v40, v24
	v_cvt_f32_f16_sdwa v25, v23 dst_sel:DWORD dst_unused:UNUSED_PAD src0_sel:WORD_1
	v_cvt_f32_i32_e32 v24, v24
	v_mul_f32_e32 v25, 0.5, v25
	v_fma_mix_f32 v23, v24, v23, v25 op_sel_hi:[0,1,0]
	v_add_f32_e32 v5, v5, v23
	v_dot4_i32_i8 v23, v30, v37, 0
	v_dot4_i32_i8 v23, v32, v39, v23
	;; [unrolled: 1-line block ×3, first 2 shown]
	v_pk_mul_f16 v24, v28, v41
	v_dot4_i32_i8 v23, v29, v40, v23
	v_cvt_f32_f16_sdwa v25, v24 dst_sel:DWORD dst_unused:UNUSED_PAD src0_sel:WORD_1
	v_cvt_f32_i32_e32 v23, v23
	v_mul_f32_e32 v25, 0.5, v25
	v_fma_mix_f32 v23, v23, v24, v25 op_sel_hi:[0,1,0]
	v_add_f32_e32 v4, v4, v23
	s_andn2_b64 exec, exec, s[12:13]
	s_cbranch_execnz .LBB35_2
; %bb.3:
	s_or_b64 exec, exec, s[12:13]
.LBB35_4:
	s_or_b64 exec, exec, s[10:11]
	s_mov_b32 s1, 0
	v_cmp_eq_u32_e32 vcc, 0, v1
	; wave barrier
	s_and_saveexec_b64 s[10:11], vcc
	s_cbranch_execz .LBB35_21
; %bb.5:
	v_mbcnt_lo_u32_b32 v1, -1, 0
	v_mbcnt_hi_u32_b32 v21, -1, v1
	v_and_b32_e32 v1, 64, v21
	v_add_u32_e32 v22, 64, v1
	v_xor_b32_e32 v1, 32, v21
	v_cmp_lt_i32_e32 vcc, v1, v22
	v_cndmask_b32_e32 v1, v21, v1, vcc
	v_lshlrev_b32_e32 v1, 2, v1
	ds_bpermute_b32 v23, v1, v19
	ds_bpermute_b32 v24, v1, v18
	v_xor_b32_e32 v2, 16, v21
	v_cmp_lt_i32_e32 vcc, v2, v22
	v_cndmask_b32_e32 v2, v21, v2, vcc
	v_lshlrev_b32_e32 v2, 2, v2
	s_waitcnt lgkmcnt(1)
	v_add_f32_e32 v19, v19, v23
	s_waitcnt lgkmcnt(0)
	v_add_f32_e32 v18, v18, v24
	ds_bpermute_b32 v23, v2, v19
	ds_bpermute_b32 v24, v2, v18
	v_xor_b32_e32 v3, 8, v21
	v_cmp_lt_i32_e32 vcc, v3, v22
	v_cndmask_b32_e32 v3, v21, v3, vcc
	v_lshlrev_b32_e32 v3, 2, v3
	s_waitcnt lgkmcnt(1)
	v_add_f32_e32 v19, v19, v23
	s_waitcnt lgkmcnt(0)
	v_add_f32_e32 v24, v18, v24
	;; [unrolled: 10-line block ×3, first 2 shown]
	ds_bpermute_b32 v23, v20, v19
	ds_bpermute_b32 v26, v20, v24
	v_xor_b32_e32 v25, 2, v21
	v_cmp_lt_i32_e32 vcc, v25, v22
	v_cndmask_b32_e32 v25, v21, v25, vcc
	v_lshlrev_b32_e32 v18, 2, v25
	v_xor_b32_e32 v25, 1, v21
	v_cmp_lt_i32_e32 vcc, v25, v22
	s_waitcnt lgkmcnt(1)
	v_add_f32_e32 v19, v19, v23
	s_waitcnt lgkmcnt(0)
	v_add_f32_e32 v24, v24, v26
	v_cndmask_b32_e32 v21, v21, v25, vcc
	ds_bpermute_b32 v23, v18, v19
	ds_bpermute_b32 v25, v18, v24
	s_load_dwordx2 s[4:5], s[4:5], 0x38
	s_mul_i32 s3, s14, s7
	v_lshlrev_b32_e32 v22, 2, v21
	s_waitcnt lgkmcnt(0)
	v_add_f32_e32 v19, v19, v23
	v_add_f32_e32 v23, v24, v25
	s_mul_i32 s0, s18, s8
	s_add_i32 s3, s3, s6
	ds_bpermute_b32 v21, v22, v19
	ds_bpermute_b32 v24, v22, v23
	s_add_i32 s0, s3, s0
	s_lshl_b64 s[0:1], s[0:1], 2
	s_add_u32 s4, s4, s0
	v_add_u32_e32 v25, s6, v0
	s_addc_u32 s5, s5, s1
	v_cmp_gt_u32_e32 vcc, 2, v0
	v_cmp_gt_u32_e64 s[0:1], s2, v25
	s_and_b64 s[0:1], vcc, s[0:1]
	s_waitcnt lgkmcnt(1)
	v_add_f32_e32 v19, v19, v21
	s_waitcnt lgkmcnt(0)
	v_add_f32_e32 v21, v23, v24
	s_and_saveexec_b64 s[6:7], s[0:1]
	s_cbranch_execz .LBB35_7
; %bb.6:
	v_cmp_eq_u32_e32 vcc, 1, v0
	v_cndmask_b32_e32 v23, v19, v21, vcc
	v_cmp_eq_u32_e32 vcc, 2, v0
	v_cndmask_b32_e32 v23, v23, v17, vcc
	;; [unrolled: 2-line block ×15, first 2 shown]
	v_lshlrev_b32_e32 v24, 2, v0
	global_store_dword v24, v23, s[4:5]
.LBB35_7:
	s_or_b64 exec, exec, s[6:7]
	ds_bpermute_b32 v23, v1, v17
	ds_bpermute_b32 v24, v1, v16
	s_waitcnt lgkmcnt(1)
	v_add_f32_e32 v17, v17, v23
	s_waitcnt lgkmcnt(0)
	v_add_f32_e32 v16, v16, v24
	ds_bpermute_b32 v23, v2, v17
	ds_bpermute_b32 v24, v2, v16
	s_waitcnt lgkmcnt(1)
	v_add_f32_e32 v17, v17, v23
	s_waitcnt lgkmcnt(0)
	v_add_f32_e32 v16, v16, v24
	;; [unrolled: 6-line block ×6, first 2 shown]
	s_and_saveexec_b64 s[6:7], s[0:1]
	s_cbranch_execz .LBB35_9
; %bb.8:
	v_add_u32_e32 v23, 2, v0
	v_cmp_eq_u32_e32 vcc, 1, v23
	v_cndmask_b32_e32 v24, v19, v21, vcc
	v_cmp_eq_u32_e32 vcc, 2, v23
	v_cndmask_b32_e32 v24, v24, v17, vcc
	;; [unrolled: 2-line block ×15, first 2 shown]
	v_add_u32_e32 v23, s2, v0
	v_mov_b32_e32 v24, 0
	v_lshlrev_b64 v[23:24], 2, v[23:24]
	v_mov_b32_e32 v26, s5
	v_add_co_u32_e32 v23, vcc, s4, v23
	v_addc_co_u32_e32 v24, vcc, v26, v24, vcc
	global_store_dword v[23:24], v25, off
.LBB35_9:
	s_or_b64 exec, exec, s[6:7]
	ds_bpermute_b32 v23, v1, v15
	ds_bpermute_b32 v24, v1, v14
	s_waitcnt lgkmcnt(1)
	v_add_f32_e32 v15, v15, v23
	s_waitcnt lgkmcnt(0)
	v_add_f32_e32 v14, v14, v24
	ds_bpermute_b32 v23, v2, v15
	ds_bpermute_b32 v24, v2, v14
	s_waitcnt lgkmcnt(1)
	v_add_f32_e32 v15, v15, v23
	s_waitcnt lgkmcnt(0)
	v_add_f32_e32 v14, v14, v24
	;; [unrolled: 6-line block ×6, first 2 shown]
	s_and_saveexec_b64 s[6:7], s[0:1]
	s_cbranch_execz .LBB35_11
; %bb.10:
	v_add_u32_e32 v23, 4, v0
	v_cmp_eq_u32_e32 vcc, 1, v23
	v_cndmask_b32_e32 v24, v19, v21, vcc
	v_cmp_eq_u32_e32 vcc, 2, v23
	v_cndmask_b32_e32 v24, v24, v17, vcc
	;; [unrolled: 2-line block ×15, first 2 shown]
	v_lshl_or_b32 v23, s2, 1, v0
	v_mov_b32_e32 v24, 0
	v_lshlrev_b64 v[23:24], 2, v[23:24]
	v_mov_b32_e32 v26, s5
	v_add_co_u32_e32 v23, vcc, s4, v23
	v_addc_co_u32_e32 v24, vcc, v26, v24, vcc
	global_store_dword v[23:24], v25, off
.LBB35_11:
	s_or_b64 exec, exec, s[6:7]
	ds_bpermute_b32 v23, v1, v13
	ds_bpermute_b32 v24, v1, v12
	s_waitcnt lgkmcnt(1)
	v_add_f32_e32 v13, v13, v23
	s_waitcnt lgkmcnt(0)
	v_add_f32_e32 v12, v12, v24
	ds_bpermute_b32 v23, v2, v13
	ds_bpermute_b32 v24, v2, v12
	s_waitcnt lgkmcnt(1)
	v_add_f32_e32 v13, v13, v23
	s_waitcnt lgkmcnt(0)
	v_add_f32_e32 v12, v12, v24
	;; [unrolled: 6-line block ×6, first 2 shown]
	s_and_saveexec_b64 s[6:7], s[0:1]
	s_cbranch_execz .LBB35_13
; %bb.12:
	v_add_u32_e32 v25, 6, v0
	v_cmp_eq_u32_e32 vcc, 1, v25
	v_cndmask_b32_e32 v23, v19, v21, vcc
	v_cmp_eq_u32_e32 vcc, 2, v25
	v_cndmask_b32_e32 v23, v23, v17, vcc
	;; [unrolled: 2-line block ×14, first 2 shown]
	v_mad_u64_u32 v[23:24], s[8:9], s2, 3, v[0:1]
	v_mov_b32_e32 v24, 0
	v_cmp_eq_u32_e32 vcc, 15, v25
	v_lshlrev_b64 v[23:24], 2, v[23:24]
	v_cndmask_b32_e32 v25, v26, v4, vcc
	v_mov_b32_e32 v26, s5
	v_add_co_u32_e32 v23, vcc, s4, v23
	v_addc_co_u32_e32 v24, vcc, v26, v24, vcc
	global_store_dword v[23:24], v25, off
.LBB35_13:
	s_or_b64 exec, exec, s[6:7]
	ds_bpermute_b32 v23, v1, v11
	ds_bpermute_b32 v24, v1, v10
	s_waitcnt lgkmcnt(1)
	v_add_f32_e32 v11, v11, v23
	s_waitcnt lgkmcnt(0)
	v_add_f32_e32 v10, v10, v24
	ds_bpermute_b32 v23, v2, v11
	ds_bpermute_b32 v24, v2, v10
	s_waitcnt lgkmcnt(1)
	v_add_f32_e32 v11, v11, v23
	s_waitcnt lgkmcnt(0)
	v_add_f32_e32 v10, v10, v24
	;; [unrolled: 6-line block ×6, first 2 shown]
	s_and_saveexec_b64 s[6:7], s[0:1]
	s_cbranch_execz .LBB35_15
; %bb.14:
	v_add_u32_e32 v23, 8, v0
	v_cmp_eq_u32_e32 vcc, 1, v23
	v_cndmask_b32_e32 v24, v19, v21, vcc
	v_cmp_eq_u32_e32 vcc, 2, v23
	v_cndmask_b32_e32 v24, v24, v17, vcc
	;; [unrolled: 2-line block ×15, first 2 shown]
	v_lshl_or_b32 v23, s2, 2, v0
	v_mov_b32_e32 v24, 0
	v_lshlrev_b64 v[23:24], 2, v[23:24]
	v_mov_b32_e32 v26, s5
	v_add_co_u32_e32 v23, vcc, s4, v23
	v_addc_co_u32_e32 v24, vcc, v26, v24, vcc
	global_store_dword v[23:24], v25, off
.LBB35_15:
	s_or_b64 exec, exec, s[6:7]
	ds_bpermute_b32 v23, v1, v9
	ds_bpermute_b32 v24, v1, v8
	s_waitcnt lgkmcnt(1)
	v_add_f32_e32 v9, v9, v23
	s_waitcnt lgkmcnt(0)
	v_add_f32_e32 v8, v8, v24
	ds_bpermute_b32 v23, v2, v9
	ds_bpermute_b32 v24, v2, v8
	s_waitcnt lgkmcnt(1)
	v_add_f32_e32 v9, v9, v23
	s_waitcnt lgkmcnt(0)
	v_add_f32_e32 v8, v8, v24
	;; [unrolled: 6-line block ×6, first 2 shown]
	s_and_saveexec_b64 s[6:7], s[0:1]
	s_cbranch_execz .LBB35_17
; %bb.16:
	v_add_u32_e32 v25, 10, v0
	v_cmp_eq_u32_e32 vcc, 1, v25
	v_cndmask_b32_e32 v23, v19, v21, vcc
	v_cmp_eq_u32_e32 vcc, 2, v25
	v_cndmask_b32_e32 v23, v23, v17, vcc
	;; [unrolled: 2-line block ×14, first 2 shown]
	v_mad_u64_u32 v[23:24], s[8:9], s2, 5, v[0:1]
	v_mov_b32_e32 v24, 0
	v_cmp_eq_u32_e32 vcc, 15, v25
	v_lshlrev_b64 v[23:24], 2, v[23:24]
	v_cndmask_b32_e32 v25, v26, v4, vcc
	v_mov_b32_e32 v26, s5
	v_add_co_u32_e32 v23, vcc, s4, v23
	v_addc_co_u32_e32 v24, vcc, v26, v24, vcc
	global_store_dword v[23:24], v25, off
.LBB35_17:
	s_or_b64 exec, exec, s[6:7]
	ds_bpermute_b32 v23, v1, v7
	ds_bpermute_b32 v24, v1, v6
	s_waitcnt lgkmcnt(1)
	v_add_f32_e32 v7, v7, v23
	s_waitcnt lgkmcnt(0)
	v_add_f32_e32 v6, v6, v24
	ds_bpermute_b32 v23, v2, v7
	ds_bpermute_b32 v24, v2, v6
	s_waitcnt lgkmcnt(1)
	v_add_f32_e32 v7, v7, v23
	s_waitcnt lgkmcnt(0)
	v_add_f32_e32 v6, v6, v24
	ds_bpermute_b32 v23, v3, v7
	ds_bpermute_b32 v24, v3, v6
	s_waitcnt lgkmcnt(1)
	v_add_f32_e32 v7, v7, v23
	s_waitcnt lgkmcnt(0)
	v_add_f32_e32 v6, v6, v24
	ds_bpermute_b32 v23, v20, v7
	ds_bpermute_b32 v24, v20, v6
	s_waitcnt lgkmcnt(1)
	v_add_f32_e32 v7, v7, v23
	s_waitcnt lgkmcnt(0)
	v_add_f32_e32 v6, v6, v24
	ds_bpermute_b32 v23, v18, v7
	ds_bpermute_b32 v24, v18, v6
	s_waitcnt lgkmcnt(1)
	v_add_f32_e32 v7, v7, v23
	s_waitcnt lgkmcnt(0)
	v_add_f32_e32 v6, v6, v24
	ds_bpermute_b32 v23, v22, v7
	ds_bpermute_b32 v24, v22, v6
	s_waitcnt lgkmcnt(1)
	v_add_f32_e32 v7, v7, v23
	s_waitcnt lgkmcnt(0)
	v_add_f32_e32 v6, v6, v24
	s_and_saveexec_b64 s[6:7], s[0:1]
	s_cbranch_execz .LBB35_19
; %bb.18:
	v_add_u32_e32 v23, 12, v0
	v_cmp_eq_u32_e32 vcc, 1, v23
	v_cndmask_b32_e32 v24, v19, v21, vcc
	v_cmp_eq_u32_e32 vcc, 2, v23
	v_cndmask_b32_e32 v24, v24, v17, vcc
	v_cmp_eq_u32_e32 vcc, 3, v23
	v_cndmask_b32_e32 v24, v24, v16, vcc
	v_cmp_eq_u32_e32 vcc, 4, v23
	v_cndmask_b32_e32 v24, v24, v15, vcc
	v_cmp_eq_u32_e32 vcc, 5, v23
	v_cndmask_b32_e32 v24, v24, v14, vcc
	v_cmp_eq_u32_e32 vcc, 6, v23
	v_cndmask_b32_e32 v24, v24, v13, vcc
	v_cmp_eq_u32_e32 vcc, 7, v23
	v_cndmask_b32_e32 v24, v24, v12, vcc
	v_cmp_eq_u32_e32 vcc, 8, v23
	v_cndmask_b32_e32 v24, v24, v11, vcc
	v_cmp_eq_u32_e32 vcc, 9, v23
	v_cndmask_b32_e32 v24, v24, v10, vcc
	v_cmp_eq_u32_e32 vcc, 10, v23
	v_cndmask_b32_e32 v24, v24, v9, vcc
	v_cmp_eq_u32_e32 vcc, 11, v23
	v_cndmask_b32_e32 v24, v24, v8, vcc
	v_cmp_eq_u32_e32 vcc, 12, v23
	v_cndmask_b32_e32 v24, v24, v7, vcc
	v_cmp_eq_u32_e32 vcc, 13, v23
	v_cndmask_b32_e32 v24, v24, v6, vcc
	v_cmp_eq_u32_e32 vcc, 14, v23
	v_cndmask_b32_e32 v24, v24, v5, vcc
	v_cmp_eq_u32_e32 vcc, 15, v23
	s_mul_i32 s3, s2, 6
	v_cndmask_b32_e32 v25, v24, v4, vcc
	v_or_b32_e32 v23, s3, v0
	v_mov_b32_e32 v24, 0
	v_lshlrev_b64 v[23:24], 2, v[23:24]
	v_mov_b32_e32 v26, s5
	v_add_co_u32_e32 v23, vcc, s4, v23
	v_addc_co_u32_e32 v24, vcc, v26, v24, vcc
	global_store_dword v[23:24], v25, off
.LBB35_19:
	s_or_b64 exec, exec, s[6:7]
	ds_bpermute_b32 v23, v1, v5
	ds_bpermute_b32 v1, v1, v4
	s_waitcnt lgkmcnt(1)
	v_add_f32_e32 v5, v5, v23
	s_waitcnt lgkmcnt(0)
	v_add_f32_e32 v1, v4, v1
	ds_bpermute_b32 v4, v2, v5
	ds_bpermute_b32 v2, v2, v1
	s_waitcnt lgkmcnt(1)
	v_add_f32_e32 v4, v5, v4
	s_waitcnt lgkmcnt(0)
	v_add_f32_e32 v1, v1, v2
	;; [unrolled: 6-line block ×5, first 2 shown]
	ds_bpermute_b32 v3, v22, v1
	ds_bpermute_b32 v4, v22, v2
	s_and_b64 exec, exec, s[0:1]
	s_cbranch_execz .LBB35_21
; %bb.20:
	s_waitcnt lgkmcnt(1)
	v_add_f32_e32 v1, v1, v3
	v_add_u32_e32 v3, 14, v0
	v_cmp_eq_u32_e32 vcc, 1, v3
	s_waitcnt lgkmcnt(0)
	v_add_f32_e32 v2, v2, v4
	v_cndmask_b32_e32 v4, v19, v21, vcc
	v_cmp_eq_u32_e32 vcc, 2, v3
	v_cndmask_b32_e32 v4, v4, v17, vcc
	v_cmp_eq_u32_e32 vcc, 3, v3
	;; [unrolled: 2-line block ×13, first 2 shown]
	v_cndmask_b32_e32 v4, v4, v1, vcc
	v_mad_u64_u32 v[0:1], s[0:1], s2, 7, v[0:1]
	v_mov_b32_e32 v1, 0
	v_cmp_eq_u32_e32 vcc, 15, v3
	v_lshlrev_b64 v[0:1], 2, v[0:1]
	v_cndmask_b32_e32 v2, v4, v2, vcc
	v_mov_b32_e32 v3, s5
	v_add_co_u32_e32 v0, vcc, s4, v0
	v_addc_co_u32_e32 v1, vcc, v3, v1, vcc
	global_store_dword v[0:1], v2, off
.LBB35_21:
	s_endpgm
	.section	.rodata,"a",@progbits
	.p2align	6, 0x0
	.amdhsa_kernel _ZL13mul_mat_vec_qIL9ggml_type3ELi8ELb0ELb0EEvPKvS2_PKi31ggml_cuda_mm_fusion_args_devicePfj15HIP_vector_typeIjLj3EEjjjS8_jjjS8_jjjj
		.amdhsa_group_segment_fixed_size 0
		.amdhsa_private_segment_fixed_size 0
		.amdhsa_kernarg_size 144
		.amdhsa_user_sgpr_count 6
		.amdhsa_user_sgpr_private_segment_buffer 1
		.amdhsa_user_sgpr_dispatch_ptr 0
		.amdhsa_user_sgpr_queue_ptr 0
		.amdhsa_user_sgpr_kernarg_segment_ptr 1
		.amdhsa_user_sgpr_dispatch_id 0
		.amdhsa_user_sgpr_flat_scratch_init 0
		.amdhsa_user_sgpr_private_segment_size 0
		.amdhsa_uses_dynamic_stack 0
		.amdhsa_system_sgpr_private_segment_wavefront_offset 0
		.amdhsa_system_sgpr_workgroup_id_x 1
		.amdhsa_system_sgpr_workgroup_id_y 1
		.amdhsa_system_sgpr_workgroup_id_z 1
		.amdhsa_system_sgpr_workgroup_info 0
		.amdhsa_system_vgpr_workitem_id 1
		.amdhsa_next_free_vgpr 42
		.amdhsa_next_free_sgpr 28
		.amdhsa_reserve_vcc 1
		.amdhsa_reserve_flat_scratch 0
		.amdhsa_float_round_mode_32 0
		.amdhsa_float_round_mode_16_64 0
		.amdhsa_float_denorm_mode_32 3
		.amdhsa_float_denorm_mode_16_64 3
		.amdhsa_dx10_clamp 1
		.amdhsa_ieee_mode 1
		.amdhsa_fp16_overflow 0
		.amdhsa_exception_fp_ieee_invalid_op 0
		.amdhsa_exception_fp_denorm_src 0
		.amdhsa_exception_fp_ieee_div_zero 0
		.amdhsa_exception_fp_ieee_overflow 0
		.amdhsa_exception_fp_ieee_underflow 0
		.amdhsa_exception_fp_ieee_inexact 0
		.amdhsa_exception_int_div_zero 0
	.end_amdhsa_kernel
	.section	.text._ZL13mul_mat_vec_qIL9ggml_type3ELi8ELb0ELb0EEvPKvS2_PKi31ggml_cuda_mm_fusion_args_devicePfj15HIP_vector_typeIjLj3EEjjjS8_jjjS8_jjjj,"axG",@progbits,_ZL13mul_mat_vec_qIL9ggml_type3ELi8ELb0ELb0EEvPKvS2_PKi31ggml_cuda_mm_fusion_args_devicePfj15HIP_vector_typeIjLj3EEjjjS8_jjjS8_jjjj,comdat
.Lfunc_end35:
	.size	_ZL13mul_mat_vec_qIL9ggml_type3ELi8ELb0ELb0EEvPKvS2_PKi31ggml_cuda_mm_fusion_args_devicePfj15HIP_vector_typeIjLj3EEjjjS8_jjjS8_jjjj, .Lfunc_end35-_ZL13mul_mat_vec_qIL9ggml_type3ELi8ELb0ELb0EEvPKvS2_PKi31ggml_cuda_mm_fusion_args_devicePfj15HIP_vector_typeIjLj3EEjjjS8_jjjS8_jjjj
                                        ; -- End function
	.set _ZL13mul_mat_vec_qIL9ggml_type3ELi8ELb0ELb0EEvPKvS2_PKi31ggml_cuda_mm_fusion_args_devicePfj15HIP_vector_typeIjLj3EEjjjS8_jjjS8_jjjj.num_vgpr, 42
	.set _ZL13mul_mat_vec_qIL9ggml_type3ELi8ELb0ELb0EEvPKvS2_PKi31ggml_cuda_mm_fusion_args_devicePfj15HIP_vector_typeIjLj3EEjjjS8_jjjS8_jjjj.num_agpr, 0
	.set _ZL13mul_mat_vec_qIL9ggml_type3ELi8ELb0ELb0EEvPKvS2_PKi31ggml_cuda_mm_fusion_args_devicePfj15HIP_vector_typeIjLj3EEjjjS8_jjjS8_jjjj.numbered_sgpr, 28
	.set _ZL13mul_mat_vec_qIL9ggml_type3ELi8ELb0ELb0EEvPKvS2_PKi31ggml_cuda_mm_fusion_args_devicePfj15HIP_vector_typeIjLj3EEjjjS8_jjjS8_jjjj.num_named_barrier, 0
	.set _ZL13mul_mat_vec_qIL9ggml_type3ELi8ELb0ELb0EEvPKvS2_PKi31ggml_cuda_mm_fusion_args_devicePfj15HIP_vector_typeIjLj3EEjjjS8_jjjS8_jjjj.private_seg_size, 0
	.set _ZL13mul_mat_vec_qIL9ggml_type3ELi8ELb0ELb0EEvPKvS2_PKi31ggml_cuda_mm_fusion_args_devicePfj15HIP_vector_typeIjLj3EEjjjS8_jjjS8_jjjj.uses_vcc, 1
	.set _ZL13mul_mat_vec_qIL9ggml_type3ELi8ELb0ELb0EEvPKvS2_PKi31ggml_cuda_mm_fusion_args_devicePfj15HIP_vector_typeIjLj3EEjjjS8_jjjS8_jjjj.uses_flat_scratch, 0
	.set _ZL13mul_mat_vec_qIL9ggml_type3ELi8ELb0ELb0EEvPKvS2_PKi31ggml_cuda_mm_fusion_args_devicePfj15HIP_vector_typeIjLj3EEjjjS8_jjjS8_jjjj.has_dyn_sized_stack, 0
	.set _ZL13mul_mat_vec_qIL9ggml_type3ELi8ELb0ELb0EEvPKvS2_PKi31ggml_cuda_mm_fusion_args_devicePfj15HIP_vector_typeIjLj3EEjjjS8_jjjS8_jjjj.has_recursion, 0
	.set _ZL13mul_mat_vec_qIL9ggml_type3ELi8ELb0ELb0EEvPKvS2_PKi31ggml_cuda_mm_fusion_args_devicePfj15HIP_vector_typeIjLj3EEjjjS8_jjjS8_jjjj.has_indirect_call, 0
	.section	.AMDGPU.csdata,"",@progbits
; Kernel info:
; codeLenInByte = 5196
; TotalNumSgprs: 32
; NumVgprs: 42
; ScratchSize: 0
; MemoryBound: 0
; FloatMode: 240
; IeeeMode: 1
; LDSByteSize: 0 bytes/workgroup (compile time only)
; SGPRBlocks: 3
; VGPRBlocks: 10
; NumSGPRsForWavesPerEU: 32
; NumVGPRsForWavesPerEU: 42
; Occupancy: 5
; WaveLimiterHint : 0
; COMPUTE_PGM_RSRC2:SCRATCH_EN: 0
; COMPUTE_PGM_RSRC2:USER_SGPR: 6
; COMPUTE_PGM_RSRC2:TRAP_HANDLER: 0
; COMPUTE_PGM_RSRC2:TGID_X_EN: 1
; COMPUTE_PGM_RSRC2:TGID_Y_EN: 1
; COMPUTE_PGM_RSRC2:TGID_Z_EN: 1
; COMPUTE_PGM_RSRC2:TIDIG_COMP_CNT: 1
	.section	.text._ZL17mul_mat_vec_q_moeIL9ggml_type6ELi2EEvPKvS2_PKiPfj15HIP_vector_typeIjLj3EEjjjjjjjjj,"axG",@progbits,_ZL17mul_mat_vec_q_moeIL9ggml_type6ELi2EEvPKvS2_PKiPfj15HIP_vector_typeIjLj3EEjjjjjjjjj,comdat
	.globl	_ZL17mul_mat_vec_q_moeIL9ggml_type6ELi2EEvPKvS2_PKiPfj15HIP_vector_typeIjLj3EEjjjjjjjjj ; -- Begin function _ZL17mul_mat_vec_q_moeIL9ggml_type6ELi2EEvPKvS2_PKiPfj15HIP_vector_typeIjLj3EEjjjjjjjjj
	.p2align	8
	.type	_ZL17mul_mat_vec_q_moeIL9ggml_type6ELi2EEvPKvS2_PKiPfj15HIP_vector_typeIjLj3EEjjjjjjjjj,@function
_ZL17mul_mat_vec_q_moeIL9ggml_type6ELi2EEvPKvS2_PKiPfj15HIP_vector_typeIjLj3EEjjjjjjjjj: ; @_ZL17mul_mat_vec_q_moeIL9ggml_type6ELi2EEvPKvS2_PKiPfj15HIP_vector_typeIjLj3EEjjjjjjjjj
; %bb.0:
	s_load_dwordx8 s[8:15], s[4:5], 0x30
	s_waitcnt lgkmcnt(0)
	v_cmp_gt_u32_e32 vcc, s15, v1
	s_and_saveexec_b64 s[0:1], vcc
	s_cbranch_execz .LBB36_7
; %bb.1:
	s_load_dword s1, s[4:5], 0x20
	s_load_dword s0, s[4:5], 0x50
	s_load_dwordx8 s[16:23], s[4:5], 0x0
	v_lshrrev_b32_e32 v6, 1, v0
	s_lshl_b32 s6, s6, 1
	s_waitcnt lgkmcnt(0)
	s_lshr_b32 s15, s1, 5
	v_cmp_gt_u32_e32 vcc, s15, v6
	v_mov_b32_e32 v2, 0
	v_mov_b32_e32 v3, 0
	s_and_saveexec_b64 s[24:25], vcc
	s_cbranch_execz .LBB36_5
; %bb.2:
	v_mul_lo_u32 v2, s0, v1
	v_mov_b32_e32 v3, 0
	v_mov_b32_e32 v7, s21
	s_load_dwordx4 s[0:3], s[4:5], 0x24
	v_add_u32_e32 v2, s7, v2
	v_lshlrev_b64 v[4:5], 2, v[2:3]
	v_lshrrev_b32_e32 v11, 1, v0
	v_add_co_u32_e32 v4, vcc, s20, v4
	v_addc_co_u32_e32 v5, vcc, v7, v5, vcc
	global_load_dword v2, v[4:5], off
	v_mul_lo_u32 v4, s10, v1
	v_lshlrev_b32_e32 v5, 1, v0
	v_and_b32_e32 v5, 2, v5
	v_lshlrev_b32_e32 v10, 1, v5
	v_lshlrev_b32_e32 v8, 2, v5
	v_mad_u64_u32 v[4:5], s[20:21], v4, 36, 0
	s_waitcnt lgkmcnt(0)
	s_mul_hi_u32 s0, s0, s7
	s_add_i32 s0, s7, s0
	s_lshr_b32 s0, s0, s1
	s_mul_i32 s2, s0, s2
	v_mad_u64_u32 v[4:5], s[0:1], v11, 36, v[4:5]
	s_sub_i32 s0, s7, s2
	s_mul_i32 s0, s0, s13
	s_add_i32 s10, s6, 1
	s_mul_hi_u32 s1, s0, 36
	s_mul_i32 s0, s0, 36
	s_add_u32 s0, s18, s0
	s_addc_u32 s1, s19, s1
	s_mul_i32 s3, s6, s9
	v_and_b32_e32 v7, 1, v0
	s_mul_i32 s9, s9, s10
	v_mov_b32_e32 v11, s1
	v_add_co_u32_e32 v4, vcc, s0, v4
	s_mov_b64 s[4:5], 0
	v_lshlrev_b32_e32 v7, 3, v7
	v_or_b32_e32 v9, 4, v8
	v_lshlrev_b32_e32 v10, 1, v10
	v_addc_co_u32_e32 v5, vcc, v11, v5, vcc
	s_waitcnt vmcnt(0)
	v_mul_lo_u32 v2, v2, s12
	v_add_u32_e32 v11, s3, v2
	v_add_u32_e32 v12, s9, v2
	v_mov_b32_e32 v2, v3
.LBB36_3:                               ; =>This Inner Loop Header: Depth=1
	v_add_u32_e32 v13, v11, v6
	v_mad_i64_i32 v[15:16], s[0:1], v13, 22, s[16:17]
	v_add_u32_e32 v14, v12, v6
	v_mad_i64_i32 v[17:18], s[0:1], v14, 22, s[16:17]
	global_load_dword v27, v[15:16], off offset:2
	v_add_co_u32_e32 v19, vcc, v15, v10
	v_addc_co_u32_e32 v20, vcc, 0, v16, vcc
	v_add_co_u32_e32 v21, vcc, v17, v10
	v_addc_co_u32_e32 v22, vcc, 0, v18, vcc
	global_load_dwordx2 v[23:24], v[19:20], off offset:6
	global_load_dword v28, v[17:18], off offset:2
	global_load_dwordx2 v[25:26], v[21:22], off offset:6
	global_load_ushort v13, v[17:18], off
	global_load_ushort v14, v[15:16], off
	v_add_u32_e32 v6, 32, v6
	s_waitcnt vmcnt(5)
	v_ashrrev_i32_e32 v17, v8, v27
	v_ashrrev_i32_e32 v21, v9, v27
	v_lshlrev_b32_e32 v15, 4, v17
	v_lshlrev_b32_e32 v16, 11, v17
	v_lshrrev_b32_e32 v19, 12, v17
	v_lshrrev_b32_e32 v20, 5, v17
	v_lshlrev_b32_e32 v22, 2, v17
	v_lshlrev_b32_e32 v27, 4, v21
	;; [unrolled: 1-line block ×4, first 2 shown]
	s_waitcnt vmcnt(4)
	v_and_b32_e32 v18, 0xf0f0f0f, v23
	s_waitcnt vmcnt(3)
	v_ashrrev_i32_e32 v31, v8, v28
	v_and_b32_e32 v15, 16, v15
	v_and_b32_e32 v16, 0x1000, v16
	;; [unrolled: 1-line block ×8, first 2 shown]
	v_or3_b32 v15, v15, v18, v16
	v_lshrrev_b32_e32 v18, 12, v21
	v_or3_b32 v19, v20, v19, v22
	v_lshrrev_b32_e32 v20, 5, v21
	v_lshlrev_b32_e32 v22, 2, v21
	v_or3_b32 v27, v29, v27, v30
	v_lshlrev_b32_e32 v29, 4, v31
	v_lshlrev_b32_e32 v30, 11, v31
	s_waitcnt vmcnt(2)
	v_and_b32_e32 v32, 0xf0f0f0f, v25
	v_and_b32_e32 v18, 16, v18
	v_and_b32_e32 v20, 0x1000, v20
	v_and_b32_e32 v22, 0x100000, v22
	v_and_b32_e32 v29, 16, v29
	v_and_b32_e32 v30, 0x1000, v30
	v_or3_b32 v22, v20, v18, v22
	v_lshrrev_b32_e32 v18, 12, v31
	v_lshrrev_b32_e32 v20, 5, v31
	v_or3_b32 v29, v29, v32, v30
	v_lshlrev_b32_e32 v30, 2, v31
	v_ashrrev_i32_e32 v28, v9, v28
	v_and_b32_e32 v18, 16, v18
	v_and_b32_e32 v20, 0x1000, v20
	;; [unrolled: 1-line block ×3, first 2 shown]
	v_lshlrev_b32_e32 v32, 4, v28
	v_or3_b32 v30, v20, v18, v30
	v_lshlrev_b32_e32 v18, 11, v28
	v_lshlrev_b32_e32 v20, 18, v28
	v_and_b32_e32 v32, 16, v32
	v_and_b32_e32 v18, 0x1000, v18
	;; [unrolled: 1-line block ×3, first 2 shown]
	v_lshlrev_b32_e32 v16, 18, v17
	v_or3_b32 v32, v18, v32, v20
	v_lshlrev_b32_e32 v18, 25, v17
	v_and_b32_e32 v16, 0x100000, v16
	v_and_b32_e32 v18, 0x10000000, v18
	v_or3_b32 v33, v15, v16, v18
	v_lshlrev_b32_e32 v17, 9, v17
	v_lshrrev_b32_e32 v18, 4, v23
	v_and_b32_e32 v18, 0xf0f0f0f, v18
	v_and_b32_e32 v17, 0x10000000, v17
	v_or3_b32 v23, v19, v17, v18
	v_lshlrev_b32_e32 v17, 25, v21
	v_and_b32_e32 v18, 0xf0f0f0f, v24
	v_and_b32_e32 v17, 0x10000000, v17
	v_add_co_u32_e32 v15, vcc, v4, v7
	v_lshrrev_b32_e32 v19, 12, v28
	v_or3_b32 v27, v27, v17, v18
	v_lshrrev_b32_e32 v17, 5, v28
	v_lshlrev_b32_e32 v18, 2, v28
	v_addc_co_u32_e32 v16, vcc, 0, v5, vcc
	v_and_b32_e32 v19, 16, v19
	v_and_b32_e32 v17, 0x1000, v17
	;; [unrolled: 1-line block ×3, first 2 shown]
	v_lshrrev_b32_e32 v24, 4, v24
	v_or3_b32 v34, v17, v19, v18
	global_load_dwordx2 v[17:18], v[15:16], off offset:4
	global_load_dwordx2 v[19:20], v[15:16], off offset:20
	v_lshlrev_b32_e32 v15, 9, v21
	v_and_b32_e32 v16, 0xf0f0f0f, v24
	v_and_b32_e32 v15, 0x10000000, v15
	v_or3_b32 v15, v22, v15, v16
	v_lshlrev_b32_e32 v16, 18, v31
	v_lshlrev_b32_e32 v21, 25, v31
	v_and_b32_e32 v16, 0x100000, v16
	v_and_b32_e32 v21, 0x10000000, v21
	v_or3_b32 v16, v29, v16, v21
	global_load_dword v21, v[4:5], off
	v_lshrrev_b32_e32 v22, 4, v25
	v_lshlrev_b32_e32 v24, 9, v31
	v_lshlrev_b32_e32 v29, 25, v28
	v_and_b32_e32 v22, 0xf0f0f0f, v22
	v_and_b32_e32 v24, 0x10000000, v24
	;; [unrolled: 1-line block ×4, first 2 shown]
	v_or3_b32 v22, v30, v24, v22
	v_lshrrev_b32_e32 v26, 4, v26
	v_lshlrev_b32_e32 v28, 9, v28
	v_or3_b32 v25, v32, v29, v25
	v_and_b32_e32 v26, 0xf0f0f0f, v26
	v_and_b32_e32 v28, 0x10000000, v28
	v_or3_b32 v26, v34, v28, v26
	v_add_co_u32_e32 v4, vcc, 0x480, v4
	v_addc_co_u32_e32 v5, vcc, 0, v5, vcc
	v_cmp_le_u32_e32 vcc, s15, v6
	s_or_b64 s[4:5], vcc, s[4:5]
	s_waitcnt vmcnt(2)
	v_dot4_i32_i8 v29, v33, v17, 0
	v_dot4_i32_i8 v16, v16, v17, 0
	s_waitcnt vmcnt(1)
	v_dot4_i32_i8 v23, v23, v19, v29
	v_dot4_i32_i8 v16, v22, v19, v16
	;; [unrolled: 1-line block ×6, first 2 shown]
	v_cvt_f32_i32_e32 v15, v15
	v_cvt_f32_i32_e32 v16, v16
	s_waitcnt vmcnt(0)
	v_cvt_f32_f16_sdwa v24, v21 dst_sel:DWORD dst_unused:UNUSED_PAD src0_sel:WORD_1
	v_mul_f32_e32 v17, 0xc1000000, v24
	v_fma_mix_f32 v15, v21, v15, v17 op_sel_hi:[1,0,0]
	v_fma_mix_f32 v16, v21, v16, v17 op_sel_hi:[1,0,0]
	v_fma_mix_f32 v3, v15, v14, v3 op_sel_hi:[0,1,0]
	v_fma_mix_f32 v2, v16, v13, v2 op_sel_hi:[0,1,0]
	s_andn2_b64 exec, exec, s[4:5]
	s_cbranch_execnz .LBB36_3
; %bb.4:
	s_or_b64 exec, exec, s[4:5]
.LBB36_5:
	s_or_b64 exec, exec, s[24:25]
	v_mbcnt_lo_u32_b32 v4, -1, 0
	v_mbcnt_hi_u32_b32 v4, -1, v4
	v_and_b32_e32 v5, 64, v4
	v_add_u32_e32 v5, 64, v5
	v_xor_b32_e32 v6, 32, v4
	v_cmp_lt_i32_e32 vcc, v6, v5
	v_cndmask_b32_e32 v6, v4, v6, vcc
	v_lshlrev_b32_e32 v6, 2, v6
	ds_bpermute_b32 v9, v6, v3
	ds_bpermute_b32 v6, v6, v2
	v_xor_b32_e32 v7, 16, v4
	v_cmp_lt_i32_e32 vcc, v7, v5
	v_cndmask_b32_e32 v7, v4, v7, vcc
	v_lshlrev_b32_e32 v7, 2, v7
	s_waitcnt lgkmcnt(1)
	v_add_f32_e32 v3, v3, v9
	s_waitcnt lgkmcnt(0)
	v_add_f32_e32 v2, v2, v6
	ds_bpermute_b32 v9, v7, v3
	ds_bpermute_b32 v6, v7, v2
	v_xor_b32_e32 v8, 8, v4
	v_cmp_lt_i32_e32 vcc, v8, v5
	v_cndmask_b32_e32 v8, v4, v8, vcc
	v_lshlrev_b32_e32 v8, 2, v8
	s_waitcnt lgkmcnt(1)
	v_add_f32_e32 v3, v3, v9
	s_waitcnt lgkmcnt(0)
	v_add_f32_e32 v2, v2, v6
	;; [unrolled: 10-line block ×5, first 2 shown]
	ds_bpermute_b32 v3, v5, v2
	ds_bpermute_b32 v5, v5, v4
	v_add_u32_e32 v6, s6, v0
	v_cmp_gt_u32_e32 vcc, 2, v0
	v_cmp_gt_u32_e64 s[0:1], s8, v6
	s_and_b64 s[0:1], vcc, s[0:1]
	s_and_b64 exec, exec, s[0:1]
	s_cbranch_execz .LBB36_7
; %bb.6:
	v_mul_lo_u32 v1, s11, v1
	v_cmp_eq_u32_e32 vcc, 1, v0
	s_mul_i32 s0, s14, s7
	v_or_b32_e32 v0, s6, v0
	v_add3_u32 v0, v0, v1, s0
	v_mov_b32_e32 v1, 0
	v_lshlrev_b64 v[0:1], 2, v[0:1]
	s_waitcnt lgkmcnt(1)
	v_add_f32_e32 v2, v2, v3
	s_waitcnt lgkmcnt(0)
	v_add_f32_e32 v3, v4, v5
	v_cndmask_b32_e32 v2, v2, v3, vcc
	v_mov_b32_e32 v3, s23
	v_add_co_u32_e32 v0, vcc, s22, v0
	v_addc_co_u32_e32 v1, vcc, v3, v1, vcc
	global_store_dword v[0:1], v2, off
.LBB36_7:
	s_endpgm
	.section	.rodata,"a",@progbits
	.p2align	6, 0x0
	.amdhsa_kernel _ZL17mul_mat_vec_q_moeIL9ggml_type6ELi2EEvPKvS2_PKiPfj15HIP_vector_typeIjLj3EEjjjjjjjjj
		.amdhsa_group_segment_fixed_size 0
		.amdhsa_private_segment_fixed_size 0
		.amdhsa_kernarg_size 84
		.amdhsa_user_sgpr_count 6
		.amdhsa_user_sgpr_private_segment_buffer 1
		.amdhsa_user_sgpr_dispatch_ptr 0
		.amdhsa_user_sgpr_queue_ptr 0
		.amdhsa_user_sgpr_kernarg_segment_ptr 1
		.amdhsa_user_sgpr_dispatch_id 0
		.amdhsa_user_sgpr_flat_scratch_init 0
		.amdhsa_user_sgpr_private_segment_size 0
		.amdhsa_uses_dynamic_stack 0
		.amdhsa_system_sgpr_private_segment_wavefront_offset 0
		.amdhsa_system_sgpr_workgroup_id_x 1
		.amdhsa_system_sgpr_workgroup_id_y 1
		.amdhsa_system_sgpr_workgroup_id_z 0
		.amdhsa_system_sgpr_workgroup_info 0
		.amdhsa_system_vgpr_workitem_id 1
		.amdhsa_next_free_vgpr 35
		.amdhsa_next_free_sgpr 26
		.amdhsa_reserve_vcc 1
		.amdhsa_reserve_flat_scratch 0
		.amdhsa_float_round_mode_32 0
		.amdhsa_float_round_mode_16_64 0
		.amdhsa_float_denorm_mode_32 3
		.amdhsa_float_denorm_mode_16_64 3
		.amdhsa_dx10_clamp 1
		.amdhsa_ieee_mode 1
		.amdhsa_fp16_overflow 0
		.amdhsa_exception_fp_ieee_invalid_op 0
		.amdhsa_exception_fp_denorm_src 0
		.amdhsa_exception_fp_ieee_div_zero 0
		.amdhsa_exception_fp_ieee_overflow 0
		.amdhsa_exception_fp_ieee_underflow 0
		.amdhsa_exception_fp_ieee_inexact 0
		.amdhsa_exception_int_div_zero 0
	.end_amdhsa_kernel
	.section	.text._ZL17mul_mat_vec_q_moeIL9ggml_type6ELi2EEvPKvS2_PKiPfj15HIP_vector_typeIjLj3EEjjjjjjjjj,"axG",@progbits,_ZL17mul_mat_vec_q_moeIL9ggml_type6ELi2EEvPKvS2_PKiPfj15HIP_vector_typeIjLj3EEjjjjjjjjj,comdat
.Lfunc_end36:
	.size	_ZL17mul_mat_vec_q_moeIL9ggml_type6ELi2EEvPKvS2_PKiPfj15HIP_vector_typeIjLj3EEjjjjjjjjj, .Lfunc_end36-_ZL17mul_mat_vec_q_moeIL9ggml_type6ELi2EEvPKvS2_PKiPfj15HIP_vector_typeIjLj3EEjjjjjjjjj
                                        ; -- End function
	.set _ZL17mul_mat_vec_q_moeIL9ggml_type6ELi2EEvPKvS2_PKiPfj15HIP_vector_typeIjLj3EEjjjjjjjjj.num_vgpr, 35
	.set _ZL17mul_mat_vec_q_moeIL9ggml_type6ELi2EEvPKvS2_PKiPfj15HIP_vector_typeIjLj3EEjjjjjjjjj.num_agpr, 0
	.set _ZL17mul_mat_vec_q_moeIL9ggml_type6ELi2EEvPKvS2_PKiPfj15HIP_vector_typeIjLj3EEjjjjjjjjj.numbered_sgpr, 26
	.set _ZL17mul_mat_vec_q_moeIL9ggml_type6ELi2EEvPKvS2_PKiPfj15HIP_vector_typeIjLj3EEjjjjjjjjj.num_named_barrier, 0
	.set _ZL17mul_mat_vec_q_moeIL9ggml_type6ELi2EEvPKvS2_PKiPfj15HIP_vector_typeIjLj3EEjjjjjjjjj.private_seg_size, 0
	.set _ZL17mul_mat_vec_q_moeIL9ggml_type6ELi2EEvPKvS2_PKiPfj15HIP_vector_typeIjLj3EEjjjjjjjjj.uses_vcc, 1
	.set _ZL17mul_mat_vec_q_moeIL9ggml_type6ELi2EEvPKvS2_PKiPfj15HIP_vector_typeIjLj3EEjjjjjjjjj.uses_flat_scratch, 0
	.set _ZL17mul_mat_vec_q_moeIL9ggml_type6ELi2EEvPKvS2_PKiPfj15HIP_vector_typeIjLj3EEjjjjjjjjj.has_dyn_sized_stack, 0
	.set _ZL17mul_mat_vec_q_moeIL9ggml_type6ELi2EEvPKvS2_PKiPfj15HIP_vector_typeIjLj3EEjjjjjjjjj.has_recursion, 0
	.set _ZL17mul_mat_vec_q_moeIL9ggml_type6ELi2EEvPKvS2_PKiPfj15HIP_vector_typeIjLj3EEjjjjjjjjj.has_indirect_call, 0
	.section	.AMDGPU.csdata,"",@progbits
; Kernel info:
; codeLenInByte = 1584
; TotalNumSgprs: 30
; NumVgprs: 35
; ScratchSize: 0
; MemoryBound: 0
; FloatMode: 240
; IeeeMode: 1
; LDSByteSize: 0 bytes/workgroup (compile time only)
; SGPRBlocks: 3
; VGPRBlocks: 8
; NumSGPRsForWavesPerEU: 30
; NumVGPRsForWavesPerEU: 35
; Occupancy: 7
; WaveLimiterHint : 1
; COMPUTE_PGM_RSRC2:SCRATCH_EN: 0
; COMPUTE_PGM_RSRC2:USER_SGPR: 6
; COMPUTE_PGM_RSRC2:TRAP_HANDLER: 0
; COMPUTE_PGM_RSRC2:TGID_X_EN: 1
; COMPUTE_PGM_RSRC2:TGID_Y_EN: 1
; COMPUTE_PGM_RSRC2:TGID_Z_EN: 0
; COMPUTE_PGM_RSRC2:TIDIG_COMP_CNT: 1
	.section	.text._ZL13mul_mat_vec_qIL9ggml_type6ELi1ELb1ELb1EEvPKvS2_PKi31ggml_cuda_mm_fusion_args_devicePfj15HIP_vector_typeIjLj3EEjjjS8_jjjS8_jjjj,"axG",@progbits,_ZL13mul_mat_vec_qIL9ggml_type6ELi1ELb1ELb1EEvPKvS2_PKi31ggml_cuda_mm_fusion_args_devicePfj15HIP_vector_typeIjLj3EEjjjS8_jjjS8_jjjj,comdat
	.globl	_ZL13mul_mat_vec_qIL9ggml_type6ELi1ELb1ELb1EEvPKvS2_PKi31ggml_cuda_mm_fusion_args_devicePfj15HIP_vector_typeIjLj3EEjjjS8_jjjS8_jjjj ; -- Begin function _ZL13mul_mat_vec_qIL9ggml_type6ELi1ELb1ELb1EEvPKvS2_PKi31ggml_cuda_mm_fusion_args_devicePfj15HIP_vector_typeIjLj3EEjjjS8_jjjS8_jjjj
	.p2align	8
	.type	_ZL13mul_mat_vec_qIL9ggml_type6ELi1ELb1ELb1EEvPKvS2_PKi31ggml_cuda_mm_fusion_args_devicePfj15HIP_vector_typeIjLj3EEjjjS8_jjjS8_jjjj,@function
_ZL13mul_mat_vec_qIL9ggml_type6ELi1ELb1ELb1EEvPKvS2_PKi31ggml_cuda_mm_fusion_args_devicePfj15HIP_vector_typeIjLj3EEjjjS8_jjjS8_jjjj: ; @_ZL13mul_mat_vec_qIL9ggml_type6ELi1ELb1ELb1EEvPKvS2_PKi31ggml_cuda_mm_fusion_args_devicePfj15HIP_vector_typeIjLj3EEjjjS8_jjjS8_jjjj
; %bb.0:
	s_load_dwordx8 s[12:19], s[4:5], 0x0
	s_load_dwordx4 s[28:31], s[4:5], 0x20
	s_load_dwordx4 s[36:39], s[4:5], 0x40
	;; [unrolled: 1-line block ×3, first 2 shown]
	s_mov_b32 s34, s7
	s_waitcnt lgkmcnt(0)
	s_cmp_lg_u64 s[16:17], 0
	s_cselect_b64 s[0:1], -1, 0
	s_cmp_eq_u64 s[16:17], 0
	s_mov_b64 s[2:3], 0
	s_cbranch_scc1 .LBB37_5
; %bb.1:
	s_mov_b32 s35, 0
	s_lshl_b64 s[10:11], s[34:35], 2
	s_add_u32 s10, s16, s10
	s_addc_u32 s11, s17, s11
	s_load_dword s35, s[10:11], 0x0
	s_load_dword s33, s[4:5], 0x50
	;; [unrolled: 1-line block ×3, first 2 shown]
	s_andn2_b64 vcc, exec, s[2:3]
	s_cbranch_vccnz .LBB37_3
.LBB37_2:
	s_load_dwordx2 s[2:3], s[4:5], 0x5c
	s_waitcnt lgkmcnt(0)
	s_mul_hi_u32 s2, s2, s34
	s_add_i32 s2, s34, s2
	s_lshr_b32 s35, s2, s3
.LBB37_3:
	s_andn2_b64 vcc, exec, s[0:1]
	s_cbranch_vccnz .LBB37_6
; %bb.4:
	s_mul_hi_u32 s0, s37, s34
	s_add_i32 s0, s34, s0
	s_lshr_b32 s0, s0, s38
	s_mul_i32 s0, s0, s39
	s_sub_i32 s37, s34, s0
	s_waitcnt lgkmcnt(0)
	s_mov_b32 s43, s35
	s_branch .LBB37_7
.LBB37_5:
                                        ; implicit-def: $sgpr35
	s_load_dword s33, s[4:5], 0x50
	s_load_dword s42, s[4:5], 0x78
	s_branch .LBB37_2
.LBB37_6:
	s_mov_b32 s43, s34
	s_mov_b32 s37, s34
.LBB37_7:
	s_load_dword s9, s[4:5], 0x58
	s_load_dwordx4 s[24:27], s[4:5], 0x80
	s_lshl_b32 s16, s6, 1
	s_cmp_eq_u64 s[18:19], 0
	s_cselect_b64 s[0:1], -1, 0
	v_mov_b32_e32 v16, 0
	s_and_b64 vcc, exec, s[0:1]
	v_cmp_gt_u32_e64 s[2:3], 2, v0
	v_cmp_eq_u32_e64 s[6:7], 0, v1
	v_add_u32_e32 v15, s16, v0
	v_mov_b32_e32 v17, 0
	s_cbranch_vccnz .LBB37_11
; %bb.8:
	s_waitcnt lgkmcnt(0)
	v_cmp_gt_u32_e32 vcc, s9, v15
	s_and_b64 s[2:3], s[2:3], vcc
	s_mov_b32 s11, 0
	s_and_b64 s[6:7], s[2:3], s[6:7]
	v_mov_b32_e32 v17, 0
	s_and_saveexec_b64 s[2:3], s[6:7]
	s_cbranch_execz .LBB37_10
; %bb.9:
	s_mul_i32 s10, s26, s8
	s_lshl_b64 s[6:7], s[10:11], 2
	s_add_u32 s17, s18, s6
	s_mul_i32 s10, s43, s22
	s_addc_u32 s18, s19, s7
	s_lshl_b64 s[6:7], s[10:11], 2
	s_add_u32 s10, s17, s6
	s_addc_u32 s11, s18, s7
	s_ashr_i32 s17, s16, 31
	s_lshl_b64 s[6:7], s[16:17], 2
	s_add_u32 s6, s10, s6
	s_addc_u32 s7, s11, s7
	v_lshlrev_b32_e32 v2, 2, v0
	global_load_dword v17, v2, s[6:7]
.LBB37_10:
	s_or_b64 exec, exec, s[2:3]
.LBB37_11:
	s_cmp_lg_u64 s[28:29], 0
	s_cselect_b64 s[18:19], -1, 0
	s_cmp_eq_u64 s[28:29], 0
	s_cselect_b64 s[38:39], -1, 0
	s_cmp_lg_u64 s[30:31], 0
	s_cselect_b64 s[2:3], -1, 0
	s_and_b64 s[6:7], s[2:3], s[18:19]
	s_andn2_b64 vcc, exec, s[6:7]
	s_waitcnt lgkmcnt(0)
	v_cmp_gt_u32_e64 s[6:7], s9, v15
	s_cbranch_vccnz .LBB37_15
; %bb.12:
	v_cmp_gt_u32_e32 vcc, 2, v0
	v_cmp_eq_u32_e64 s[10:11], 0, v1
	s_and_b64 s[6:7], vcc, s[6:7]
	s_mov_b32 s41, 0
	s_and_b64 s[10:11], s[6:7], s[10:11]
	v_mov_b32_e32 v16, 0
	s_and_saveexec_b64 s[6:7], s[10:11]
	s_cbranch_execz .LBB37_14
; %bb.13:
	s_mul_i32 s40, s26, s8
	s_lshl_b64 s[10:11], s[40:41], 2
	s_add_u32 s17, s30, s10
	s_mul_i32 s40, s43, s22
	s_addc_u32 s27, s31, s11
	s_lshl_b64 s[10:11], s[40:41], 2
	s_add_u32 s30, s17, s10
	s_addc_u32 s27, s27, s11
	s_ashr_i32 s17, s16, 31
	s_lshl_b64 s[10:11], s[16:17], 2
	s_add_u32 s10, s30, s10
	s_addc_u32 s11, s27, s11
	v_lshlrev_b32_e32 v2, 2, v0
	global_load_dword v16, v2, s[10:11]
.LBB37_14:
	s_or_b64 exec, exec, s[6:7]
.LBB37_15:
	v_lshlrev_b32_e32 v6, 6, v1
	v_add_u16_e32 v2, v6, v0
	v_mov_b32_e32 v4, 0
	s_lshr_b32 s17, s36, 5
	v_lshrrev_b16_e32 v20, 1, v2
	v_mov_b32_e32 v5, v4
	v_mov_b32_e32 v2, v4
	v_cmp_gt_u32_e32 vcc, s17, v20
	v_cndmask_b32_e64 v18, 0, 1, s[18:19]
	v_mov_b32_e32 v19, v4
	v_mov_b32_e32 v3, v5
	s_and_saveexec_b64 s[30:31], vcc
	s_cbranch_execz .LBB37_23
; %bb.16:
	s_mul_hi_u32 s10, s23, s8
	s_add_i32 s10, s8, s10
	s_lshr_b32 s10, s10, s42
	s_mul_i32 s11, s35, s20
	s_mul_i32 s10, s10, s24
	;; [unrolled: 1-line block ×3, first 2 shown]
	s_add_i32 s21, s11, s10
	s_mul_i32 s10, s16, s33
	s_add_i32 s20, s21, s10
	s_add_i32 s10, s16, 1
	s_mul_i32 s6, s25, s8
	s_mul_i32 s33, s33, s10
	s_add_i32 s21, s21, s33
	s_mul_hi_u32 s11, s6, 36
	s_mul_i32 s6, s6, 36
	s_add_u32 s6, s14, s6
	s_mul_hi_u32 s10, s7, 36
	s_mul_i32 s7, s7, 36
	s_addc_u32 s11, s15, s11
	v_add_u32_e32 v3, v6, v0
	s_add_u32 s6, s6, s7
	v_lshrrev_b32_e32 v3, 1, v3
	s_addc_u32 s7, s11, s10
	v_lshlrev_b32_e32 v2, 1, v0
	v_mad_u64_u32 v[5:6], s[6:7], v3, 36, s[6:7]
	v_and_b32_e32 v4, 2, v2
	v_lshlrev_b32_e32 v7, 1, v4
	v_mov_b32_e32 v2, 0
	v_lshlrev_b32_e32 v21, 2, v4
	v_and_b32_e32 v4, 1, v0
	v_or_b32_e32 v22, 4, v21
	v_lshlrev_b32_e32 v23, 3, v4
	v_mov_b32_e32 v3, v2
	s_mov_b64 s[14:15], 0
	v_lshlrev_b32_e32 v24, 1, v7
	v_cmp_ne_u32_e64 s[6:7], 1, v18
	v_mov_b32_e32 v19, v2
	v_mov_b32_e32 v4, v2
	s_branch .LBB37_18
.LBB37_17:                              ;   in Loop: Header=BB37_18 Depth=1
	s_waitcnt vmcnt(5)
	v_ashrrev_i32_e32 v31, v21, v28
	v_lshlrev_b32_e32 v33, 4, v31
	v_lshlrev_b32_e32 v34, 11, v31
	s_waitcnt vmcnt(4)
	v_and_b32_e32 v32, 0xf0f0f0f, v11
	v_and_b32_e32 v33, 16, v33
	;; [unrolled: 1-line block ×3, first 2 shown]
	v_or3_b32 v32, v33, v32, v34
	v_lshlrev_b32_e32 v33, 18, v31
	v_lshlrev_b32_e32 v34, 25, v31
	v_and_b32_e32 v33, 0x100000, v33
	v_and_b32_e32 v34, 0x10000000, v34
	v_or3_b32 v32, v32, v33, v34
	v_lshrrev_b32_e32 v33, 12, v31
	v_lshrrev_b32_e32 v34, 5, v31
	v_lshlrev_b32_e32 v35, 2, v31
	v_lshrrev_b32_e32 v11, 4, v11
	v_and_b32_e32 v33, 16, v33
	v_and_b32_e32 v34, 0x1000, v34
	;; [unrolled: 1-line block ×3, first 2 shown]
	v_lshlrev_b32_e32 v31, 9, v31
	v_and_b32_e32 v11, 0xf0f0f0f, v11
	v_and_b32_e32 v31, 0x10000000, v31
	v_or3_b32 v33, v34, v33, v35
	v_ashrrev_i32_e32 v28, v22, v28
	v_dot4_i32_i8 v32, v32, v9, 0
	v_or3_b32 v11, v33, v31, v11
	v_dot4_i32_i8 v11, v11, v7, v32
	v_lshlrev_b32_e32 v32, 4, v28
	v_lshlrev_b32_e32 v33, 11, v28
	;; [unrolled: 1-line block ×3, first 2 shown]
	v_and_b32_e32 v32, 16, v32
	v_and_b32_e32 v33, 0x1000, v33
	;; [unrolled: 1-line block ×3, first 2 shown]
	v_lshlrev_b32_e32 v35, 25, v28
	v_and_b32_e32 v31, 0xf0f0f0f, v12
	v_and_b32_e32 v35, 0x10000000, v35
	v_or3_b32 v32, v33, v32, v34
	v_or3_b32 v31, v32, v35, v31
	v_dot4_i32_i8 v11, v31, v10, v11
	v_lshrrev_b32_e32 v31, 12, v28
	v_lshrrev_b32_e32 v32, 5, v28
	v_lshlrev_b32_e32 v33, 2, v28
	v_lshrrev_b32_e32 v12, 4, v12
	v_and_b32_e32 v31, 16, v31
	v_and_b32_e32 v32, 0x1000, v32
	;; [unrolled: 1-line block ×3, first 2 shown]
	v_lshlrev_b32_e32 v28, 9, v28
	v_and_b32_e32 v12, 0xf0f0f0f, v12
	v_and_b32_e32 v28, 0x10000000, v28
	v_or3_b32 v31, v32, v31, v33
	v_or3_b32 v12, v31, v28, v12
	v_dot4_i32_i8 v11, v12, v8, v11
	s_waitcnt vmcnt(2)
	v_ashrrev_i32_e32 v12, v21, v30
	v_lshlrev_b32_e32 v31, 4, v12
	v_lshlrev_b32_e32 v32, 11, v12
	v_ashrrev_i32_e32 v28, v22, v30
	s_waitcnt vmcnt(1)
	v_and_b32_e32 v30, 0xf0f0f0f, v13
	v_and_b32_e32 v31, 16, v31
	;; [unrolled: 1-line block ×3, first 2 shown]
	v_or3_b32 v30, v31, v30, v32
	v_lshlrev_b32_e32 v31, 18, v12
	v_lshlrev_b32_e32 v32, 25, v12
	v_and_b32_e32 v31, 0x100000, v31
	v_and_b32_e32 v32, 0x10000000, v32
	v_or3_b32 v30, v30, v31, v32
	v_dot4_i32_i8 v9, v30, v9, 0
	v_lshrrev_b32_e32 v30, 12, v12
	v_lshrrev_b32_e32 v31, 5, v12
	v_lshlrev_b32_e32 v32, 2, v12
	v_lshrrev_b32_e32 v13, 4, v13
	v_and_b32_e32 v30, 16, v30
	v_and_b32_e32 v31, 0x1000, v31
	;; [unrolled: 1-line block ×3, first 2 shown]
	v_lshlrev_b32_e32 v12, 9, v12
	v_and_b32_e32 v13, 0xf0f0f0f, v13
	v_and_b32_e32 v12, 0x10000000, v12
	v_or3_b32 v30, v31, v30, v32
	v_or3_b32 v12, v30, v12, v13
	v_dot4_i32_i8 v7, v12, v7, v9
	v_lshlrev_b32_e32 v12, 4, v28
	v_lshlrev_b32_e32 v13, 11, v28
	;; [unrolled: 1-line block ×3, first 2 shown]
	v_and_b32_e32 v12, 16, v12
	v_and_b32_e32 v13, 0x1000, v13
	;; [unrolled: 1-line block ×3, first 2 shown]
	v_lshlrev_b32_e32 v31, 25, v28
	v_and_b32_e32 v9, 0xf0f0f0f, v14
	v_and_b32_e32 v31, 0x10000000, v31
	v_or3_b32 v12, v13, v12, v30
	v_or3_b32 v9, v12, v31, v9
	v_dot4_i32_i8 v7, v9, v10, v7
	v_lshrrev_b32_e32 v10, 12, v28
	v_lshrrev_b32_e32 v12, 5, v28
	v_lshlrev_b32_e32 v13, 2, v28
	v_lshrrev_b32_e32 v9, 4, v14
	v_and_b32_e32 v10, 16, v10
	v_and_b32_e32 v12, 0x1000, v12
	;; [unrolled: 1-line block ×3, first 2 shown]
	v_lshlrev_b32_e32 v14, 9, v28
	v_and_b32_e32 v9, 0xf0f0f0f, v9
	v_and_b32_e32 v14, 0x10000000, v14
	v_or3_b32 v10, v12, v10, v13
	v_or3_b32 v9, v10, v14, v9
	v_dot4_i32_i8 v7, v9, v8, v7
	v_cvt_f32_i32_e32 v11, v11
	v_cvt_f32_i32_e32 v7, v7
	v_add_u32_e32 v20, 64, v20
	v_add_co_u32_e32 v5, vcc, 0x900, v5
	v_fma_f32 v8, v26, v11, -v27
	v_fma_f32 v7, v26, v7, -v27
	v_cmp_le_u32_e64 s[10:11], s17, v20
	v_fma_mix_f32 v19, v8, v25, v19 op_sel_hi:[0,1,0]
	s_waitcnt vmcnt(0)
	v_fma_mix_f32 v4, v7, v29, v4 op_sel_hi:[0,1,0]
	s_or_b64 s[14:15], s[10:11], s[14:15]
	v_addc_co_u32_e32 v6, vcc, 0, v6, vcc
	s_andn2_b64 exec, exec, s[14:15]
	s_cbranch_execz .LBB37_22
.LBB37_18:                              ; =>This Inner Loop Header: Depth=1
	v_add_co_u32_e32 v11, vcc, v5, v23
	v_add_u32_e32 v13, s20, v20
	v_addc_co_u32_e32 v12, vcc, 0, v6, vcc
	v_mad_i64_i32 v[26:27], s[10:11], v13, 22, s[12:13]
	global_load_dwordx2 v[9:10], v[11:12], off offset:4
	global_load_dwordx2 v[7:8], v[11:12], off offset:20
	global_load_dword v14, v[5:6], off
	v_add_co_u32_e32 v29, vcc, v26, v24
	v_addc_co_u32_e32 v30, vcc, 0, v27, vcc
	global_load_dword v28, v[26:27], off offset:2
	global_load_dwordx2 v[11:12], v[29:30], off offset:6
	global_load_ushort v25, v[26:27], off
	s_and_b64 vcc, exec, s[6:7]
	s_waitcnt vmcnt(3)
	v_cvt_f32_f16_sdwa v27, v14 dst_sel:DWORD dst_unused:UNUSED_PAD src0_sel:WORD_1
	v_cvt_f32_f16_e32 v26, v14
	v_mul_f32_e32 v27, 0x41000000, v27
	s_cbranch_vccnz .LBB37_20
; %bb.19:                               ;   in Loop: Header=BB37_18 Depth=1
	v_mad_i64_i32 v[13:14], s[10:11], v13, 22, s[28:29]
	global_load_dword v31, v[13:14], off offset:2
	v_add_co_u32_e32 v29, vcc, v13, v24
	v_addc_co_u32_e32 v30, vcc, 0, v14, vcc
	global_load_dwordx2 v[29:30], v[29:30], off offset:6
	s_waitcnt vmcnt(1)
	v_ashrrev_i32_e32 v32, v21, v31
	global_load_ushort v13, v[13:14], off
	v_lshlrev_b32_e32 v33, 4, v32
	v_lshlrev_b32_e32 v34, 11, v32
	v_and_b32_e32 v33, 16, v33
	s_waitcnt vmcnt(1)
	v_and_b32_e32 v14, 0xf0f0f0f, v29
	v_and_b32_e32 v34, 0x1000, v34
	v_or3_b32 v14, v33, v14, v34
	v_lshlrev_b32_e32 v33, 18, v32
	v_lshlrev_b32_e32 v34, 25, v32
	v_and_b32_e32 v33, 0x100000, v33
	v_and_b32_e32 v34, 0x10000000, v34
	v_or3_b32 v14, v14, v33, v34
	v_lshrrev_b32_e32 v33, 12, v32
	v_lshrrev_b32_e32 v34, 5, v32
	v_lshlrev_b32_e32 v35, 2, v32
	v_lshrrev_b32_e32 v29, 4, v29
	v_and_b32_e32 v33, 16, v33
	v_and_b32_e32 v34, 0x1000, v34
	;; [unrolled: 1-line block ×3, first 2 shown]
	v_lshlrev_b32_e32 v32, 9, v32
	v_ashrrev_i32_e32 v31, v22, v31
	v_and_b32_e32 v29, 0xf0f0f0f, v29
	v_and_b32_e32 v32, 0x10000000, v32
	v_or3_b32 v33, v34, v33, v35
	v_dot4_i32_i8 v14, v14, v9, 0
	v_or3_b32 v29, v33, v32, v29
	v_lshlrev_b32_e32 v32, 4, v31
	v_lshlrev_b32_e32 v33, 11, v31
	v_dot4_i32_i8 v14, v29, v7, v14
	v_and_b32_e32 v29, 0xf0f0f0f, v30
	v_and_b32_e32 v32, 16, v32
	;; [unrolled: 1-line block ×3, first 2 shown]
	v_or3_b32 v29, v32, v29, v33
	v_lshlrev_b32_e32 v32, 18, v31
	v_lshlrev_b32_e32 v33, 25, v31
	v_and_b32_e32 v32, 0x100000, v32
	v_and_b32_e32 v33, 0x10000000, v33
	v_or3_b32 v29, v29, v32, v33
	v_dot4_i32_i8 v14, v29, v10, v14
	v_lshrrev_b32_e32 v29, 4, v30
	v_lshrrev_b32_e32 v30, 12, v31
	;; [unrolled: 1-line block ×3, first 2 shown]
	v_lshlrev_b32_e32 v33, 2, v31
	v_and_b32_e32 v30, 16, v30
	v_and_b32_e32 v32, 0x1000, v32
	;; [unrolled: 1-line block ×3, first 2 shown]
	v_lshlrev_b32_e32 v31, 9, v31
	v_and_b32_e32 v29, 0xf0f0f0f, v29
	v_and_b32_e32 v31, 0x10000000, v31
	v_or3_b32 v30, v32, v30, v33
	v_or3_b32 v29, v30, v31, v29
	v_dot4_i32_i8 v14, v29, v8, v14
	v_cvt_f32_i32_e32 v14, v14
	v_fma_f32 v14, v26, v14, -v27
	s_waitcnt vmcnt(0)
	v_fma_mix_f32 v2, v14, v13, v2 op_sel_hi:[0,1,0]
.LBB37_20:                              ;   in Loop: Header=BB37_18 Depth=1
	v_add_u32_e32 v31, s21, v20
	v_mad_i64_i32 v[32:33], s[10:11], v31, 22, s[12:13]
	v_add_co_u32_e32 v34, vcc, v32, v24
	v_addc_co_u32_e32 v35, vcc, 0, v33, vcc
	global_load_dword v30, v[32:33], off offset:2
	global_load_dwordx2 v[13:14], v[34:35], off offset:6
	global_load_ushort v29, v[32:33], off
	s_and_b64 vcc, exec, s[6:7]
	s_cbranch_vccnz .LBB37_17
; %bb.21:                               ;   in Loop: Header=BB37_18 Depth=1
	v_mad_i64_i32 v[31:32], s[10:11], v31, 22, s[28:29]
	global_load_dword v35, v[31:32], off offset:2
	v_add_co_u32_e32 v33, vcc, v31, v24
	v_addc_co_u32_e32 v34, vcc, 0, v32, vcc
	global_load_dwordx2 v[33:34], v[33:34], off offset:6
	s_waitcnt vmcnt(1)
	v_ashrrev_i32_e32 v36, v21, v35
	global_load_ushort v31, v[31:32], off
	v_lshlrev_b32_e32 v37, 4, v36
	v_lshlrev_b32_e32 v38, 11, v36
	v_and_b32_e32 v37, 16, v37
	s_waitcnt vmcnt(1)
	v_and_b32_e32 v32, 0xf0f0f0f, v33
	v_and_b32_e32 v38, 0x1000, v38
	v_or3_b32 v32, v37, v32, v38
	v_lshlrev_b32_e32 v37, 18, v36
	v_lshlrev_b32_e32 v38, 25, v36
	v_and_b32_e32 v37, 0x100000, v37
	v_and_b32_e32 v38, 0x10000000, v38
	v_or3_b32 v32, v32, v37, v38
	v_lshrrev_b32_e32 v37, 12, v36
	v_lshrrev_b32_e32 v38, 5, v36
	v_lshlrev_b32_e32 v39, 2, v36
	v_lshrrev_b32_e32 v33, 4, v33
	v_and_b32_e32 v37, 16, v37
	v_and_b32_e32 v38, 0x1000, v38
	;; [unrolled: 1-line block ×3, first 2 shown]
	v_lshlrev_b32_e32 v36, 9, v36
	v_ashrrev_i32_e32 v35, v22, v35
	v_and_b32_e32 v33, 0xf0f0f0f, v33
	v_and_b32_e32 v36, 0x10000000, v36
	v_or3_b32 v37, v38, v37, v39
	v_dot4_i32_i8 v32, v32, v9, 0
	v_or3_b32 v33, v37, v36, v33
	v_lshlrev_b32_e32 v36, 4, v35
	v_lshlrev_b32_e32 v37, 11, v35
	v_dot4_i32_i8 v32, v33, v7, v32
	v_and_b32_e32 v33, 0xf0f0f0f, v34
	v_and_b32_e32 v36, 16, v36
	;; [unrolled: 1-line block ×3, first 2 shown]
	v_or3_b32 v33, v36, v33, v37
	v_lshlrev_b32_e32 v36, 18, v35
	v_lshlrev_b32_e32 v37, 25, v35
	v_and_b32_e32 v36, 0x100000, v36
	v_and_b32_e32 v37, 0x10000000, v37
	v_or3_b32 v33, v33, v36, v37
	v_dot4_i32_i8 v32, v33, v10, v32
	v_lshrrev_b32_e32 v33, 4, v34
	v_lshrrev_b32_e32 v34, 12, v35
	;; [unrolled: 1-line block ×3, first 2 shown]
	v_lshlrev_b32_e32 v37, 2, v35
	v_and_b32_e32 v34, 16, v34
	v_and_b32_e32 v36, 0x1000, v36
	;; [unrolled: 1-line block ×3, first 2 shown]
	v_lshlrev_b32_e32 v35, 9, v35
	v_and_b32_e32 v33, 0xf0f0f0f, v33
	v_and_b32_e32 v35, 0x10000000, v35
	v_or3_b32 v34, v36, v34, v37
	v_or3_b32 v33, v34, v35, v33
	v_dot4_i32_i8 v32, v33, v8, v32
	v_cvt_f32_i32_e32 v32, v32
	v_fma_f32 v32, v26, v32, -v27
	s_waitcnt vmcnt(0)
	v_fma_mix_f32 v3, v32, v31, v3 op_sel_hi:[0,1,0]
	s_branch .LBB37_17
.LBB37_22:
	s_or_b64 exec, exec, s[14:15]
.LBB37_23:
	s_or_b64 exec, exec, s[30:31]
	s_load_dword s14, s[4:5], 0x30
	v_cmp_eq_u32_e64 s[6:7], 0, v1
	v_cmp_ne_u32_e32 vcc, 0, v1
	v_lshlrev_b32_e32 v5, 2, v0
	s_and_saveexec_b64 s[10:11], vcc
	s_cbranch_execz .LBB37_28
; %bb.24:
	v_lshl_or_b32 v1, v1, 9, v5
	v_add_u32_e32 v6, 0xfffffe00, v1
	s_mov_b64 s[12:13], -1
	s_and_b64 vcc, exec, s[38:39]
	ds_write_b32 v6, v19
	s_cbranch_vccz .LBB37_26
; %bb.25:
	ds_write_b32 v6, v4 offset:256
	s_mov_b64 s[12:13], 0
.LBB37_26:
	s_andn2_b64 vcc, exec, s[12:13]
	s_cbranch_vccnz .LBB37_28
; %bb.27:
	ds_write_b32 v6, v4 offset:256
	ds_write2st64_b32 v1, v2, v3 offset1:1
.LBB37_28:
	s_or_b64 exec, exec, s[10:11]
	s_waitcnt vmcnt(0) lgkmcnt(0)
	s_barrier
	s_and_saveexec_b64 s[10:11], s[6:7]
	s_cbranch_execz .LBB37_61
; %bb.29:
	ds_read_b32 v7, v5
	v_cmp_ne_u32_e64 s[6:7], 1, v18
	s_andn2_b64 vcc, exec, s[18:19]
	v_or_b32_e32 v6, 0x200, v5
	s_cbranch_vccnz .LBB37_31
; %bb.30:
	ds_read_b32 v1, v6
	s_waitcnt lgkmcnt(0)
	v_add_f32_e32 v2, v2, v1
.LBB37_31:
	v_mbcnt_lo_u32_b32 v1, -1, 0
	v_mbcnt_hi_u32_b32 v8, -1, v1
	v_and_b32_e32 v1, 64, v8
	v_add_u32_e32 v13, 64, v1
	v_xor_b32_e32 v1, 32, v8
	v_cmp_lt_i32_e32 vcc, v1, v13
	v_cndmask_b32_e32 v1, v8, v1, vcc
	v_lshlrev_b32_e32 v1, 2, v1
	s_waitcnt lgkmcnt(0)
	v_add_f32_e32 v7, v19, v7
	ds_bpermute_b32 v10, v1, v7
	v_xor_b32_e32 v9, 16, v8
	v_cmp_lt_i32_e32 vcc, v9, v13
	v_cndmask_b32_e32 v9, v8, v9, vcc
	v_lshlrev_b32_e32 v9, 2, v9
	s_waitcnt lgkmcnt(0)
	v_add_f32_e32 v7, v7, v10
	ds_bpermute_b32 v11, v9, v7
	;; [unrolled: 7-line block ×6, first 2 shown]
	s_and_b64 vcc, exec, s[6:7]
	s_cbranch_vccnz .LBB37_33
; %bb.32:
	ds_bpermute_b32 v14, v1, v2
	s_waitcnt lgkmcnt(0)
	v_add_f32_e32 v2, v2, v14
	ds_bpermute_b32 v14, v9, v2
	s_waitcnt lgkmcnt(0)
	v_add_f32_e32 v2, v2, v14
	;; [unrolled: 3-line block ×6, first 2 shown]
.LBB37_33:
	ds_read_b32 v14, v5 offset:256
	s_and_b64 vcc, exec, s[6:7]
	s_cbranch_vccnz .LBB37_35
; %bb.34:
	ds_read_b32 v6, v6 offset:256
	s_waitcnt lgkmcnt(0)
	v_add_f32_e32 v3, v3, v6
.LBB37_35:
	s_waitcnt lgkmcnt(0)
	v_add_f32_e32 v4, v4, v14
	ds_bpermute_b32 v6, v1, v4
	s_and_b64 vcc, exec, s[6:7]
	s_waitcnt lgkmcnt(0)
	v_add_f32_e32 v4, v4, v6
	ds_bpermute_b32 v6, v9, v4
	s_waitcnt lgkmcnt(0)
	v_add_f32_e32 v4, v4, v6
	ds_bpermute_b32 v6, v10, v4
	;; [unrolled: 3-line block ×5, first 2 shown]
	s_cbranch_vccnz .LBB37_37
; %bb.36:
	ds_bpermute_b32 v1, v1, v3
	s_waitcnt lgkmcnt(0)
	v_add_f32_e32 v1, v3, v1
	ds_bpermute_b32 v3, v9, v1
	s_waitcnt lgkmcnt(0)
	v_add_f32_e32 v1, v1, v3
	;; [unrolled: 3-line block ×6, first 2 shown]
.LBB37_37:
	v_cmp_gt_u32_e32 vcc, s9, v15
	v_cmp_gt_u32_e64 s[10:11], 2, v0
	s_and_b64 s[10:11], s[10:11], vcc
	s_and_b64 exec, exec, s[10:11]
	s_cbranch_execz .LBB37_61
; %bb.38:
	v_add_f32_e32 v1, v7, v8
	s_waitcnt lgkmcnt(0)
	v_add_f32_e32 v4, v4, v6
	v_cmp_eq_u32_e64 s[10:11], 1, v0
	v_cndmask_b32_e64 v0, v1, v4, s[10:11]
	v_add_f32_e32 v1, v17, v0
	s_and_b64 vcc, exec, s[6:7]
	v_cndmask_b32_e64 v0, v1, v0, s[0:1]
	s_cbranch_vccnz .LBB37_60
; %bb.39:
	v_cndmask_b32_e64 v1, v2, v3, s[10:11]
	v_add_f32_e32 v2, v16, v1
	v_cndmask_b32_e64 v1, v1, v2, s[2:3]
	s_cmp_lt_i32 s14, 2
	s_mov_b64 s[0:1], 0
	s_cbranch_scc1 .LBB37_43
; %bb.40:
	s_cmp_gt_i32 s14, 2
	s_cbranch_scc0 .LBB37_44
; %bb.41:
	s_cmp_eq_u32 s14, 3
	s_cbranch_scc0 .LBB37_45
; %bb.42:
	v_max_f32_e32 v2, v1, v1
	v_min_f32_e32 v2, 0x40e00000, v2
	v_mul_f32_e32 v3, 0xbfd9db23, v2
	s_mov_b32 s2, 0x3fb8aa3b
	v_mul_f32_e32 v4, 0x3fb8aa3b, v3
	v_fma_f32 v6, v3, s2, -v4
	v_rndne_f32_e32 v7, v4
	v_fmac_f32_e32 v6, 0x32a5705f, v3
	v_sub_f32_e32 v4, v4, v7
	v_add_f32_e32 v4, v4, v6
	v_exp_f32_e32 v4, v4
	v_cvt_i32_f32_e32 v6, v7
	s_mov_b32 s2, 0xc2ce8ed0
	v_cmp_ngt_f32_e32 vcc, s2, v3
	s_mov_b32 s2, 0x42b17218
	v_ldexp_f32 v4, v4, v6
	v_cndmask_b32_e32 v4, 0, v4, vcc
	v_mov_b32_e32 v6, 0x7f800000
	v_cmp_nlt_f32_e32 vcc, s2, v3
	v_cndmask_b32_e32 v3, v6, v4, vcc
	v_add_f32_e32 v3, 1.0, v3
	v_div_scale_f32 v4, s[2:3], v3, v3, v2
	v_div_scale_f32 v6, vcc, v2, v3, v2
	s_mov_b64 s[2:3], 0
	v_rcp_f32_e32 v7, v4
	v_fma_f32 v8, -v4, v7, 1.0
	v_fmac_f32_e32 v7, v8, v7
	v_mul_f32_e32 v8, v6, v7
	v_fma_f32 v9, -v4, v8, v6
	v_fmac_f32_e32 v8, v9, v7
	v_fma_f32 v4, -v4, v8, v6
	v_div_fmas_f32 v4, v4, v7, v8
	v_max_f32_e32 v6, v0, v0
	v_min_f32_e32 v6, 0x40e00000, v6
	v_max_f32_e32 v6, 0xc0e00000, v6
	v_add_f32_e32 v6, 1.0, v6
	v_div_fixup_f32 v2, v4, v3, v2
	v_mul_f32_e32 v2, v6, v2
	s_branch .LBB37_46
.LBB37_43:
                                        ; implicit-def: $vgpr2
	s_mov_b64 s[2:3], 0
	s_cbranch_execnz .LBB37_50
	s_branch .LBB37_51
.LBB37_44:
	s_mov_b64 s[6:7], -1
	s_mov_b64 s[2:3], 0
                                        ; implicit-def: $vgpr2
	s_branch .LBB37_47
.LBB37_45:
	s_mov_b64 s[2:3], -1
                                        ; implicit-def: $vgpr2
.LBB37_46:
	s_mov_b64 s[6:7], 0
.LBB37_47:
	s_and_b64 vcc, exec, s[6:7]
	s_cbranch_vccz .LBB37_49
; %bb.48:
	v_mul_f32_e32 v2, 0xbfb8aa3b, v1
	s_mov_b32 s6, 0xbfb8aa3b
	v_rndne_f32_e32 v3, v2
	v_sub_f32_e32 v4, v2, v3
	v_fma_f32 v2, v1, s6, -v2
	v_fmac_f32_e32 v2, 0xb2a5705f, v1
	v_add_f32_e32 v2, v4, v2
	v_exp_f32_e32 v2, v2
	v_cvt_i32_f32_e32 v3, v3
	s_mov_b32 s6, 0x42ce8ed0
	v_cmp_nlt_f32_e32 vcc, s6, v1
	s_mov_b32 s6, 0xc2b17218
	v_ldexp_f32 v2, v2, v3
	v_cndmask_b32_e32 v2, 0, v2, vcc
	v_mov_b32_e32 v3, 0x7f800000
	v_cmp_ngt_f32_e32 vcc, s6, v1
	v_cndmask_b32_e32 v2, v3, v2, vcc
	v_add_f32_e32 v2, 1.0, v2
	v_div_scale_f32 v3, s[6:7], v2, v2, v1
	v_div_scale_f32 v4, vcc, v1, v2, v1
	v_rcp_f32_e32 v6, v3
	v_fma_f32 v7, -v3, v6, 1.0
	v_fmac_f32_e32 v6, v7, v6
	v_mul_f32_e32 v7, v4, v6
	v_fma_f32 v8, -v3, v7, v4
	v_fmac_f32_e32 v7, v8, v6
	v_fma_f32 v3, -v3, v7, v4
	v_div_fmas_f32 v3, v3, v6, v7
	v_div_fixup_f32 v2, v3, v2, v1
	v_mul_f32_e32 v2, v0, v2
.LBB37_49:
	s_branch .LBB37_51
.LBB37_50:
	s_cmp_lg_u32 s14, 1
	s_mov_b64 s[0:1], -1
	s_cselect_b64 s[2:3], -1, 0
.LBB37_51:
	s_andn2_b64 vcc, exec, s[2:3]
	s_cbranch_vccz .LBB37_53
; %bb.52:
	s_andn2_b64 vcc, exec, s[0:1]
	s_cbranch_vccz .LBB37_54
	s_branch .LBB37_59
.LBB37_53:
	v_mul_f32_e32 v2, v1, v0
	s_cbranch_execnz .LBB37_59
.LBB37_54:
	v_mul_f32_e32 v3, 0x3d372713, v1
	v_mul_f32_e32 v2, 0x3f4c422a, v1
	v_fma_f32 v3, v1, v3, 1.0
	v_mul_f32_e32 v2, v2, v3
	s_mov_b32 s0, 0x3f200000
	v_cmp_nlt_f32_e64 s[0:1], |v2|, s0
                                        ; implicit-def: $vgpr3
	s_and_saveexec_b64 s[2:3], s[0:1]
	s_xor_b64 s[0:1], exec, s[2:3]
	s_cbranch_execz .LBB37_56
; %bb.55:
	v_add_f32_e64 v3, |v2|, |v2|
	v_mul_f32_e32 v4, 0x3fb8aa3b, v3
	s_mov_b32 s2, 0x3fb8aa3b
	v_rndne_f32_e32 v6, v4
	v_sub_f32_e32 v7, v4, v6
	v_fma_f32 v4, v3, s2, -v4
	v_fmac_f32_e32 v4, 0x32a5705f, v3
	v_add_f32_e32 v4, v7, v4
	v_exp_f32_e32 v4, v4
	v_cvt_i32_f32_e32 v6, v6
	s_mov_b32 s2, 0xc2ce8ed0
	v_cmp_ngt_f32_e32 vcc, s2, v3
	s_mov_b32 s2, 0x42b17218
	v_ldexp_f32 v4, v4, v6
	v_cndmask_b32_e32 v4, 0, v4, vcc
	v_mov_b32_e32 v6, 0x7f800000
	v_cmp_nlt_f32_e32 vcc, s2, v3
	v_cndmask_b32_e32 v3, v6, v4, vcc
	v_add_f32_e32 v3, 1.0, v3
	v_rcp_f32_e32 v3, v3
	v_fma_f32 v3, v3, -2.0, 1.0
.LBB37_56:
	s_andn2_saveexec_b64 s[0:1], s[0:1]
	s_cbranch_execz .LBB37_58
; %bb.57:
	v_mul_f32_e32 v3, v2, v2
	v_mov_b32_e32 v4, 0x3ca908c9
	v_fmac_f32_e32 v4, 0xbbbac73d, v3
	v_mov_b32_e32 v6, 0xbd5c1c4e
	v_fmac_f32_e32 v6, v3, v4
	;; [unrolled: 2-line block ×4, first 2 shown]
	v_mul_f32_e64 v4, |v2|, v6
	v_fma_f32 v3, v3, v4, |v2|
.LBB37_58:
	s_or_b64 exec, exec, s[0:1]
	s_brev_b32 s0, -2
	v_bfi_b32 v2, s0, v3, v2
	v_mul_f32_e32 v1, 0.5, v1
	v_add_f32_e32 v2, 1.0, v2
	v_mul_f32_e32 v1, v1, v2
	v_mul_f32_e32 v2, v0, v1
.LBB37_59:
	v_mov_b32_e32 v0, v2
.LBB37_60:
	s_load_dwordx2 s[0:1], s[4:5], 0x38
	s_mul_i32 s3, s22, s34
	s_mul_i32 s2, s26, s8
	s_add_i32 s3, s3, s16
	s_add_i32 s2, s3, s2
	s_mov_b32 s3, 0
	s_lshl_b64 s[2:3], s[2:3], 2
	s_waitcnt lgkmcnt(0)
	s_add_u32 s0, s0, s2
	s_addc_u32 s1, s1, s3
	global_store_dword v5, v0, s[0:1]
.LBB37_61:
	s_endpgm
	.section	.rodata,"a",@progbits
	.p2align	6, 0x0
	.amdhsa_kernel _ZL13mul_mat_vec_qIL9ggml_type6ELi1ELb1ELb1EEvPKvS2_PKi31ggml_cuda_mm_fusion_args_devicePfj15HIP_vector_typeIjLj3EEjjjS8_jjjS8_jjjj
		.amdhsa_group_segment_fixed_size 1024
		.amdhsa_private_segment_fixed_size 0
		.amdhsa_kernarg_size 144
		.amdhsa_user_sgpr_count 6
		.amdhsa_user_sgpr_private_segment_buffer 1
		.amdhsa_user_sgpr_dispatch_ptr 0
		.amdhsa_user_sgpr_queue_ptr 0
		.amdhsa_user_sgpr_kernarg_segment_ptr 1
		.amdhsa_user_sgpr_dispatch_id 0
		.amdhsa_user_sgpr_flat_scratch_init 0
		.amdhsa_user_sgpr_private_segment_size 0
		.amdhsa_uses_dynamic_stack 0
		.amdhsa_system_sgpr_private_segment_wavefront_offset 0
		.amdhsa_system_sgpr_workgroup_id_x 1
		.amdhsa_system_sgpr_workgroup_id_y 1
		.amdhsa_system_sgpr_workgroup_id_z 1
		.amdhsa_system_sgpr_workgroup_info 0
		.amdhsa_system_vgpr_workitem_id 1
		.amdhsa_next_free_vgpr 40
		.amdhsa_next_free_sgpr 44
		.amdhsa_reserve_vcc 1
		.amdhsa_reserve_flat_scratch 0
		.amdhsa_float_round_mode_32 0
		.amdhsa_float_round_mode_16_64 0
		.amdhsa_float_denorm_mode_32 3
		.amdhsa_float_denorm_mode_16_64 3
		.amdhsa_dx10_clamp 1
		.amdhsa_ieee_mode 1
		.amdhsa_fp16_overflow 0
		.amdhsa_exception_fp_ieee_invalid_op 0
		.amdhsa_exception_fp_denorm_src 0
		.amdhsa_exception_fp_ieee_div_zero 0
		.amdhsa_exception_fp_ieee_overflow 0
		.amdhsa_exception_fp_ieee_underflow 0
		.amdhsa_exception_fp_ieee_inexact 0
		.amdhsa_exception_int_div_zero 0
	.end_amdhsa_kernel
	.section	.text._ZL13mul_mat_vec_qIL9ggml_type6ELi1ELb1ELb1EEvPKvS2_PKi31ggml_cuda_mm_fusion_args_devicePfj15HIP_vector_typeIjLj3EEjjjS8_jjjS8_jjjj,"axG",@progbits,_ZL13mul_mat_vec_qIL9ggml_type6ELi1ELb1ELb1EEvPKvS2_PKi31ggml_cuda_mm_fusion_args_devicePfj15HIP_vector_typeIjLj3EEjjjS8_jjjS8_jjjj,comdat
.Lfunc_end37:
	.size	_ZL13mul_mat_vec_qIL9ggml_type6ELi1ELb1ELb1EEvPKvS2_PKi31ggml_cuda_mm_fusion_args_devicePfj15HIP_vector_typeIjLj3EEjjjS8_jjjS8_jjjj, .Lfunc_end37-_ZL13mul_mat_vec_qIL9ggml_type6ELi1ELb1ELb1EEvPKvS2_PKi31ggml_cuda_mm_fusion_args_devicePfj15HIP_vector_typeIjLj3EEjjjS8_jjjS8_jjjj
                                        ; -- End function
	.set _ZL13mul_mat_vec_qIL9ggml_type6ELi1ELb1ELb1EEvPKvS2_PKi31ggml_cuda_mm_fusion_args_devicePfj15HIP_vector_typeIjLj3EEjjjS8_jjjS8_jjjj.num_vgpr, 40
	.set _ZL13mul_mat_vec_qIL9ggml_type6ELi1ELb1ELb1EEvPKvS2_PKi31ggml_cuda_mm_fusion_args_devicePfj15HIP_vector_typeIjLj3EEjjjS8_jjjS8_jjjj.num_agpr, 0
	.set _ZL13mul_mat_vec_qIL9ggml_type6ELi1ELb1ELb1EEvPKvS2_PKi31ggml_cuda_mm_fusion_args_devicePfj15HIP_vector_typeIjLj3EEjjjS8_jjjS8_jjjj.numbered_sgpr, 44
	.set _ZL13mul_mat_vec_qIL9ggml_type6ELi1ELb1ELb1EEvPKvS2_PKi31ggml_cuda_mm_fusion_args_devicePfj15HIP_vector_typeIjLj3EEjjjS8_jjjS8_jjjj.num_named_barrier, 0
	.set _ZL13mul_mat_vec_qIL9ggml_type6ELi1ELb1ELb1EEvPKvS2_PKi31ggml_cuda_mm_fusion_args_devicePfj15HIP_vector_typeIjLj3EEjjjS8_jjjS8_jjjj.private_seg_size, 0
	.set _ZL13mul_mat_vec_qIL9ggml_type6ELi1ELb1ELb1EEvPKvS2_PKi31ggml_cuda_mm_fusion_args_devicePfj15HIP_vector_typeIjLj3EEjjjS8_jjjS8_jjjj.uses_vcc, 1
	.set _ZL13mul_mat_vec_qIL9ggml_type6ELi1ELb1ELb1EEvPKvS2_PKi31ggml_cuda_mm_fusion_args_devicePfj15HIP_vector_typeIjLj3EEjjjS8_jjjS8_jjjj.uses_flat_scratch, 0
	.set _ZL13mul_mat_vec_qIL9ggml_type6ELi1ELb1ELb1EEvPKvS2_PKi31ggml_cuda_mm_fusion_args_devicePfj15HIP_vector_typeIjLj3EEjjjS8_jjjS8_jjjj.has_dyn_sized_stack, 0
	.set _ZL13mul_mat_vec_qIL9ggml_type6ELi1ELb1ELb1EEvPKvS2_PKi31ggml_cuda_mm_fusion_args_devicePfj15HIP_vector_typeIjLj3EEjjjS8_jjjS8_jjjj.has_recursion, 0
	.set _ZL13mul_mat_vec_qIL9ggml_type6ELi1ELb1ELb1EEvPKvS2_PKi31ggml_cuda_mm_fusion_args_devicePfj15HIP_vector_typeIjLj3EEjjjS8_jjjS8_jjjj.has_indirect_call, 0
	.section	.AMDGPU.csdata,"",@progbits
; Kernel info:
; codeLenInByte = 4112
; TotalNumSgprs: 48
; NumVgprs: 40
; ScratchSize: 0
; MemoryBound: 0
; FloatMode: 240
; IeeeMode: 1
; LDSByteSize: 1024 bytes/workgroup (compile time only)
; SGPRBlocks: 5
; VGPRBlocks: 9
; NumSGPRsForWavesPerEU: 48
; NumVGPRsForWavesPerEU: 40
; Occupancy: 6
; WaveLimiterHint : 0
; COMPUTE_PGM_RSRC2:SCRATCH_EN: 0
; COMPUTE_PGM_RSRC2:USER_SGPR: 6
; COMPUTE_PGM_RSRC2:TRAP_HANDLER: 0
; COMPUTE_PGM_RSRC2:TGID_X_EN: 1
; COMPUTE_PGM_RSRC2:TGID_Y_EN: 1
; COMPUTE_PGM_RSRC2:TGID_Z_EN: 1
; COMPUTE_PGM_RSRC2:TIDIG_COMP_CNT: 1
	.section	.text._ZL13mul_mat_vec_qIL9ggml_type6ELi1ELb0ELb1EEvPKvS2_PKi31ggml_cuda_mm_fusion_args_devicePfj15HIP_vector_typeIjLj3EEjjjS8_jjjS8_jjjj,"axG",@progbits,_ZL13mul_mat_vec_qIL9ggml_type6ELi1ELb0ELb1EEvPKvS2_PKi31ggml_cuda_mm_fusion_args_devicePfj15HIP_vector_typeIjLj3EEjjjS8_jjjS8_jjjj,comdat
	.globl	_ZL13mul_mat_vec_qIL9ggml_type6ELi1ELb0ELb1EEvPKvS2_PKi31ggml_cuda_mm_fusion_args_devicePfj15HIP_vector_typeIjLj3EEjjjS8_jjjS8_jjjj ; -- Begin function _ZL13mul_mat_vec_qIL9ggml_type6ELi1ELb0ELb1EEvPKvS2_PKi31ggml_cuda_mm_fusion_args_devicePfj15HIP_vector_typeIjLj3EEjjjS8_jjjS8_jjjj
	.p2align	8
	.type	_ZL13mul_mat_vec_qIL9ggml_type6ELi1ELb0ELb1EEvPKvS2_PKi31ggml_cuda_mm_fusion_args_devicePfj15HIP_vector_typeIjLj3EEjjjS8_jjjS8_jjjj,@function
_ZL13mul_mat_vec_qIL9ggml_type6ELi1ELb0ELb1EEvPKvS2_PKi31ggml_cuda_mm_fusion_args_devicePfj15HIP_vector_typeIjLj3EEjjjS8_jjjS8_jjjj: ; @_ZL13mul_mat_vec_qIL9ggml_type6ELi1ELb0ELb1EEvPKvS2_PKi31ggml_cuda_mm_fusion_args_devicePfj15HIP_vector_typeIjLj3EEjjjS8_jjjS8_jjjj
; %bb.0:
	s_load_dwordx2 s[0:1], s[4:5], 0x10
	s_load_dwordx4 s[16:19], s[4:5], 0x40
	s_mov_b32 s10, s7
	s_mov_b64 s[14:15], 0
	s_waitcnt lgkmcnt(0)
	s_cmp_lg_u64 s[0:1], 0
	s_cselect_b64 s[12:13], -1, 0
	s_cmp_eq_u64 s[0:1], 0
	s_cbranch_scc1 .LBB38_5
; %bb.1:
	s_mov_b32 s11, 0
	s_lshl_b64 s[2:3], s[10:11], 2
	s_add_u32 s0, s0, s2
	s_addc_u32 s1, s1, s3
	s_load_dword s21, s[0:1], 0x0
	s_nop 0
	s_load_dwordx4 s[0:3], s[4:5], 0x68
	s_load_dword s20, s[4:5], 0x50
	s_andn2_b64 vcc, exec, s[14:15]
	s_cbranch_vccnz .LBB38_3
.LBB38_2:
	s_load_dwordx2 s[14:15], s[4:5], 0x5c
	s_waitcnt lgkmcnt(0)
	s_mul_hi_u32 s7, s14, s10
	s_add_i32 s7, s10, s7
	s_lshr_b32 s21, s7, s15
.LBB38_3:
	s_load_dword s22, s[4:5], 0x78
	s_andn2_b64 vcc, exec, s[12:13]
	s_cbranch_vccnz .LBB38_6
; %bb.4:
	s_mul_hi_u32 s7, s17, s10
	s_add_i32 s7, s10, s7
	s_lshr_b32 s7, s7, s18
	s_mul_i32 s7, s7, s19
	s_sub_i32 s23, s10, s7
	s_branch .LBB38_7
.LBB38_5:
                                        ; implicit-def: $sgpr21
	s_load_dwordx4 s[0:3], s[4:5], 0x68
	s_load_dword s20, s[4:5], 0x50
	s_branch .LBB38_2
.LBB38_6:
	s_mov_b32 s23, s10
.LBB38_7:
	s_load_dwordx4 s[12:15], s[4:5], 0x80
	v_lshlrev_b32_e32 v2, 6, v1
	v_add_u16_e32 v3, v2, v0
	s_lshr_b32 s11, s16, 5
	v_lshrrev_b16_e32 v8, 1, v3
	s_lshl_b32 s9, s6, 1
	v_cmp_gt_u32_e32 vcc, s11, v8
	v_mov_b32_e32 v7, 0
	v_mov_b32_e32 v6, 0
	s_and_saveexec_b64 s[6:7], vcc
	s_cbranch_execz .LBB38_11
; %bb.8:
	s_waitcnt lgkmcnt(0)
	s_mul_hi_u32 s3, s3, s8
	s_add_i32 s3, s8, s3
	s_lshr_b32 s3, s3, s22
	s_load_dwordx4 s[16:19], s[4:5], 0x0
	s_mul_i32 s0, s21, s0
	s_mul_i32 s3, s3, s12
	s_add_i32 s12, s0, s3
	s_mul_i32 s0, s9, s20
	s_add_i32 s3, s12, s0
	s_add_i32 s0, s9, 1
	s_mul_i32 s13, s13, s8
	s_mul_i32 s20, s20, s0
	s_add_i32 s12, s12, s20
	s_mul_hi_u32 s0, s13, 36
	s_mul_i32 s13, s13, 36
	s_mul_i32 s1, s23, s1
	s_waitcnt lgkmcnt(0)
	s_add_u32 s13, s18, s13
	v_lshlrev_b32_e32 v3, 1, v0
	s_mul_hi_u32 s15, s1, 36
	s_mul_i32 s1, s1, 36
	s_addc_u32 s18, s19, s0
	v_add_u32_e32 v2, v2, v0
	v_and_b32_e32 v3, 2, v3
	s_add_u32 s0, s13, s1
	v_lshlrev_b32_e32 v4, 1, v3
	v_lshlrev_b32_e32 v9, 2, v3
	v_and_b32_e32 v3, 1, v0
	v_lshrrev_b32_e32 v2, 1, v2
	s_addc_u32 s1, s18, s15
	v_lshlrev_b32_e32 v11, 3, v3
	v_mad_u64_u32 v[2:3], s[0:1], v2, 36, s[0:1]
	v_mov_b32_e32 v6, 0
	v_or_b32_e32 v10, 4, v9
	s_mov_b64 s[0:1], 0
	v_lshlrev_b32_e32 v12, 1, v4
	v_mov_b32_e32 v7, 0
.LBB38_9:                               ; =>This Inner Loop Header: Depth=1
	v_add_co_u32_e32 v14, vcc, v2, v11
	v_addc_co_u32_e32 v15, vcc, 0, v3, vcc
	global_load_dwordx2 v[16:17], v[14:15], off offset:4
	global_load_dwordx2 v[4:5], v[14:15], off offset:20
	global_load_dword v13, v[2:3], off
	v_add_u32_e32 v15, s3, v8
	v_mad_i64_i32 v[18:19], s[18:19], v15, 22, s[16:17]
	global_load_dword v15, v[18:19], off offset:2
	v_add_co_u32_e32 v20, vcc, v18, v12
	v_addc_co_u32_e32 v21, vcc, 0, v19, vcc
	global_load_dwordx2 v[20:21], v[20:21], off offset:6
	s_waitcnt vmcnt(2)
	v_cvt_f32_f16_sdwa v14, v13 dst_sel:DWORD dst_unused:UNUSED_PAD src0_sel:WORD_1
	global_load_ushort v18, v[18:19], off
	v_mul_f32_e32 v14, 0xc1000000, v14
	s_waitcnt vmcnt(2)
	v_ashrrev_i32_e32 v22, v9, v15
	v_lshlrev_b32_e32 v23, 4, v22
	v_lshlrev_b32_e32 v24, 11, v22
	v_and_b32_e32 v23, 16, v23
	v_and_b32_e32 v24, 0x1000, v24
	s_waitcnt vmcnt(1)
	v_and_b32_e32 v19, 0xf0f0f0f, v20
	v_or3_b32 v19, v23, v19, v24
	v_lshlrev_b32_e32 v23, 18, v22
	v_lshlrev_b32_e32 v24, 25, v22
	v_and_b32_e32 v23, 0x100000, v23
	v_and_b32_e32 v24, 0x10000000, v24
	v_or3_b32 v19, v19, v23, v24
	v_lshrrev_b32_e32 v23, 12, v22
	v_lshrrev_b32_e32 v24, 5, v22
	v_lshlrev_b32_e32 v25, 2, v22
	v_lshrrev_b32_e32 v20, 4, v20
	v_and_b32_e32 v23, 16, v23
	v_and_b32_e32 v24, 0x1000, v24
	;; [unrolled: 1-line block ×3, first 2 shown]
	v_lshlrev_b32_e32 v22, 9, v22
	v_ashrrev_i32_e32 v15, v10, v15
	v_and_b32_e32 v20, 0xf0f0f0f, v20
	v_and_b32_e32 v22, 0x10000000, v22
	v_or3_b32 v23, v24, v23, v25
	v_or3_b32 v20, v23, v22, v20
	v_lshlrev_b32_e32 v22, 4, v15
	v_lshlrev_b32_e32 v23, 11, v15
	;; [unrolled: 1-line block ×3, first 2 shown]
	v_dot4_i32_i8 v19, v19, v16, 0
	v_and_b32_e32 v22, 16, v22
	v_and_b32_e32 v23, 0x1000, v23
	v_and_b32_e32 v24, 0x100000, v24
	v_lshlrev_b32_e32 v25, 25, v15
	v_dot4_i32_i8 v19, v20, v4, v19
	v_and_b32_e32 v20, 0xf0f0f0f, v21
	v_and_b32_e32 v25, 0x10000000, v25
	v_or3_b32 v22, v23, v22, v24
	v_or3_b32 v20, v22, v25, v20
	v_dot4_i32_i8 v19, v20, v17, v19
	v_lshrrev_b32_e32 v20, 4, v21
	v_lshrrev_b32_e32 v21, 12, v15
	;; [unrolled: 1-line block ×3, first 2 shown]
	v_lshlrev_b32_e32 v23, 2, v15
	v_and_b32_e32 v21, 16, v21
	v_and_b32_e32 v22, 0x1000, v22
	;; [unrolled: 1-line block ×3, first 2 shown]
	v_lshlrev_b32_e32 v15, 9, v15
	v_and_b32_e32 v20, 0xf0f0f0f, v20
	v_and_b32_e32 v15, 0x10000000, v15
	v_or3_b32 v21, v22, v21, v23
	v_or3_b32 v15, v21, v15, v20
	v_dot4_i32_i8 v15, v15, v5, v19
	v_cvt_f32_i32_e32 v15, v15
	v_fma_mix_f32 v15, v13, v15, v14 op_sel_hi:[1,0,0]
	s_waitcnt vmcnt(0)
	v_fma_mix_f32 v6, v15, v18, v6 op_sel_hi:[0,1,0]
	v_add_u32_e32 v15, s12, v8
	v_mad_i64_i32 v[18:19], s[18:19], v15, 22, s[16:17]
	v_add_u32_e32 v8, 64, v8
	global_load_dword v15, v[18:19], off offset:2
	v_add_co_u32_e32 v20, vcc, v18, v12
	v_addc_co_u32_e32 v21, vcc, 0, v19, vcc
	global_load_dwordx2 v[20:21], v[20:21], off offset:6
	v_add_co_u32_e32 v2, vcc, 0x900, v2
	global_load_ushort v18, v[18:19], off
	v_addc_co_u32_e32 v3, vcc, 0, v3, vcc
	v_cmp_le_u32_e32 vcc, s11, v8
	s_or_b64 s[0:1], vcc, s[0:1]
	s_waitcnt vmcnt(2)
	v_ashrrev_i32_e32 v22, v9, v15
	v_lshlrev_b32_e32 v23, 4, v22
	v_lshlrev_b32_e32 v24, 11, v22
	v_and_b32_e32 v23, 16, v23
	v_and_b32_e32 v24, 0x1000, v24
	s_waitcnt vmcnt(1)
	v_and_b32_e32 v19, 0xf0f0f0f, v20
	v_or3_b32 v19, v23, v19, v24
	v_lshlrev_b32_e32 v23, 18, v22
	v_lshlrev_b32_e32 v24, 25, v22
	v_and_b32_e32 v23, 0x100000, v23
	v_and_b32_e32 v24, 0x10000000, v24
	v_or3_b32 v19, v19, v23, v24
	v_dot4_i32_i8 v16, v19, v16, 0
	v_lshrrev_b32_e32 v19, 4, v20
	v_lshrrev_b32_e32 v20, 12, v22
	;; [unrolled: 1-line block ×3, first 2 shown]
	v_lshlrev_b32_e32 v24, 2, v22
	v_and_b32_e32 v20, 16, v20
	v_and_b32_e32 v23, 0x1000, v23
	v_and_b32_e32 v24, 0x100000, v24
	v_lshlrev_b32_e32 v22, 9, v22
	v_and_b32_e32 v19, 0xf0f0f0f, v19
	v_and_b32_e32 v22, 0x10000000, v22
	v_or3_b32 v20, v23, v20, v24
	v_ashrrev_i32_e32 v15, v10, v15
	v_or3_b32 v19, v20, v22, v19
	v_dot4_i32_i8 v4, v19, v4, v16
	v_lshlrev_b32_e32 v19, 4, v15
	v_lshlrev_b32_e32 v20, 11, v15
	v_lshlrev_b32_e32 v22, 18, v15
	v_and_b32_e32 v19, 16, v19
	v_and_b32_e32 v20, 0x1000, v20
	;; [unrolled: 1-line block ×3, first 2 shown]
	v_lshlrev_b32_e32 v23, 25, v15
	v_and_b32_e32 v16, 0xf0f0f0f, v21
	v_and_b32_e32 v23, 0x10000000, v23
	v_or3_b32 v19, v20, v19, v22
	v_or3_b32 v16, v19, v23, v16
	v_dot4_i32_i8 v4, v16, v17, v4
	v_lshrrev_b32_e32 v17, 12, v15
	v_lshrrev_b32_e32 v19, 5, v15
	v_lshlrev_b32_e32 v20, 2, v15
	v_lshrrev_b32_e32 v16, 4, v21
	v_and_b32_e32 v17, 16, v17
	v_and_b32_e32 v19, 0x1000, v19
	;; [unrolled: 1-line block ×3, first 2 shown]
	v_lshlrev_b32_e32 v15, 9, v15
	v_and_b32_e32 v16, 0xf0f0f0f, v16
	v_and_b32_e32 v15, 0x10000000, v15
	v_or3_b32 v17, v19, v17, v20
	v_or3_b32 v15, v17, v15, v16
	v_dot4_i32_i8 v4, v15, v5, v4
	v_cvt_f32_i32_e32 v4, v4
	v_fma_mix_f32 v4, v13, v4, v14 op_sel_hi:[1,0,0]
	s_waitcnt vmcnt(0)
	v_fma_mix_f32 v7, v4, v18, v7 op_sel_hi:[0,1,0]
	s_andn2_b64 exec, exec, s[0:1]
	s_cbranch_execnz .LBB38_9
; %bb.10:
	s_or_b64 exec, exec, s[0:1]
.LBB38_11:
	s_or_b64 exec, exec, s[6:7]
	v_cmp_eq_u32_e32 vcc, 0, v1
	s_waitcnt lgkmcnt(0)
	v_cmp_ne_u32_e64 s[0:1], 0, v1
	v_lshlrev_b32_e32 v2, 2, v0
	s_and_saveexec_b64 s[6:7], s[0:1]
; %bb.12:
	v_lshl_or_b32 v1, v1, 9, v2
	v_add_u32_e32 v1, 0xfffffe00, v1
	ds_write2st64_b32 v1, v6, v7 offset1:1
; %bb.13:
	s_or_b64 exec, exec, s[6:7]
	s_waitcnt lgkmcnt(0)
	s_barrier
	s_and_saveexec_b64 s[0:1], vcc
	s_cbranch_execz .LBB38_16
; %bb.14:
	v_mbcnt_lo_u32_b32 v1, -1, 0
	v_mbcnt_hi_u32_b32 v1, -1, v1
	v_and_b32_e32 v3, 64, v1
	v_add_u32_e32 v5, 64, v3
	v_xor_b32_e32 v3, 32, v1
	v_cmp_lt_i32_e32 vcc, v3, v5
	v_cndmask_b32_e32 v3, v1, v3, vcc
	v_lshlrev_b32_e32 v8, 2, v3
	v_xor_b32_e32 v3, 16, v1
	v_cmp_lt_i32_e32 vcc, v3, v5
	v_cndmask_b32_e32 v3, v1, v3, vcc
	v_lshlrev_b32_e32 v9, 2, v3
	ds_read2st64_b32 v[3:4], v2 offset1:1
	v_xor_b32_e32 v10, 8, v1
	v_cmp_lt_i32_e32 vcc, v10, v5
	v_cndmask_b32_e32 v10, v1, v10, vcc
	v_lshlrev_b32_e32 v10, 2, v10
	s_waitcnt lgkmcnt(0)
	v_add_f32_e32 v3, v6, v3
	v_add_f32_e32 v4, v7, v4
	ds_bpermute_b32 v6, v8, v3
	ds_bpermute_b32 v7, v8, v4
	v_xor_b32_e32 v11, 4, v1
	v_cmp_lt_i32_e32 vcc, v11, v5
	v_cndmask_b32_e32 v8, v1, v11, vcc
	s_waitcnt lgkmcnt(1)
	v_add_f32_e32 v3, v3, v6
	s_waitcnt lgkmcnt(0)
	v_add_f32_e32 v4, v4, v7
	ds_bpermute_b32 v6, v9, v3
	ds_bpermute_b32 v7, v9, v4
	v_lshlrev_b32_e32 v8, 2, v8
	v_xor_b32_e32 v9, 2, v1
	v_cmp_lt_i32_e32 vcc, v9, v5
	s_waitcnt lgkmcnt(1)
	v_add_f32_e32 v3, v3, v6
	s_waitcnt lgkmcnt(0)
	v_add_f32_e32 v4, v4, v7
	ds_bpermute_b32 v6, v10, v3
	ds_bpermute_b32 v7, v10, v4
	v_cndmask_b32_e32 v9, v1, v9, vcc
	s_load_dword s0, s[4:5], 0x58
	s_mov_b32 s3, 0
	s_waitcnt lgkmcnt(0)
	v_add_f32_e32 v3, v3, v6
	v_add_f32_e32 v4, v4, v7
	ds_bpermute_b32 v6, v8, v3
	ds_bpermute_b32 v7, v8, v4
	v_lshlrev_b32_e32 v8, 2, v9
	v_xor_b32_e32 v9, 1, v1
	v_cmp_lt_i32_e32 vcc, v9, v5
	s_waitcnt lgkmcnt(1)
	v_add_f32_e32 v3, v3, v6
	s_waitcnt lgkmcnt(0)
	v_add_f32_e32 v4, v4, v7
	ds_bpermute_b32 v6, v8, v3
	ds_bpermute_b32 v7, v8, v4
	v_cndmask_b32_e32 v1, v1, v9, vcc
	v_lshlrev_b32_e32 v5, 2, v1
	s_waitcnt lgkmcnt(1)
	v_add_f32_e32 v1, v3, v6
	s_waitcnt lgkmcnt(0)
	v_add_f32_e32 v4, v4, v7
	ds_bpermute_b32 v3, v5, v1
	ds_bpermute_b32 v5, v5, v4
	v_or_b32_e32 v6, s9, v0
	v_cmp_gt_u32_e32 vcc, s0, v6
	v_cmp_gt_u32_e64 s[0:1], 2, v0
	s_and_b64 s[0:1], s[0:1], vcc
	s_and_b64 exec, exec, s[0:1]
	s_cbranch_execz .LBB38_16
; %bb.15:
	s_load_dwordx2 s[0:1], s[4:5], 0x38
	s_mul_i32 s2, s2, s10
	s_add_i32 s2, s2, s9
	s_mul_i32 s4, s14, s8
	s_add_i32 s2, s2, s4
	s_lshl_b64 s[2:3], s[2:3], 2
	s_waitcnt lgkmcnt(0)
	s_add_u32 s0, s0, s2
	v_add_f32_e32 v4, v4, v5
	v_add_f32_e32 v1, v1, v3
	v_cmp_eq_u32_e32 vcc, 1, v0
	s_addc_u32 s1, s1, s3
	v_cndmask_b32_e32 v0, v1, v4, vcc
	global_store_dword v2, v0, s[0:1]
.LBB38_16:
	s_endpgm
	.section	.rodata,"a",@progbits
	.p2align	6, 0x0
	.amdhsa_kernel _ZL13mul_mat_vec_qIL9ggml_type6ELi1ELb0ELb1EEvPKvS2_PKi31ggml_cuda_mm_fusion_args_devicePfj15HIP_vector_typeIjLj3EEjjjS8_jjjS8_jjjj
		.amdhsa_group_segment_fixed_size 512
		.amdhsa_private_segment_fixed_size 0
		.amdhsa_kernarg_size 144
		.amdhsa_user_sgpr_count 6
		.amdhsa_user_sgpr_private_segment_buffer 1
		.amdhsa_user_sgpr_dispatch_ptr 0
		.amdhsa_user_sgpr_queue_ptr 0
		.amdhsa_user_sgpr_kernarg_segment_ptr 1
		.amdhsa_user_sgpr_dispatch_id 0
		.amdhsa_user_sgpr_flat_scratch_init 0
		.amdhsa_user_sgpr_private_segment_size 0
		.amdhsa_uses_dynamic_stack 0
		.amdhsa_system_sgpr_private_segment_wavefront_offset 0
		.amdhsa_system_sgpr_workgroup_id_x 1
		.amdhsa_system_sgpr_workgroup_id_y 1
		.amdhsa_system_sgpr_workgroup_id_z 1
		.amdhsa_system_sgpr_workgroup_info 0
		.amdhsa_system_vgpr_workitem_id 1
		.amdhsa_next_free_vgpr 26
		.amdhsa_next_free_sgpr 24
		.amdhsa_reserve_vcc 1
		.amdhsa_reserve_flat_scratch 0
		.amdhsa_float_round_mode_32 0
		.amdhsa_float_round_mode_16_64 0
		.amdhsa_float_denorm_mode_32 3
		.amdhsa_float_denorm_mode_16_64 3
		.amdhsa_dx10_clamp 1
		.amdhsa_ieee_mode 1
		.amdhsa_fp16_overflow 0
		.amdhsa_exception_fp_ieee_invalid_op 0
		.amdhsa_exception_fp_denorm_src 0
		.amdhsa_exception_fp_ieee_div_zero 0
		.amdhsa_exception_fp_ieee_overflow 0
		.amdhsa_exception_fp_ieee_underflow 0
		.amdhsa_exception_fp_ieee_inexact 0
		.amdhsa_exception_int_div_zero 0
	.end_amdhsa_kernel
	.section	.text._ZL13mul_mat_vec_qIL9ggml_type6ELi1ELb0ELb1EEvPKvS2_PKi31ggml_cuda_mm_fusion_args_devicePfj15HIP_vector_typeIjLj3EEjjjS8_jjjS8_jjjj,"axG",@progbits,_ZL13mul_mat_vec_qIL9ggml_type6ELi1ELb0ELb1EEvPKvS2_PKi31ggml_cuda_mm_fusion_args_devicePfj15HIP_vector_typeIjLj3EEjjjS8_jjjS8_jjjj,comdat
.Lfunc_end38:
	.size	_ZL13mul_mat_vec_qIL9ggml_type6ELi1ELb0ELb1EEvPKvS2_PKi31ggml_cuda_mm_fusion_args_devicePfj15HIP_vector_typeIjLj3EEjjjS8_jjjS8_jjjj, .Lfunc_end38-_ZL13mul_mat_vec_qIL9ggml_type6ELi1ELb0ELb1EEvPKvS2_PKi31ggml_cuda_mm_fusion_args_devicePfj15HIP_vector_typeIjLj3EEjjjS8_jjjS8_jjjj
                                        ; -- End function
	.set _ZL13mul_mat_vec_qIL9ggml_type6ELi1ELb0ELb1EEvPKvS2_PKi31ggml_cuda_mm_fusion_args_devicePfj15HIP_vector_typeIjLj3EEjjjS8_jjjS8_jjjj.num_vgpr, 26
	.set _ZL13mul_mat_vec_qIL9ggml_type6ELi1ELb0ELb1EEvPKvS2_PKi31ggml_cuda_mm_fusion_args_devicePfj15HIP_vector_typeIjLj3EEjjjS8_jjjS8_jjjj.num_agpr, 0
	.set _ZL13mul_mat_vec_qIL9ggml_type6ELi1ELb0ELb1EEvPKvS2_PKi31ggml_cuda_mm_fusion_args_devicePfj15HIP_vector_typeIjLj3EEjjjS8_jjjS8_jjjj.numbered_sgpr, 24
	.set _ZL13mul_mat_vec_qIL9ggml_type6ELi1ELb0ELb1EEvPKvS2_PKi31ggml_cuda_mm_fusion_args_devicePfj15HIP_vector_typeIjLj3EEjjjS8_jjjS8_jjjj.num_named_barrier, 0
	.set _ZL13mul_mat_vec_qIL9ggml_type6ELi1ELb0ELb1EEvPKvS2_PKi31ggml_cuda_mm_fusion_args_devicePfj15HIP_vector_typeIjLj3EEjjjS8_jjjS8_jjjj.private_seg_size, 0
	.set _ZL13mul_mat_vec_qIL9ggml_type6ELi1ELb0ELb1EEvPKvS2_PKi31ggml_cuda_mm_fusion_args_devicePfj15HIP_vector_typeIjLj3EEjjjS8_jjjS8_jjjj.uses_vcc, 1
	.set _ZL13mul_mat_vec_qIL9ggml_type6ELi1ELb0ELb1EEvPKvS2_PKi31ggml_cuda_mm_fusion_args_devicePfj15HIP_vector_typeIjLj3EEjjjS8_jjjS8_jjjj.uses_flat_scratch, 0
	.set _ZL13mul_mat_vec_qIL9ggml_type6ELi1ELb0ELb1EEvPKvS2_PKi31ggml_cuda_mm_fusion_args_devicePfj15HIP_vector_typeIjLj3EEjjjS8_jjjS8_jjjj.has_dyn_sized_stack, 0
	.set _ZL13mul_mat_vec_qIL9ggml_type6ELi1ELb0ELb1EEvPKvS2_PKi31ggml_cuda_mm_fusion_args_devicePfj15HIP_vector_typeIjLj3EEjjjS8_jjjS8_jjjj.has_recursion, 0
	.set _ZL13mul_mat_vec_qIL9ggml_type6ELi1ELb0ELb1EEvPKvS2_PKi31ggml_cuda_mm_fusion_args_devicePfj15HIP_vector_typeIjLj3EEjjjS8_jjjS8_jjjj.has_indirect_call, 0
	.section	.AMDGPU.csdata,"",@progbits
; Kernel info:
; codeLenInByte = 1764
; TotalNumSgprs: 28
; NumVgprs: 26
; ScratchSize: 0
; MemoryBound: 0
; FloatMode: 240
; IeeeMode: 1
; LDSByteSize: 512 bytes/workgroup (compile time only)
; SGPRBlocks: 3
; VGPRBlocks: 6
; NumSGPRsForWavesPerEU: 28
; NumVGPRsForWavesPerEU: 26
; Occupancy: 9
; WaveLimiterHint : 0
; COMPUTE_PGM_RSRC2:SCRATCH_EN: 0
; COMPUTE_PGM_RSRC2:USER_SGPR: 6
; COMPUTE_PGM_RSRC2:TRAP_HANDLER: 0
; COMPUTE_PGM_RSRC2:TGID_X_EN: 1
; COMPUTE_PGM_RSRC2:TGID_Y_EN: 1
; COMPUTE_PGM_RSRC2:TGID_Z_EN: 1
; COMPUTE_PGM_RSRC2:TIDIG_COMP_CNT: 1
	.section	.text._ZL13mul_mat_vec_qIL9ggml_type6ELi1ELb1ELb0EEvPKvS2_PKi31ggml_cuda_mm_fusion_args_devicePfj15HIP_vector_typeIjLj3EEjjjS8_jjjS8_jjjj,"axG",@progbits,_ZL13mul_mat_vec_qIL9ggml_type6ELi1ELb1ELb0EEvPKvS2_PKi31ggml_cuda_mm_fusion_args_devicePfj15HIP_vector_typeIjLj3EEjjjS8_jjjS8_jjjj,comdat
	.globl	_ZL13mul_mat_vec_qIL9ggml_type6ELi1ELb1ELb0EEvPKvS2_PKi31ggml_cuda_mm_fusion_args_devicePfj15HIP_vector_typeIjLj3EEjjjS8_jjjS8_jjjj ; -- Begin function _ZL13mul_mat_vec_qIL9ggml_type6ELi1ELb1ELb0EEvPKvS2_PKi31ggml_cuda_mm_fusion_args_devicePfj15HIP_vector_typeIjLj3EEjjjS8_jjjS8_jjjj
	.p2align	8
	.type	_ZL13mul_mat_vec_qIL9ggml_type6ELi1ELb1ELb0EEvPKvS2_PKi31ggml_cuda_mm_fusion_args_devicePfj15HIP_vector_typeIjLj3EEjjjS8_jjjS8_jjjj,@function
_ZL13mul_mat_vec_qIL9ggml_type6ELi1ELb1ELb0EEvPKvS2_PKi31ggml_cuda_mm_fusion_args_devicePfj15HIP_vector_typeIjLj3EEjjjS8_jjjS8_jjjj: ; @_ZL13mul_mat_vec_qIL9ggml_type6ELi1ELb1ELb0EEvPKvS2_PKi31ggml_cuda_mm_fusion_args_devicePfj15HIP_vector_typeIjLj3EEjjjS8_jjjS8_jjjj
; %bb.0:
	s_load_dwordx8 s[16:23], s[4:5], 0x0
	s_load_dwordx4 s[36:39], s[4:5], 0x20
	s_load_dwordx4 s[12:15], s[4:5], 0x40
	;; [unrolled: 1-line block ×3, first 2 shown]
	s_mov_b32 s34, s7
	s_waitcnt lgkmcnt(0)
	s_cmp_lg_u64 s[20:21], 0
	s_cselect_b64 s[0:1], -1, 0
	s_cmp_eq_u64 s[20:21], 0
	s_mov_b64 s[2:3], 0
	s_cbranch_scc1 .LBB39_5
; %bb.1:
	s_mov_b32 s35, 0
	s_lshl_b64 s[10:11], s[34:35], 2
	s_add_u32 s10, s20, s10
	s_addc_u32 s11, s21, s11
	s_load_dword s9, s[10:11], 0x0
	s_load_dword s33, s[4:5], 0x50
	;; [unrolled: 1-line block ×3, first 2 shown]
	s_andn2_b64 vcc, exec, s[2:3]
	s_cbranch_vccnz .LBB39_3
.LBB39_2:
	s_load_dwordx2 s[2:3], s[4:5], 0x5c
	s_waitcnt lgkmcnt(0)
	s_mul_hi_u32 s2, s2, s34
	s_add_i32 s2, s34, s2
	s_lshr_b32 s9, s2, s3
.LBB39_3:
	s_andn2_b64 vcc, exec, s[0:1]
	s_cbranch_vccnz .LBB39_6
; %bb.4:
	s_mul_hi_u32 s0, s13, s34
	s_add_i32 s0, s34, s0
	s_lshr_b32 s0, s0, s14
	s_mul_i32 s0, s0, s15
	s_sub_i32 s40, s34, s0
	s_waitcnt lgkmcnt(0)
	s_mov_b32 s2, s9
	s_branch .LBB39_7
.LBB39_5:
                                        ; implicit-def: $sgpr9
	s_load_dword s33, s[4:5], 0x50
	s_load_dword s35, s[4:5], 0x78
	s_branch .LBB39_2
.LBB39_6:
	s_mov_b32 s2, s34
	s_mov_b32 s40, s34
.LBB39_7:
	s_load_dwordx4 s[28:31], s[4:5], 0x80
	s_cmp_lg_u64 s[22:23], 0
	v_or_b32_e32 v2, v0, v1
	s_cselect_b64 s[0:1], -1, 0
	v_cmp_eq_u32_e32 vcc, 0, v2
	s_mov_b32 s15, 0
	s_and_b64 s[20:21], s[0:1], vcc
	v_mov_b32_e32 v11, 0
	s_mul_i32 s10, s2, s26
	v_lshlrev_b32_e32 v10, 2, v0
	v_mov_b32_e32 v12, 0
	s_and_saveexec_b64 s[2:3], s[20:21]
	s_cbranch_execz .LBB39_9
; %bb.8:
	s_waitcnt lgkmcnt(0)
	s_mul_i32 s14, s30, s8
	s_lshl_b64 s[20:21], s[14:15], 2
	s_add_u32 s7, s22, s20
	s_mov_b32 s11, s15
	s_addc_u32 s13, s23, s21
	s_lshl_b64 s[14:15], s[10:11], 2
	s_add_u32 s11, s7, s14
	s_addc_u32 s13, s13, s15
	s_ashr_i32 s7, s6, 31
	s_lshl_b64 s[14:15], s[6:7], 2
	s_add_u32 s14, s11, s14
	s_addc_u32 s15, s13, s15
	global_load_dword v12, v10, s[14:15]
.LBB39_9:
	s_or_b64 exec, exec, s[2:3]
	s_cmp_lg_u64 s[36:37], 0
	s_cselect_b64 s[14:15], -1, 0
	s_cmp_lg_u64 s[38:39], 0
	s_cselect_b64 s[2:3], -1, 0
	s_and_b64 s[20:21], s[2:3], s[14:15]
	s_and_b64 s[22:23], s[20:21], vcc
	s_and_saveexec_b64 s[20:21], s[22:23]
	s_cbranch_execz .LBB39_11
; %bb.10:
	s_waitcnt lgkmcnt(0)
	s_mul_i32 s22, s30, s8
	s_mov_b32 s23, 0
	s_lshl_b64 s[42:43], s[22:23], 2
	s_add_u32 s7, s38, s42
	s_mov_b32 s11, s23
	s_addc_u32 s13, s39, s43
	s_lshl_b64 s[10:11], s[10:11], 2
	s_add_u32 s22, s7, s10
	s_addc_u32 s13, s13, s11
	s_ashr_i32 s7, s6, 31
	s_lshl_b64 s[10:11], s[6:7], 2
	s_add_u32 s10, s22, s10
	s_addc_u32 s11, s13, s11
	global_load_dword v11, v10, s[10:11]
.LBB39_11:
	s_or_b64 exec, exec, s[20:21]
	v_lshlrev_b32_e32 v2, 6, v1
	v_add_u16_e32 v3, v2, v0
	s_lshr_b32 s7, s12, 5
	v_lshrrev_b16_e32 v15, 1, v3
	v_cndmask_b32_e64 v3, 0, 1, s[14:15]
	v_cmp_gt_u32_e32 vcc, s7, v15
	v_mov_b32_e32 v14, 0
	v_cmp_ne_u32_e64 s[12:13], 1, v3
	v_mov_b32_e32 v13, 0
	s_and_saveexec_b64 s[20:21], vcc
	s_cbranch_execz .LBB39_17
; %bb.12:
	s_mul_hi_u32 s22, s27, s8
	s_add_i32 s22, s8, s22
	s_waitcnt lgkmcnt(0)
	s_lshr_b32 s22, s22, s35
	s_mul_i32 s33, s33, s6
	s_mul_i32 s22, s22, s28
	s_mul_i32 s10, s29, s8
	s_mul_i32 s9, s9, s24
	s_add_i32 s22, s22, s33
	s_add_i32 s9, s9, s22
	s_mul_hi_u32 s23, s10, 36
	s_mul_i32 s10, s10, 36
	s_mul_i32 s11, s40, s25
	s_add_u32 s10, s18, s10
	v_lshlrev_b32_e32 v3, 1, v0
	s_mul_hi_u32 s22, s11, 36
	s_mul_i32 s11, s11, 36
	s_addc_u32 s18, s19, s23
	v_add_u32_e32 v2, v2, v0
	v_and_b32_e32 v3, 2, v3
	s_add_u32 s10, s10, s11
	v_lshlrev_b32_e32 v4, 1, v3
	v_lshlrev_b32_e32 v16, 2, v3
	v_and_b32_e32 v3, 1, v0
	v_lshrrev_b32_e32 v2, 1, v2
	s_addc_u32 s11, s18, s22
	v_lshlrev_b32_e32 v18, 3, v3
	v_mad_u64_u32 v[2:3], s[10:11], v2, 36, s[10:11]
	v_mov_b32_e32 v14, 0
	v_or_b32_e32 v17, 4, v16
	s_mov_b64 s[18:19], 0
	v_lshlrev_b32_e32 v19, 1, v4
	v_mov_b32_e32 v13, 0
	s_branch .LBB39_14
.LBB39_13:                              ;   in Loop: Header=BB39_14 Depth=1
	s_waitcnt vmcnt(2)
	v_ashrrev_i32_e32 v24, v16, v23
	v_lshlrev_b32_e32 v26, 4, v24
	v_lshlrev_b32_e32 v27, 11, v24
	s_waitcnt vmcnt(1)
	v_and_b32_e32 v25, 0xf0f0f0f, v8
	v_and_b32_e32 v26, 16, v26
	;; [unrolled: 1-line block ×3, first 2 shown]
	v_or3_b32 v25, v26, v25, v27
	v_lshlrev_b32_e32 v26, 18, v24
	v_lshlrev_b32_e32 v27, 25, v24
	v_and_b32_e32 v26, 0x100000, v26
	v_and_b32_e32 v27, 0x10000000, v27
	v_or3_b32 v25, v25, v26, v27
	v_dot4_i32_i8 v6, v25, v6, 0
	v_lshrrev_b32_e32 v25, 12, v24
	v_lshrrev_b32_e32 v26, 5, v24
	v_lshlrev_b32_e32 v27, 2, v24
	v_lshrrev_b32_e32 v8, 4, v8
	v_and_b32_e32 v25, 16, v25
	v_and_b32_e32 v26, 0x1000, v26
	;; [unrolled: 1-line block ×3, first 2 shown]
	v_lshlrev_b32_e32 v24, 9, v24
	v_and_b32_e32 v8, 0xf0f0f0f, v8
	v_and_b32_e32 v24, 0x10000000, v24
	v_or3_b32 v25, v26, v25, v27
	v_ashrrev_i32_e32 v23, v17, v23
	v_or3_b32 v8, v25, v24, v8
	v_dot4_i32_i8 v4, v8, v4, v6
	v_lshlrev_b32_e32 v8, 4, v23
	v_lshlrev_b32_e32 v24, 11, v23
	;; [unrolled: 1-line block ×3, first 2 shown]
	v_and_b32_e32 v8, 16, v8
	v_and_b32_e32 v24, 0x1000, v24
	;; [unrolled: 1-line block ×3, first 2 shown]
	v_lshlrev_b32_e32 v26, 25, v23
	v_and_b32_e32 v6, 0xf0f0f0f, v9
	v_and_b32_e32 v26, 0x10000000, v26
	v_or3_b32 v8, v24, v8, v25
	v_or3_b32 v6, v8, v26, v6
	v_dot4_i32_i8 v4, v6, v7, v4
	v_lshrrev_b32_e32 v6, 4, v9
	v_lshrrev_b32_e32 v7, 12, v23
	;; [unrolled: 1-line block ×3, first 2 shown]
	v_lshlrev_b32_e32 v9, 2, v23
	v_and_b32_e32 v7, 16, v7
	v_and_b32_e32 v8, 0x1000, v8
	v_and_b32_e32 v9, 0x100000, v9
	v_lshlrev_b32_e32 v23, 9, v23
	v_and_b32_e32 v6, 0xf0f0f0f, v6
	v_and_b32_e32 v23, 0x10000000, v23
	v_or3_b32 v7, v8, v7, v9
	v_or3_b32 v6, v7, v23, v6
	v_dot4_i32_i8 v4, v6, v5, v4
	v_cvt_f32_i32_e32 v4, v4
	v_add_u32_e32 v15, 64, v15
	v_add_co_u32_e32 v2, vcc, 0x900, v2
	v_fma_f32 v4, v21, v4, -v22
	v_cmp_le_u32_e64 s[10:11], s7, v15
	s_waitcnt vmcnt(0)
	v_fma_mix_f32 v14, v4, v20, v14 op_sel_hi:[0,1,0]
	s_or_b64 s[18:19], s[10:11], s[18:19]
	v_addc_co_u32_e32 v3, vcc, 0, v3, vcc
	s_andn2_b64 exec, exec, s[18:19]
	s_cbranch_execz .LBB39_16
.LBB39_14:                              ; =>This Inner Loop Header: Depth=1
	v_add_u32_e32 v24, s9, v15
	v_add_co_u32_e32 v8, vcc, v2, v18
	v_mad_i64_i32 v[21:22], s[10:11], v24, 22, s[16:17]
	v_addc_co_u32_e32 v9, vcc, 0, v3, vcc
	global_load_dwordx2 v[6:7], v[8:9], off offset:4
	global_load_dwordx2 v[4:5], v[8:9], off offset:20
	global_load_dword v27, v[2:3], off
	v_add_co_u32_e32 v25, vcc, v21, v19
	v_addc_co_u32_e32 v26, vcc, 0, v22, vcc
	global_load_dword v23, v[21:22], off offset:2
	global_load_dwordx2 v[8:9], v[25:26], off offset:6
	global_load_ushort v20, v[21:22], off
	s_and_b64 vcc, exec, s[12:13]
	s_waitcnt vmcnt(3)
	v_cvt_f32_f16_sdwa v22, v27 dst_sel:DWORD dst_unused:UNUSED_PAD src0_sel:WORD_1
	v_cvt_f32_f16_e32 v21, v27
	v_mul_f32_e32 v22, 0x41000000, v22
	s_cbranch_vccnz .LBB39_13
; %bb.15:                               ;   in Loop: Header=BB39_14 Depth=1
	v_mad_i64_i32 v[24:25], s[10:11], v24, 22, s[36:37]
	global_load_dword v30, v[24:25], off offset:2
	v_add_co_u32_e32 v26, vcc, v24, v19
	v_addc_co_u32_e32 v27, vcc, 0, v25, vcc
	global_load_dwordx2 v[28:29], v[26:27], off offset:6
	global_load_ushort v31, v[24:25], off
	s_waitcnt vmcnt(2)
	v_ashrrev_i32_e32 v24, v16, v30
	v_lshlrev_b32_e32 v26, 4, v24
	v_lshlrev_b32_e32 v27, 11, v24
	v_ashrrev_i32_e32 v25, v17, v30
	v_lshrrev_b32_e32 v30, 12, v24
	v_lshrrev_b32_e32 v32, 5, v24
	v_lshlrev_b32_e32 v33, 2, v24
	s_waitcnt vmcnt(1)
	v_and_b32_e32 v34, 0xf0f0f0f, v28
	v_and_b32_e32 v26, 16, v26
	;; [unrolled: 1-line block ×3, first 2 shown]
	v_or3_b32 v26, v26, v34, v27
	v_lshlrev_b32_e32 v27, 4, v25
	v_lshlrev_b32_e32 v34, 11, v25
	v_and_b32_e32 v30, 16, v30
	v_and_b32_e32 v32, 0x1000, v32
	;; [unrolled: 1-line block ×3, first 2 shown]
	v_or3_b32 v30, v32, v30, v33
	v_and_b32_e32 v33, 0xf0f0f0f, v29
	v_and_b32_e32 v27, 16, v27
	;; [unrolled: 1-line block ×3, first 2 shown]
	v_lshrrev_b32_e32 v32, 12, v25
	v_or3_b32 v27, v27, v33, v34
	v_lshrrev_b32_e32 v33, 5, v25
	v_lshlrev_b32_e32 v34, 2, v25
	v_and_b32_e32 v32, 16, v32
	v_and_b32_e32 v33, 0x1000, v33
	;; [unrolled: 1-line block ×3, first 2 shown]
	v_or3_b32 v32, v33, v32, v34
	v_lshlrev_b32_e32 v33, 18, v24
	v_lshlrev_b32_e32 v34, 25, v24
	;; [unrolled: 1-line block ×3, first 2 shown]
	v_and_b32_e32 v33, 0x100000, v33
	v_and_b32_e32 v34, 0x10000000, v34
	v_lshrrev_b32_e32 v28, 4, v28
	v_or3_b32 v26, v26, v33, v34
	v_lshlrev_b32_e32 v33, 18, v25
	v_lshlrev_b32_e32 v34, 25, v25
	v_and_b32_e32 v24, 0x10000000, v24
	v_and_b32_e32 v28, 0xf0f0f0f, v28
	v_lshrrev_b32_e32 v29, 4, v29
	v_lshlrev_b32_e32 v25, 9, v25
	v_and_b32_e32 v33, 0x100000, v33
	v_and_b32_e32 v34, 0x10000000, v34
	v_or3_b32 v24, v30, v24, v28
	v_dot4_i32_i8 v26, v26, v6, 0
	v_and_b32_e32 v25, 0x10000000, v25
	v_and_b32_e32 v29, 0xf0f0f0f, v29
	v_or3_b32 v27, v27, v33, v34
	v_dot4_i32_i8 v24, v24, v4, v26
	v_dot4_i32_i8 v24, v27, v7, v24
	v_or3_b32 v25, v32, v25, v29
	v_dot4_i32_i8 v24, v25, v5, v24
	v_cvt_f32_i32_e32 v24, v24
	v_fma_f32 v24, v21, v24, -v22
	s_waitcnt vmcnt(0)
	v_fma_mix_f32 v13, v24, v31, v13 op_sel_hi:[0,1,0]
	s_branch .LBB39_13
.LBB39_16:
	s_or_b64 exec, exec, s[18:19]
.LBB39_17:
	s_or_b64 exec, exec, s[20:21]
	s_load_dword s7, s[4:5], 0x30
	v_cmp_eq_u32_e64 s[10:11], 0, v1
	v_cmp_ne_u32_e32 vcc, 0, v1
	s_and_saveexec_b64 s[16:17], vcc
	s_cbranch_execz .LBB39_21
; %bb.18:
	s_and_b64 vcc, exec, s[14:15]
	s_cbranch_vccz .LBB39_20
; %bb.19:
	v_lshl_add_u32 v2, v1, 8, v10
	ds_write_b32 v2, v13
.LBB39_20:
	v_lshlrev_b32_e32 v1, 8, v1
	s_waitcnt lgkmcnt(0)
	s_movk_i32 s9, 0xff00
	v_add3_u32 v1, v1, v10, s9
	ds_write_b32 v1, v14
.LBB39_21:
	s_or_b64 exec, exec, s[16:17]
	s_waitcnt vmcnt(0) lgkmcnt(0)
	s_barrier
	s_and_saveexec_b64 s[14:15], s[10:11]
	s_cbranch_execz .LBB39_50
; %bb.22:
	ds_read_b32 v2, v10
	s_and_b64 vcc, exec, s[12:13]
	s_cbranch_vccnz .LBB39_24
; %bb.23:
	ds_read_b32 v1, v10 offset:256
	s_waitcnt lgkmcnt(0)
	v_add_f32_e32 v13, v13, v1
.LBB39_24:
	v_mbcnt_lo_u32_b32 v1, -1, 0
	v_mbcnt_hi_u32_b32 v3, -1, v1
	v_and_b32_e32 v1, 64, v3
	v_add_u32_e32 v4, 64, v1
	v_xor_b32_e32 v1, 32, v3
	v_cmp_lt_i32_e32 vcc, v1, v4
	v_cndmask_b32_e32 v1, v3, v1, vcc
	v_lshlrev_b32_e32 v1, 2, v1
	s_waitcnt lgkmcnt(0)
	v_add_f32_e32 v5, v14, v2
	ds_bpermute_b32 v6, v1, v5
	v_xor_b32_e32 v2, 16, v3
	v_cmp_lt_i32_e32 vcc, v2, v4
	v_cndmask_b32_e32 v2, v3, v2, vcc
	v_lshlrev_b32_e32 v2, 2, v2
	s_waitcnt lgkmcnt(0)
	v_add_f32_e32 v6, v5, v6
	ds_bpermute_b32 v7, v2, v6
	v_xor_b32_e32 v5, 8, v3
	v_cmp_lt_i32_e32 vcc, v5, v4
	v_cndmask_b32_e32 v5, v3, v5, vcc
	v_lshlrev_b32_e32 v5, 2, v5
	s_waitcnt lgkmcnt(0)
	v_add_f32_e32 v7, v6, v7
	ds_bpermute_b32 v8, v5, v7
	v_xor_b32_e32 v6, 4, v3
	v_cmp_lt_i32_e32 vcc, v6, v4
	v_cndmask_b32_e32 v6, v3, v6, vcc
	v_lshlrev_b32_e32 v6, 2, v6
	s_waitcnt lgkmcnt(0)
	v_add_f32_e32 v8, v7, v8
	ds_bpermute_b32 v9, v6, v8
	v_xor_b32_e32 v7, 2, v3
	v_cmp_lt_i32_e32 vcc, v7, v4
	v_cndmask_b32_e32 v7, v3, v7, vcc
	v_lshlrev_b32_e32 v7, 2, v7
	s_waitcnt lgkmcnt(0)
	v_add_f32_e32 v9, v8, v9
	ds_bpermute_b32 v14, v7, v9
	v_xor_b32_e32 v8, 1, v3
	v_cmp_lt_i32_e32 vcc, v8, v4
	v_cndmask_b32_e32 v3, v3, v8, vcc
	v_lshlrev_b32_e32 v8, 2, v3
	s_waitcnt lgkmcnt(0)
	v_add_f32_e32 v3, v9, v14
	ds_bpermute_b32 v4, v8, v3
	s_and_b64 vcc, exec, s[12:13]
	s_cbranch_vccnz .LBB39_26
; %bb.25:
	ds_bpermute_b32 v1, v1, v13
	s_waitcnt lgkmcnt(0)
	v_add_f32_e32 v1, v13, v1
	ds_bpermute_b32 v2, v2, v1
	s_waitcnt lgkmcnt(0)
	v_add_f32_e32 v1, v1, v2
	;; [unrolled: 3-line block ×6, first 2 shown]
.LBB39_26:
	v_cmp_eq_u32_e32 vcc, 0, v0
	s_and_b64 exec, exec, vcc
	s_cbranch_execz .LBB39_50
; %bb.27:
	s_waitcnt lgkmcnt(0)
	v_add_f32_e32 v0, v3, v4
	v_add_f32_e32 v1, v12, v0
	s_and_b64 vcc, exec, s[12:13]
	v_cndmask_b32_e64 v0, v0, v1, s[0:1]
	s_cbranch_vccnz .LBB39_49
; %bb.28:
	v_add_f32_e32 v1, v11, v13
	v_cndmask_b32_e64 v1, v13, v1, s[2:3]
	s_cmp_lt_i32 s7, 2
	s_mov_b64 s[0:1], 0
	s_cbranch_scc1 .LBB39_32
; %bb.29:
	s_cmp_gt_i32 s7, 2
	s_cbranch_scc0 .LBB39_33
; %bb.30:
	s_cmp_eq_u32 s7, 3
	s_cbranch_scc0 .LBB39_34
; %bb.31:
	v_max_f32_e32 v2, v1, v1
	v_min_f32_e32 v2, 0x40e00000, v2
	v_mul_f32_e32 v3, 0xbfd9db23, v2
	s_mov_b32 s2, 0x3fb8aa3b
	v_mul_f32_e32 v4, 0x3fb8aa3b, v3
	v_fma_f32 v5, v3, s2, -v4
	v_rndne_f32_e32 v6, v4
	v_fmac_f32_e32 v5, 0x32a5705f, v3
	v_sub_f32_e32 v4, v4, v6
	v_add_f32_e32 v4, v4, v5
	v_exp_f32_e32 v4, v4
	v_cvt_i32_f32_e32 v5, v6
	s_mov_b32 s2, 0xc2ce8ed0
	v_cmp_ngt_f32_e32 vcc, s2, v3
	s_mov_b32 s2, 0x42b17218
	v_ldexp_f32 v4, v4, v5
	v_cndmask_b32_e32 v4, 0, v4, vcc
	v_mov_b32_e32 v5, 0x7f800000
	v_cmp_nlt_f32_e32 vcc, s2, v3
	v_cndmask_b32_e32 v3, v5, v4, vcc
	v_add_f32_e32 v3, 1.0, v3
	v_div_scale_f32 v4, s[2:3], v3, v3, v2
	v_div_scale_f32 v5, vcc, v2, v3, v2
	s_mov_b64 s[2:3], 0
	v_rcp_f32_e32 v6, v4
	v_fma_f32 v7, -v4, v6, 1.0
	v_fmac_f32_e32 v6, v7, v6
	v_mul_f32_e32 v7, v5, v6
	v_fma_f32 v8, -v4, v7, v5
	v_fmac_f32_e32 v7, v8, v6
	v_fma_f32 v4, -v4, v7, v5
	v_div_fmas_f32 v4, v4, v6, v7
	v_max_f32_e32 v5, v0, v0
	v_min_f32_e32 v5, 0x40e00000, v5
	v_max_f32_e32 v5, 0xc0e00000, v5
	v_add_f32_e32 v5, 1.0, v5
	v_div_fixup_f32 v2, v4, v3, v2
	v_mul_f32_e32 v2, v5, v2
	s_branch .LBB39_35
.LBB39_32:
                                        ; implicit-def: $vgpr2
	s_mov_b64 s[2:3], 0
	s_cbranch_execnz .LBB39_39
	s_branch .LBB39_40
.LBB39_33:
	s_mov_b64 s[10:11], -1
	s_mov_b64 s[2:3], 0
                                        ; implicit-def: $vgpr2
	s_branch .LBB39_36
.LBB39_34:
	s_mov_b64 s[2:3], -1
                                        ; implicit-def: $vgpr2
.LBB39_35:
	s_mov_b64 s[10:11], 0
.LBB39_36:
	s_and_b64 vcc, exec, s[10:11]
	s_cbranch_vccz .LBB39_38
; %bb.37:
	v_mul_f32_e32 v2, 0xbfb8aa3b, v1
	s_mov_b32 s9, 0xbfb8aa3b
	v_rndne_f32_e32 v3, v2
	v_sub_f32_e32 v4, v2, v3
	v_fma_f32 v2, v1, s9, -v2
	v_fmac_f32_e32 v2, 0xb2a5705f, v1
	v_add_f32_e32 v2, v4, v2
	v_exp_f32_e32 v2, v2
	v_cvt_i32_f32_e32 v3, v3
	s_mov_b32 s9, 0x42ce8ed0
	v_cmp_nlt_f32_e32 vcc, s9, v1
	s_mov_b32 s9, 0xc2b17218
	v_ldexp_f32 v2, v2, v3
	v_cndmask_b32_e32 v2, 0, v2, vcc
	v_mov_b32_e32 v3, 0x7f800000
	v_cmp_ngt_f32_e32 vcc, s9, v1
	v_cndmask_b32_e32 v2, v3, v2, vcc
	v_add_f32_e32 v2, 1.0, v2
	v_div_scale_f32 v3, s[10:11], v2, v2, v1
	v_div_scale_f32 v4, vcc, v1, v2, v1
	v_rcp_f32_e32 v5, v3
	v_fma_f32 v6, -v3, v5, 1.0
	v_fmac_f32_e32 v5, v6, v5
	v_mul_f32_e32 v6, v4, v5
	v_fma_f32 v7, -v3, v6, v4
	v_fmac_f32_e32 v6, v7, v5
	v_fma_f32 v3, -v3, v6, v4
	v_div_fmas_f32 v3, v3, v5, v6
	v_div_fixup_f32 v2, v3, v2, v1
	v_mul_f32_e32 v2, v0, v2
.LBB39_38:
	s_branch .LBB39_40
.LBB39_39:
	s_cmp_lg_u32 s7, 1
	s_mov_b64 s[0:1], -1
	s_cselect_b64 s[2:3], -1, 0
.LBB39_40:
	s_andn2_b64 vcc, exec, s[2:3]
	s_cbranch_vccz .LBB39_42
; %bb.41:
	s_andn2_b64 vcc, exec, s[0:1]
	s_cbranch_vccz .LBB39_43
	s_branch .LBB39_48
.LBB39_42:
	v_mul_f32_e32 v2, v1, v0
	s_cbranch_execnz .LBB39_48
.LBB39_43:
	v_mul_f32_e32 v3, 0x3d372713, v1
	v_mul_f32_e32 v2, 0x3f4c422a, v1
	v_fma_f32 v3, v1, v3, 1.0
	v_mul_f32_e32 v2, v2, v3
	s_mov_b32 s0, 0x3f200000
	v_cmp_nlt_f32_e64 s[0:1], |v2|, s0
                                        ; implicit-def: $vgpr3
	s_and_saveexec_b64 s[2:3], s[0:1]
	s_xor_b64 s[0:1], exec, s[2:3]
	s_cbranch_execz .LBB39_45
; %bb.44:
	v_add_f32_e64 v3, |v2|, |v2|
	v_mul_f32_e32 v4, 0x3fb8aa3b, v3
	s_mov_b32 s2, 0x3fb8aa3b
	v_rndne_f32_e32 v5, v4
	v_sub_f32_e32 v6, v4, v5
	v_fma_f32 v4, v3, s2, -v4
	v_fmac_f32_e32 v4, 0x32a5705f, v3
	v_add_f32_e32 v4, v6, v4
	v_exp_f32_e32 v4, v4
	v_cvt_i32_f32_e32 v5, v5
	s_mov_b32 s2, 0xc2ce8ed0
	v_cmp_ngt_f32_e32 vcc, s2, v3
	s_mov_b32 s2, 0x42b17218
	v_ldexp_f32 v4, v4, v5
	v_cndmask_b32_e32 v4, 0, v4, vcc
	v_mov_b32_e32 v5, 0x7f800000
	v_cmp_nlt_f32_e32 vcc, s2, v3
	v_cndmask_b32_e32 v3, v5, v4, vcc
	v_add_f32_e32 v3, 1.0, v3
	v_rcp_f32_e32 v3, v3
	v_fma_f32 v3, v3, -2.0, 1.0
.LBB39_45:
	s_andn2_saveexec_b64 s[0:1], s[0:1]
	s_cbranch_execz .LBB39_47
; %bb.46:
	v_mul_f32_e32 v3, v2, v2
	v_mov_b32_e32 v4, 0x3ca908c9
	v_fmac_f32_e32 v4, 0xbbbac73d, v3
	v_mov_b32_e32 v5, 0xbd5c1c4e
	v_fmac_f32_e32 v5, v3, v4
	;; [unrolled: 2-line block ×4, first 2 shown]
	v_mul_f32_e64 v4, |v2|, v5
	v_fma_f32 v3, v3, v4, |v2|
.LBB39_47:
	s_or_b64 exec, exec, s[0:1]
	s_brev_b32 s0, -2
	v_bfi_b32 v2, s0, v3, v2
	v_mul_f32_e32 v1, 0.5, v1
	v_add_f32_e32 v2, 1.0, v2
	v_mul_f32_e32 v1, v1, v2
	v_mul_f32_e32 v2, v0, v1
.LBB39_48:
	v_mov_b32_e32 v0, v2
.LBB39_49:
	s_load_dwordx2 s[0:1], s[4:5], 0x38
	s_mul_i32 s3, s26, s34
	s_mul_i32 s2, s30, s8
	s_add_i32 s3, s3, s6
	s_add_i32 s2, s3, s2
	s_mov_b32 s3, 0
	s_lshl_b64 s[2:3], s[2:3], 2
	s_waitcnt lgkmcnt(0)
	s_add_u32 s0, s0, s2
	s_addc_u32 s1, s1, s3
	global_store_dword v10, v0, s[0:1]
.LBB39_50:
	s_endpgm
	.section	.rodata,"a",@progbits
	.p2align	6, 0x0
	.amdhsa_kernel _ZL13mul_mat_vec_qIL9ggml_type6ELi1ELb1ELb0EEvPKvS2_PKi31ggml_cuda_mm_fusion_args_devicePfj15HIP_vector_typeIjLj3EEjjjS8_jjjS8_jjjj
		.amdhsa_group_segment_fixed_size 512
		.amdhsa_private_segment_fixed_size 0
		.amdhsa_kernarg_size 144
		.amdhsa_user_sgpr_count 6
		.amdhsa_user_sgpr_private_segment_buffer 1
		.amdhsa_user_sgpr_dispatch_ptr 0
		.amdhsa_user_sgpr_queue_ptr 0
		.amdhsa_user_sgpr_kernarg_segment_ptr 1
		.amdhsa_user_sgpr_dispatch_id 0
		.amdhsa_user_sgpr_flat_scratch_init 0
		.amdhsa_user_sgpr_private_segment_size 0
		.amdhsa_uses_dynamic_stack 0
		.amdhsa_system_sgpr_private_segment_wavefront_offset 0
		.amdhsa_system_sgpr_workgroup_id_x 1
		.amdhsa_system_sgpr_workgroup_id_y 1
		.amdhsa_system_sgpr_workgroup_id_z 1
		.amdhsa_system_sgpr_workgroup_info 0
		.amdhsa_system_vgpr_workitem_id 1
		.amdhsa_next_free_vgpr 35
		.amdhsa_next_free_sgpr 44
		.amdhsa_reserve_vcc 1
		.amdhsa_reserve_flat_scratch 0
		.amdhsa_float_round_mode_32 0
		.amdhsa_float_round_mode_16_64 0
		.amdhsa_float_denorm_mode_32 3
		.amdhsa_float_denorm_mode_16_64 3
		.amdhsa_dx10_clamp 1
		.amdhsa_ieee_mode 1
		.amdhsa_fp16_overflow 0
		.amdhsa_exception_fp_ieee_invalid_op 0
		.amdhsa_exception_fp_denorm_src 0
		.amdhsa_exception_fp_ieee_div_zero 0
		.amdhsa_exception_fp_ieee_overflow 0
		.amdhsa_exception_fp_ieee_underflow 0
		.amdhsa_exception_fp_ieee_inexact 0
		.amdhsa_exception_int_div_zero 0
	.end_amdhsa_kernel
	.section	.text._ZL13mul_mat_vec_qIL9ggml_type6ELi1ELb1ELb0EEvPKvS2_PKi31ggml_cuda_mm_fusion_args_devicePfj15HIP_vector_typeIjLj3EEjjjS8_jjjS8_jjjj,"axG",@progbits,_ZL13mul_mat_vec_qIL9ggml_type6ELi1ELb1ELb0EEvPKvS2_PKi31ggml_cuda_mm_fusion_args_devicePfj15HIP_vector_typeIjLj3EEjjjS8_jjjS8_jjjj,comdat
.Lfunc_end39:
	.size	_ZL13mul_mat_vec_qIL9ggml_type6ELi1ELb1ELb0EEvPKvS2_PKi31ggml_cuda_mm_fusion_args_devicePfj15HIP_vector_typeIjLj3EEjjjS8_jjjS8_jjjj, .Lfunc_end39-_ZL13mul_mat_vec_qIL9ggml_type6ELi1ELb1ELb0EEvPKvS2_PKi31ggml_cuda_mm_fusion_args_devicePfj15HIP_vector_typeIjLj3EEjjjS8_jjjS8_jjjj
                                        ; -- End function
	.set _ZL13mul_mat_vec_qIL9ggml_type6ELi1ELb1ELb0EEvPKvS2_PKi31ggml_cuda_mm_fusion_args_devicePfj15HIP_vector_typeIjLj3EEjjjS8_jjjS8_jjjj.num_vgpr, 35
	.set _ZL13mul_mat_vec_qIL9ggml_type6ELi1ELb1ELb0EEvPKvS2_PKi31ggml_cuda_mm_fusion_args_devicePfj15HIP_vector_typeIjLj3EEjjjS8_jjjS8_jjjj.num_agpr, 0
	.set _ZL13mul_mat_vec_qIL9ggml_type6ELi1ELb1ELb0EEvPKvS2_PKi31ggml_cuda_mm_fusion_args_devicePfj15HIP_vector_typeIjLj3EEjjjS8_jjjS8_jjjj.numbered_sgpr, 44
	.set _ZL13mul_mat_vec_qIL9ggml_type6ELi1ELb1ELb0EEvPKvS2_PKi31ggml_cuda_mm_fusion_args_devicePfj15HIP_vector_typeIjLj3EEjjjS8_jjjS8_jjjj.num_named_barrier, 0
	.set _ZL13mul_mat_vec_qIL9ggml_type6ELi1ELb1ELb0EEvPKvS2_PKi31ggml_cuda_mm_fusion_args_devicePfj15HIP_vector_typeIjLj3EEjjjS8_jjjS8_jjjj.private_seg_size, 0
	.set _ZL13mul_mat_vec_qIL9ggml_type6ELi1ELb1ELb0EEvPKvS2_PKi31ggml_cuda_mm_fusion_args_devicePfj15HIP_vector_typeIjLj3EEjjjS8_jjjS8_jjjj.uses_vcc, 1
	.set _ZL13mul_mat_vec_qIL9ggml_type6ELi1ELb1ELb0EEvPKvS2_PKi31ggml_cuda_mm_fusion_args_devicePfj15HIP_vector_typeIjLj3EEjjjS8_jjjS8_jjjj.uses_flat_scratch, 0
	.set _ZL13mul_mat_vec_qIL9ggml_type6ELi1ELb1ELb0EEvPKvS2_PKi31ggml_cuda_mm_fusion_args_devicePfj15HIP_vector_typeIjLj3EEjjjS8_jjjS8_jjjj.has_dyn_sized_stack, 0
	.set _ZL13mul_mat_vec_qIL9ggml_type6ELi1ELb1ELb0EEvPKvS2_PKi31ggml_cuda_mm_fusion_args_devicePfj15HIP_vector_typeIjLj3EEjjjS8_jjjS8_jjjj.has_recursion, 0
	.set _ZL13mul_mat_vec_qIL9ggml_type6ELi1ELb1ELb0EEvPKvS2_PKi31ggml_cuda_mm_fusion_args_devicePfj15HIP_vector_typeIjLj3EEjjjS8_jjjS8_jjjj.has_indirect_call, 0
	.section	.AMDGPU.csdata,"",@progbits
; Kernel info:
; codeLenInByte = 2892
; TotalNumSgprs: 48
; NumVgprs: 35
; ScratchSize: 0
; MemoryBound: 0
; FloatMode: 240
; IeeeMode: 1
; LDSByteSize: 512 bytes/workgroup (compile time only)
; SGPRBlocks: 5
; VGPRBlocks: 8
; NumSGPRsForWavesPerEU: 48
; NumVGPRsForWavesPerEU: 35
; Occupancy: 7
; WaveLimiterHint : 0
; COMPUTE_PGM_RSRC2:SCRATCH_EN: 0
; COMPUTE_PGM_RSRC2:USER_SGPR: 6
; COMPUTE_PGM_RSRC2:TRAP_HANDLER: 0
; COMPUTE_PGM_RSRC2:TGID_X_EN: 1
; COMPUTE_PGM_RSRC2:TGID_Y_EN: 1
; COMPUTE_PGM_RSRC2:TGID_Z_EN: 1
; COMPUTE_PGM_RSRC2:TIDIG_COMP_CNT: 1
	.section	.text._ZL13mul_mat_vec_qIL9ggml_type6ELi1ELb0ELb0EEvPKvS2_PKi31ggml_cuda_mm_fusion_args_devicePfj15HIP_vector_typeIjLj3EEjjjS8_jjjS8_jjjj,"axG",@progbits,_ZL13mul_mat_vec_qIL9ggml_type6ELi1ELb0ELb0EEvPKvS2_PKi31ggml_cuda_mm_fusion_args_devicePfj15HIP_vector_typeIjLj3EEjjjS8_jjjS8_jjjj,comdat
	.globl	_ZL13mul_mat_vec_qIL9ggml_type6ELi1ELb0ELb0EEvPKvS2_PKi31ggml_cuda_mm_fusion_args_devicePfj15HIP_vector_typeIjLj3EEjjjS8_jjjS8_jjjj ; -- Begin function _ZL13mul_mat_vec_qIL9ggml_type6ELi1ELb0ELb0EEvPKvS2_PKi31ggml_cuda_mm_fusion_args_devicePfj15HIP_vector_typeIjLj3EEjjjS8_jjjS8_jjjj
	.p2align	8
	.type	_ZL13mul_mat_vec_qIL9ggml_type6ELi1ELb0ELb0EEvPKvS2_PKi31ggml_cuda_mm_fusion_args_devicePfj15HIP_vector_typeIjLj3EEjjjS8_jjjS8_jjjj,@function
_ZL13mul_mat_vec_qIL9ggml_type6ELi1ELb0ELb0EEvPKvS2_PKi31ggml_cuda_mm_fusion_args_devicePfj15HIP_vector_typeIjLj3EEjjjS8_jjjS8_jjjj: ; @_ZL13mul_mat_vec_qIL9ggml_type6ELi1ELb0ELb0EEvPKvS2_PKi31ggml_cuda_mm_fusion_args_devicePfj15HIP_vector_typeIjLj3EEjjjS8_jjjS8_jjjj
; %bb.0:
	s_load_dwordx2 s[0:1], s[4:5], 0x10
	s_load_dwordx4 s[16:19], s[4:5], 0x40
	s_mov_b32 s10, s7
	s_mov_b64 s[14:15], 0
	s_waitcnt lgkmcnt(0)
	s_cmp_lg_u64 s[0:1], 0
	s_cselect_b64 s[12:13], -1, 0
	s_cmp_eq_u64 s[0:1], 0
	s_cbranch_scc1 .LBB40_5
; %bb.1:
	s_mov_b32 s11, 0
	s_lshl_b64 s[2:3], s[10:11], 2
	s_add_u32 s0, s0, s2
	s_addc_u32 s1, s1, s3
	s_load_dword s9, s[0:1], 0x0
	s_nop 0
	s_load_dwordx4 s[0:3], s[4:5], 0x68
	s_load_dword s11, s[4:5], 0x50
	s_andn2_b64 vcc, exec, s[14:15]
	s_cbranch_vccnz .LBB40_3
.LBB40_2:
	s_load_dwordx2 s[14:15], s[4:5], 0x5c
	s_waitcnt lgkmcnt(0)
	s_mul_hi_u32 s7, s14, s10
	s_add_i32 s7, s10, s7
	s_lshr_b32 s9, s7, s15
.LBB40_3:
	s_load_dword s22, s[4:5], 0x78
	s_andn2_b64 vcc, exec, s[12:13]
	s_cbranch_vccnz .LBB40_6
; %bb.4:
	s_mul_hi_u32 s7, s17, s10
	s_add_i32 s7, s10, s7
	s_lshr_b32 s7, s7, s18
	s_mul_i32 s7, s7, s19
	s_sub_i32 s23, s10, s7
	s_branch .LBB40_7
.LBB40_5:
                                        ; implicit-def: $sgpr9
	s_load_dwordx4 s[0:3], s[4:5], 0x68
	s_load_dword s11, s[4:5], 0x50
	s_branch .LBB40_2
.LBB40_6:
	s_mov_b32 s23, s10
.LBB40_7:
	s_load_dwordx4 s[12:15], s[4:5], 0x80
	v_lshlrev_b32_e32 v2, 6, v1
	v_add_u16_e32 v3, v2, v0
	s_lshr_b32 s7, s16, 5
	v_lshrrev_b16_e32 v5, 1, v3
	v_cmp_gt_u32_e32 vcc, s7, v5
	v_mov_b32_e32 v4, 0
	s_and_saveexec_b64 s[20:21], vcc
	s_cbranch_execz .LBB40_11
; %bb.8:
	s_waitcnt lgkmcnt(0)
	s_mul_hi_u32 s3, s3, s8
	s_load_dwordx4 s[16:19], s[4:5], 0x0
	s_add_i32 s3, s8, s3
	s_lshr_b32 s3, s3, s22
	s_mul_i32 s11, s11, s6
	s_mul_i32 s3, s3, s12
	;; [unrolled: 1-line block ×4, first 2 shown]
	s_add_i32 s3, s3, s11
	s_add_i32 s3, s0, s3
	s_mul_hi_u32 s0, s13, 36
	s_mul_i32 s13, s13, 36
	s_mul_i32 s1, s23, s1
	s_waitcnt lgkmcnt(0)
	s_add_u32 s11, s18, s13
	s_mul_hi_u32 s9, s1, 36
	s_mul_i32 s1, s1, 36
	s_addc_u32 s12, s19, s0
	v_add_u32_e32 v2, v2, v0
	v_lshlrev_b32_e32 v3, 1, v0
	s_add_u32 s0, s11, s1
	v_and_b32_e32 v3, 2, v3
	v_lshrrev_b32_e32 v2, 1, v2
	s_addc_u32 s1, s12, s9
	v_lshlrev_b32_e32 v9, 1, v3
	v_lshlrev_b32_e32 v6, 2, v3
	v_mad_u64_u32 v[2:3], s[0:1], v2, 36, s[0:1]
	v_and_b32_e32 v8, 1, v0
	v_mov_b32_e32 v4, 0
	v_or_b32_e32 v7, 4, v6
	v_lshlrev_b32_e32 v8, 3, v8
	s_mov_b64 s[12:13], 0
	v_lshlrev_b32_e32 v9, 1, v9
.LBB40_9:                               ; =>This Inner Loop Header: Depth=1
	v_add_u32_e32 v10, s3, v5
	v_mad_i64_i32 v[10:11], s[0:1], v10, 22, s[16:17]
	v_add_u32_e32 v5, 64, v5
	v_cmp_le_u32_e64 s[0:1], s7, v5
	global_load_dword v16, v[10:11], off offset:2
	v_add_co_u32_e32 v12, vcc, v10, v9
	v_addc_co_u32_e32 v13, vcc, 0, v11, vcc
	global_load_dwordx2 v[14:15], v[12:13], off offset:6
	global_load_ushort v18, v[10:11], off
	s_or_b64 s[12:13], s[0:1], s[12:13]
	s_waitcnt vmcnt(2)
	v_ashrrev_i32_e32 v12, v6, v16
	v_lshlrev_b32_e32 v11, 4, v12
	v_lshlrev_b32_e32 v13, 11, v12
	v_lshrrev_b32_e32 v17, 12, v12
	v_lshrrev_b32_e32 v20, 5, v12
	v_lshlrev_b32_e32 v21, 2, v12
	v_ashrrev_i32_e32 v19, v7, v16
	s_waitcnt vmcnt(1)
	v_and_b32_e32 v10, 0xf0f0f0f, v14
	v_and_b32_e32 v11, 16, v11
	;; [unrolled: 1-line block ×6, first 2 shown]
	v_or3_b32 v10, v11, v10, v13
	v_lshlrev_b32_e32 v11, 4, v19
	v_lshlrev_b32_e32 v13, 11, v19
	v_or3_b32 v17, v20, v17, v21
	v_lshlrev_b32_e32 v20, 18, v19
	v_and_b32_e32 v11, 16, v11
	v_and_b32_e32 v13, 0x1000, v13
	;; [unrolled: 1-line block ×3, first 2 shown]
	v_lshrrev_b32_e32 v21, 12, v19
	v_or3_b32 v13, v13, v11, v20
	v_lshrrev_b32_e32 v11, 5, v19
	v_lshlrev_b32_e32 v20, 2, v19
	v_and_b32_e32 v21, 16, v21
	v_and_b32_e32 v11, 0x1000, v11
	;; [unrolled: 1-line block ×3, first 2 shown]
	v_lshlrev_b32_e32 v16, 18, v12
	v_or3_b32 v20, v11, v21, v20
	v_lshlrev_b32_e32 v11, 25, v12
	v_and_b32_e32 v16, 0x100000, v16
	v_and_b32_e32 v11, 0x10000000, v11
	v_lshrrev_b32_e32 v14, 4, v14
	v_lshlrev_b32_e32 v12, 9, v12
	v_or3_b32 v21, v10, v16, v11
	v_add_co_u32_e32 v10, vcc, v2, v8
	v_and_b32_e32 v14, 0xf0f0f0f, v14
	v_and_b32_e32 v12, 0x10000000, v12
	v_lshlrev_b32_e32 v16, 25, v19
	v_addc_co_u32_e32 v11, vcc, 0, v3, vcc
	v_or3_b32 v14, v17, v12, v14
	v_and_b32_e32 v12, 0xf0f0f0f, v15
	v_and_b32_e32 v16, 0x10000000, v16
	v_or3_b32 v22, v13, v16, v12
	global_load_dwordx2 v[12:13], v[10:11], off offset:4
	global_load_dwordx2 v[16:17], v[10:11], off offset:20
	v_lshrrev_b32_e32 v10, 4, v15
	global_load_dword v11, v[2:3], off
	v_lshlrev_b32_e32 v15, 9, v19
	v_and_b32_e32 v10, 0xf0f0f0f, v10
	v_and_b32_e32 v15, 0x10000000, v15
	v_or3_b32 v10, v20, v15, v10
	v_add_co_u32_e32 v2, vcc, 0x900, v2
	v_addc_co_u32_e32 v3, vcc, 0, v3, vcc
	s_waitcnt vmcnt(2)
	v_dot4_i32_i8 v12, v21, v12, 0
	s_waitcnt vmcnt(1)
	v_dot4_i32_i8 v12, v14, v16, v12
	v_dot4_i32_i8 v12, v22, v13, v12
	s_waitcnt vmcnt(0)
	v_cvt_f32_f16_sdwa v15, v11 dst_sel:DWORD dst_unused:UNUSED_PAD src0_sel:WORD_1
	v_dot4_i32_i8 v10, v10, v17, v12
	v_cvt_f32_i32_e32 v10, v10
	v_mul_f32_e32 v12, 0xc1000000, v15
	v_fma_mix_f32 v10, v11, v10, v12 op_sel_hi:[1,0,0]
	v_fma_mix_f32 v4, v10, v18, v4 op_sel_hi:[0,1,0]
	s_andn2_b64 exec, exec, s[12:13]
	s_cbranch_execnz .LBB40_9
; %bb.10:
	s_or_b64 exec, exec, s[12:13]
.LBB40_11:
	s_or_b64 exec, exec, s[20:21]
	v_cmp_eq_u32_e32 vcc, 0, v1
	s_waitcnt lgkmcnt(0)
	v_cmp_ne_u32_e64 s[0:1], 0, v1
	v_lshlrev_b32_e32 v2, 2, v0
	s_and_saveexec_b64 s[12:13], s[0:1]
; %bb.12:
	v_lshlrev_b32_e32 v1, 8, v1
	s_movk_i32 s0, 0xff00
	v_add3_u32 v1, v1, v2, s0
	ds_write_b32 v1, v4
; %bb.13:
	s_or_b64 exec, exec, s[12:13]
	s_waitcnt lgkmcnt(0)
	s_barrier
	s_and_saveexec_b64 s[0:1], vcc
	s_cbranch_execz .LBB40_16
; %bb.14:
	ds_read_b32 v1, v2
	v_mbcnt_lo_u32_b32 v2, -1, 0
	v_mbcnt_hi_u32_b32 v2, -1, v2
	v_and_b32_e32 v3, 64, v2
	v_add_u32_e32 v3, 64, v3
	v_xor_b32_e32 v5, 32, v2
	v_cmp_lt_i32_e32 vcc, v5, v3
	v_cndmask_b32_e32 v5, v2, v5, vcc
	v_lshlrev_b32_e32 v5, 2, v5
	s_waitcnt lgkmcnt(0)
	v_add_f32_e32 v1, v4, v1
	ds_bpermute_b32 v4, v5, v1
	v_xor_b32_e32 v5, 16, v2
	v_cmp_lt_i32_e32 vcc, v5, v3
	v_cndmask_b32_e32 v5, v2, v5, vcc
	v_lshlrev_b32_e32 v5, 2, v5
	s_waitcnt lgkmcnt(0)
	v_add_f32_e32 v1, v1, v4
	ds_bpermute_b32 v4, v5, v1
	;; [unrolled: 7-line block ×6, first 2 shown]
	s_mov_b32 s1, 0
	v_cmp_eq_u32_e32 vcc, 0, v0
	s_and_b64 exec, exec, vcc
	s_cbranch_execz .LBB40_16
; %bb.15:
	s_load_dwordx2 s[4:5], s[4:5], 0x38
	s_mul_i32 s0, s2, s10
	s_add_i32 s0, s0, s6
	s_mul_i32 s2, s14, s8
	s_add_i32 s0, s0, s2
	s_lshl_b64 s[0:1], s[0:1], 2
	s_waitcnt lgkmcnt(0)
	s_add_u32 s0, s4, s0
	v_add_f32_e32 v0, v1, v2
	s_addc_u32 s1, s5, s1
	v_mov_b32_e32 v1, 0
	global_store_dword v1, v0, s[0:1]
.LBB40_16:
	s_endpgm
	.section	.rodata,"a",@progbits
	.p2align	6, 0x0
	.amdhsa_kernel _ZL13mul_mat_vec_qIL9ggml_type6ELi1ELb0ELb0EEvPKvS2_PKi31ggml_cuda_mm_fusion_args_devicePfj15HIP_vector_typeIjLj3EEjjjS8_jjjS8_jjjj
		.amdhsa_group_segment_fixed_size 256
		.amdhsa_private_segment_fixed_size 0
		.amdhsa_kernarg_size 144
		.amdhsa_user_sgpr_count 6
		.amdhsa_user_sgpr_private_segment_buffer 1
		.amdhsa_user_sgpr_dispatch_ptr 0
		.amdhsa_user_sgpr_queue_ptr 0
		.amdhsa_user_sgpr_kernarg_segment_ptr 1
		.amdhsa_user_sgpr_dispatch_id 0
		.amdhsa_user_sgpr_flat_scratch_init 0
		.amdhsa_user_sgpr_private_segment_size 0
		.amdhsa_uses_dynamic_stack 0
		.amdhsa_system_sgpr_private_segment_wavefront_offset 0
		.amdhsa_system_sgpr_workgroup_id_x 1
		.amdhsa_system_sgpr_workgroup_id_y 1
		.amdhsa_system_sgpr_workgroup_id_z 1
		.amdhsa_system_sgpr_workgroup_info 0
		.amdhsa_system_vgpr_workitem_id 1
		.amdhsa_next_free_vgpr 23
		.amdhsa_next_free_sgpr 24
		.amdhsa_reserve_vcc 1
		.amdhsa_reserve_flat_scratch 0
		.amdhsa_float_round_mode_32 0
		.amdhsa_float_round_mode_16_64 0
		.amdhsa_float_denorm_mode_32 3
		.amdhsa_float_denorm_mode_16_64 3
		.amdhsa_dx10_clamp 1
		.amdhsa_ieee_mode 1
		.amdhsa_fp16_overflow 0
		.amdhsa_exception_fp_ieee_invalid_op 0
		.amdhsa_exception_fp_denorm_src 0
		.amdhsa_exception_fp_ieee_div_zero 0
		.amdhsa_exception_fp_ieee_overflow 0
		.amdhsa_exception_fp_ieee_underflow 0
		.amdhsa_exception_fp_ieee_inexact 0
		.amdhsa_exception_int_div_zero 0
	.end_amdhsa_kernel
	.section	.text._ZL13mul_mat_vec_qIL9ggml_type6ELi1ELb0ELb0EEvPKvS2_PKi31ggml_cuda_mm_fusion_args_devicePfj15HIP_vector_typeIjLj3EEjjjS8_jjjS8_jjjj,"axG",@progbits,_ZL13mul_mat_vec_qIL9ggml_type6ELi1ELb0ELb0EEvPKvS2_PKi31ggml_cuda_mm_fusion_args_devicePfj15HIP_vector_typeIjLj3EEjjjS8_jjjS8_jjjj,comdat
.Lfunc_end40:
	.size	_ZL13mul_mat_vec_qIL9ggml_type6ELi1ELb0ELb0EEvPKvS2_PKi31ggml_cuda_mm_fusion_args_devicePfj15HIP_vector_typeIjLj3EEjjjS8_jjjS8_jjjj, .Lfunc_end40-_ZL13mul_mat_vec_qIL9ggml_type6ELi1ELb0ELb0EEvPKvS2_PKi31ggml_cuda_mm_fusion_args_devicePfj15HIP_vector_typeIjLj3EEjjjS8_jjjS8_jjjj
                                        ; -- End function
	.set _ZL13mul_mat_vec_qIL9ggml_type6ELi1ELb0ELb0EEvPKvS2_PKi31ggml_cuda_mm_fusion_args_devicePfj15HIP_vector_typeIjLj3EEjjjS8_jjjS8_jjjj.num_vgpr, 23
	.set _ZL13mul_mat_vec_qIL9ggml_type6ELi1ELb0ELb0EEvPKvS2_PKi31ggml_cuda_mm_fusion_args_devicePfj15HIP_vector_typeIjLj3EEjjjS8_jjjS8_jjjj.num_agpr, 0
	.set _ZL13mul_mat_vec_qIL9ggml_type6ELi1ELb0ELb0EEvPKvS2_PKi31ggml_cuda_mm_fusion_args_devicePfj15HIP_vector_typeIjLj3EEjjjS8_jjjS8_jjjj.numbered_sgpr, 24
	.set _ZL13mul_mat_vec_qIL9ggml_type6ELi1ELb0ELb0EEvPKvS2_PKi31ggml_cuda_mm_fusion_args_devicePfj15HIP_vector_typeIjLj3EEjjjS8_jjjS8_jjjj.num_named_barrier, 0
	.set _ZL13mul_mat_vec_qIL9ggml_type6ELi1ELb0ELb0EEvPKvS2_PKi31ggml_cuda_mm_fusion_args_devicePfj15HIP_vector_typeIjLj3EEjjjS8_jjjS8_jjjj.private_seg_size, 0
	.set _ZL13mul_mat_vec_qIL9ggml_type6ELi1ELb0ELb0EEvPKvS2_PKi31ggml_cuda_mm_fusion_args_devicePfj15HIP_vector_typeIjLj3EEjjjS8_jjjS8_jjjj.uses_vcc, 1
	.set _ZL13mul_mat_vec_qIL9ggml_type6ELi1ELb0ELb0EEvPKvS2_PKi31ggml_cuda_mm_fusion_args_devicePfj15HIP_vector_typeIjLj3EEjjjS8_jjjS8_jjjj.uses_flat_scratch, 0
	.set _ZL13mul_mat_vec_qIL9ggml_type6ELi1ELb0ELb0EEvPKvS2_PKi31ggml_cuda_mm_fusion_args_devicePfj15HIP_vector_typeIjLj3EEjjjS8_jjjS8_jjjj.has_dyn_sized_stack, 0
	.set _ZL13mul_mat_vec_qIL9ggml_type6ELi1ELb0ELb0EEvPKvS2_PKi31ggml_cuda_mm_fusion_args_devicePfj15HIP_vector_typeIjLj3EEjjjS8_jjjS8_jjjj.has_recursion, 0
	.set _ZL13mul_mat_vec_qIL9ggml_type6ELi1ELb0ELb0EEvPKvS2_PKi31ggml_cuda_mm_fusion_args_devicePfj15HIP_vector_typeIjLj3EEjjjS8_jjjS8_jjjj.has_indirect_call, 0
	.section	.AMDGPU.csdata,"",@progbits
; Kernel info:
; codeLenInByte = 1232
; TotalNumSgprs: 28
; NumVgprs: 23
; ScratchSize: 0
; MemoryBound: 0
; FloatMode: 240
; IeeeMode: 1
; LDSByteSize: 256 bytes/workgroup (compile time only)
; SGPRBlocks: 3
; VGPRBlocks: 5
; NumSGPRsForWavesPerEU: 28
; NumVGPRsForWavesPerEU: 23
; Occupancy: 10
; WaveLimiterHint : 0
; COMPUTE_PGM_RSRC2:SCRATCH_EN: 0
; COMPUTE_PGM_RSRC2:USER_SGPR: 6
; COMPUTE_PGM_RSRC2:TRAP_HANDLER: 0
; COMPUTE_PGM_RSRC2:TGID_X_EN: 1
; COMPUTE_PGM_RSRC2:TGID_Y_EN: 1
; COMPUTE_PGM_RSRC2:TGID_Z_EN: 1
; COMPUTE_PGM_RSRC2:TIDIG_COMP_CNT: 1
	.section	.text._ZL13mul_mat_vec_qIL9ggml_type6ELi2ELb0ELb0EEvPKvS2_PKi31ggml_cuda_mm_fusion_args_devicePfj15HIP_vector_typeIjLj3EEjjjS8_jjjS8_jjjj,"axG",@progbits,_ZL13mul_mat_vec_qIL9ggml_type6ELi2ELb0ELb0EEvPKvS2_PKi31ggml_cuda_mm_fusion_args_devicePfj15HIP_vector_typeIjLj3EEjjjS8_jjjS8_jjjj,comdat
	.globl	_ZL13mul_mat_vec_qIL9ggml_type6ELi2ELb0ELb0EEvPKvS2_PKi31ggml_cuda_mm_fusion_args_devicePfj15HIP_vector_typeIjLj3EEjjjS8_jjjS8_jjjj ; -- Begin function _ZL13mul_mat_vec_qIL9ggml_type6ELi2ELb0ELb0EEvPKvS2_PKi31ggml_cuda_mm_fusion_args_devicePfj15HIP_vector_typeIjLj3EEjjjS8_jjjS8_jjjj
	.p2align	8
	.type	_ZL13mul_mat_vec_qIL9ggml_type6ELi2ELb0ELb0EEvPKvS2_PKi31ggml_cuda_mm_fusion_args_devicePfj15HIP_vector_typeIjLj3EEjjjS8_jjjS8_jjjj,@function
_ZL13mul_mat_vec_qIL9ggml_type6ELi2ELb0ELb0EEvPKvS2_PKi31ggml_cuda_mm_fusion_args_devicePfj15HIP_vector_typeIjLj3EEjjjS8_jjjS8_jjjj: ; @_ZL13mul_mat_vec_qIL9ggml_type6ELi2ELb0ELb0EEvPKvS2_PKi31ggml_cuda_mm_fusion_args_devicePfj15HIP_vector_typeIjLj3EEjjjS8_jjjS8_jjjj
; %bb.0:
	v_lshlrev_b32_e32 v2, 6, v1
	s_load_dword s9, s[4:5], 0x40
	s_load_dwordx4 s[0:3], s[4:5], 0x50
	s_load_dword s25, s[4:5], 0x60
	s_load_dwordx4 s[12:15], s[4:5], 0x68
	;; [unrolled: 2-line block ×3, first 2 shown]
	v_add_u16_e32 v2, v2, v0
	s_waitcnt lgkmcnt(0)
	s_lshr_b32 s9, s9, 5
	v_lshrrev_b16_e32 v8, 1, v2
	s_lshl_b32 s6, s6, 1
	v_cmp_gt_u32_e32 vcc, s9, v8
	v_mov_b32_e32 v6, 0
	v_mov_b32_e32 v7, 0
	;; [unrolled: 1-line block ×4, first 2 shown]
	s_and_saveexec_b64 s[10:11], vcc
	s_cbranch_execz .LBB41_4
; %bb.1:
	s_load_dwordx4 s[20:23], s[4:5], 0x0
	s_mul_i32 s17, s17, s8
	s_mul_hi_u32 s19, s17, 36
	s_mul_i32 s17, s17, 36
	s_mul_i32 s13, s13, s7
	s_waitcnt lgkmcnt(0)
	s_add_u32 s17, s22, s17
	s_addc_u32 s19, s23, s19
	s_mul_hi_u32 s23, s13, 36
	s_mul_i32 s13, s13, 36
	s_add_u32 s22, s17, s13
	s_mul_hi_u32 s3, s3, s7
	s_addc_u32 s23, s19, s23
	s_add_i32 s3, s7, s3
	s_lshr_b32 s3, s3, s25
	s_mul_i32 s3, s3, s12
	s_mul_hi_u32 s12, s15, s8
	s_add_i32 s12, s8, s12
	s_lshr_b32 s12, s12, s24
	s_mul_i32 s12, s12, s16
	v_lshlrev_b32_e32 v3, 1, v0
	s_add_i32 s13, s6, 1
	v_and_b32_e32 v5, 2, v3
	s_add_i32 s12, s12, s3
	s_mul_i32 s3, s6, s0
	s_mul_i32 s0, s0, s13
	v_and_b32_e32 v3, 1, v0
	v_lshrrev_b16_e32 v2, 1, v2
	s_add_i32 s3, s12, s3
	s_add_i32 s0, s12, s0
	v_lshlrev_b32_e32 v11, 3, v3
	v_mad_u64_u32 v[2:3], s[12:13], v2, 36, s[22:23]
	v_lshlrev_b32_e32 v6, 1, v5
	v_lshlrev_b32_e32 v9, 2, v5
	v_mov_b32_e32 v4, 0
	v_or_b32_e32 v10, 4, v9
	s_mov_b64 s[12:13], 0
	v_lshlrev_b32_e32 v12, 1, v6
	v_lshlrev_b32_e32 v13, 2, v5
	v_mov_b32_e32 v5, 0
	v_mov_b32_e32 v6, 0
	v_mov_b32_e32 v7, 0
.LBB41_2:                               ; =>This Inner Loop Header: Depth=1
	v_add_u32_e32 v14, s3, v8
	v_mad_i64_i32 v[14:15], s[16:17], v14, 22, s[20:21]
	v_add_u32_e32 v16, s0, v8
	v_mad_i64_i32 v[16:17], s[16:17], v16, 22, s[20:21]
	global_load_dword v26, v[14:15], off offset:2
	v_add_co_u32_e32 v18, vcc, v14, v12
	v_addc_co_u32_e32 v19, vcc, 0, v15, vcc
	v_add_co_u32_e32 v20, vcc, v16, v12
	v_addc_co_u32_e32 v21, vcc, 0, v17, vcc
	global_load_dwordx2 v[22:23], v[18:19], off offset:6
	global_load_dword v27, v[16:17], off offset:2
	global_load_dwordx2 v[24:25], v[20:21], off offset:6
	global_load_ushort v28, v[16:17], off
	global_load_ushort v29, v[14:15], off
	s_waitcnt vmcnt(5)
	v_ashrrev_i32_e32 v14, v9, v26
	v_ashrrev_i32_e32 v18, v10, v26
	v_lshlrev_b32_e32 v15, 4, v14
	v_lshlrev_b32_e32 v16, 11, v14
	v_lshrrev_b32_e32 v19, 12, v14
	v_lshrrev_b32_e32 v20, 5, v14
	v_lshlrev_b32_e32 v21, 2, v14
	v_lshlrev_b32_e32 v26, 4, v18
	;; [unrolled: 1-line block ×4, first 2 shown]
	s_waitcnt vmcnt(4)
	v_and_b32_e32 v17, 0xf0f0f0f, v22
	s_waitcnt vmcnt(3)
	v_ashrrev_i32_e32 v32, v9, v27
	v_and_b32_e32 v15, 16, v15
	v_and_b32_e32 v16, 0x1000, v16
	;; [unrolled: 1-line block ×8, first 2 shown]
	v_or3_b32 v15, v15, v17, v16
	v_lshrrev_b32_e32 v17, 12, v18
	v_or3_b32 v19, v20, v19, v21
	v_lshrrev_b32_e32 v20, 5, v18
	v_lshlrev_b32_e32 v21, 2, v18
	v_or3_b32 v26, v30, v26, v31
	v_lshlrev_b32_e32 v30, 4, v32
	v_lshlrev_b32_e32 v31, 11, v32
	s_waitcnt vmcnt(2)
	v_and_b32_e32 v33, 0xf0f0f0f, v24
	v_and_b32_e32 v17, 16, v17
	;; [unrolled: 1-line block ×6, first 2 shown]
	v_or3_b32 v20, v20, v17, v21
	v_lshrrev_b32_e32 v17, 12, v32
	v_lshrrev_b32_e32 v21, 5, v32
	v_or3_b32 v30, v30, v33, v31
	v_lshlrev_b32_e32 v31, 2, v32
	v_ashrrev_i32_e32 v27, v10, v27
	v_and_b32_e32 v17, 16, v17
	v_and_b32_e32 v21, 0x1000, v21
	;; [unrolled: 1-line block ×3, first 2 shown]
	v_lshlrev_b32_e32 v33, 4, v27
	v_or3_b32 v21, v21, v17, v31
	v_lshlrev_b32_e32 v17, 11, v27
	v_lshlrev_b32_e32 v31, 18, v27
	v_and_b32_e32 v33, 16, v33
	v_and_b32_e32 v17, 0x1000, v17
	;; [unrolled: 1-line block ×3, first 2 shown]
	v_lshlrev_b32_e32 v16, 18, v14
	v_or3_b32 v31, v17, v33, v31
	v_lshlrev_b32_e32 v17, 25, v14
	v_and_b32_e32 v16, 0x100000, v16
	v_and_b32_e32 v17, 0x10000000, v17
	v_lshlrev_b32_e32 v14, 9, v14
	v_lshrrev_b32_e32 v22, 4, v22
	v_or3_b32 v33, v15, v16, v17
	v_lshlrev_b32_e32 v15, 25, v18
	v_and_b32_e32 v16, 0xf0f0f0f, v23
	v_and_b32_e32 v17, 0xf0f0f0f, v22
	;; [unrolled: 1-line block ×4, first 2 shown]
	v_or3_b32 v22, v19, v14, v17
	v_lshrrev_b32_e32 v14, 12, v27
	v_lshrrev_b32_e32 v17, 5, v27
	v_or3_b32 v26, v26, v15, v16
	v_lshlrev_b32_e32 v15, 2, v27
	v_and_b32_e32 v14, 16, v14
	v_and_b32_e32 v16, 0x1000, v17
	;; [unrolled: 1-line block ×3, first 2 shown]
	v_or3_b32 v34, v16, v14, v15
	v_add_u32_e32 v16, s1, v8
	v_lshrrev_b32_e32 v19, 4, v23
	v_mad_u64_u32 v[16:17], s[16:17], v16, 36, s[22:23]
	v_lshlrev_b32_e32 v18, 9, v18
	v_and_b32_e32 v19, 0xf0f0f0f, v19
	v_and_b32_e32 v18, 0x10000000, v18
	v_add_co_u32_e32 v14, vcc, v2, v11
	v_or3_b32 v23, v20, v18, v19
	v_lshlrev_b32_e32 v18, 18, v32
	v_lshlrev_b32_e32 v19, 25, v32
	v_addc_co_u32_e32 v15, vcc, 0, v3, vcc
	v_and_b32_e32 v18, 0x100000, v18
	v_and_b32_e32 v19, 0x10000000, v19
	v_or3_b32 v30, v30, v18, v19
	v_add_co_u32_e32 v18, vcc, v16, v13
	v_addc_co_u32_e32 v19, vcc, 0, v17, vcc
	global_load_dword v35, v[16:17], off
	v_lshrrev_b32_e32 v16, 4, v24
	v_lshlrev_b32_e32 v17, 9, v32
	v_and_b32_e32 v16, 0xf0f0f0f, v16
	v_and_b32_e32 v17, 0x10000000, v17
	v_or3_b32 v24, v21, v17, v16
	v_lshlrev_b32_e32 v17, 25, v27
	v_and_b32_e32 v16, 0xf0f0f0f, v25
	v_and_b32_e32 v17, 0x10000000, v17
	v_or3_b32 v31, v31, v17, v16
	global_load_dwordx2 v[16:17], v[14:15], off offset:4
	global_load_dwordx2 v[20:21], v[14:15], off offset:20
	v_lshrrev_b32_e32 v14, 4, v25
	v_lshlrev_b32_e32 v15, 9, v27
	v_and_b32_e32 v14, 0xf0f0f0f, v14
	v_and_b32_e32 v15, 0x10000000, v15
	v_or3_b32 v27, v34, v15, v14
	v_add_u32_e32 v8, 64, v8
	s_waitcnt vmcnt(1)
	v_dot4_i32_i8 v25, v33, v16, 0
	v_dot4_i32_i8 v15, v30, v16, 0
	s_waitcnt vmcnt(0)
	v_dot4_i32_i8 v14, v22, v20, v25
	v_dot4_i32_i8 v15, v24, v20, v15
	;; [unrolled: 1-line block ×4, first 2 shown]
	global_load_dwordx2 v[14:15], v[18:19], off offset:4
	global_load_dwordx2 v[16:17], v[18:19], off offset:20
	global_load_dword v32, v[2:3], off
	v_add_co_u32_e32 v2, vcc, 0x900, v2
	v_addc_co_u32_e32 v3, vcc, 0, v3, vcc
	v_cmp_le_u32_e32 vcc, s9, v8
	s_or_b64 s[12:13], vcc, s[12:13]
	s_waitcnt vmcnt(2)
	v_dot4_i32_i8 v18, v33, v14, 0
	v_dot4_i32_i8 v14, v30, v14, 0
	s_waitcnt vmcnt(1)
	v_dot4_i32_i8 v18, v22, v16, v18
	v_dot4_i32_i8 v14, v24, v16, v14
	;; [unrolled: 1-line block ×4, first 2 shown]
	s_waitcnt vmcnt(0)
	v_cvt_f32_f16_sdwa v19, v32 dst_sel:DWORD dst_unused:UNUSED_PAD src0_sel:WORD_1
	v_cvt_f32_f16_sdwa v16, v35 dst_sel:DWORD dst_unused:UNUSED_PAD src0_sel:WORD_1
	v_dot4_i32_i8 v15, v23, v21, v20
	v_dot4_i32_i8 v18, v23, v17, v18
	;; [unrolled: 1-line block ×4, first 2 shown]
	v_cvt_f32_i32_e32 v15, v15
	v_cvt_f32_i32_e32 v17, v18
	;; [unrolled: 1-line block ×4, first 2 shown]
	v_mul_f32_e32 v19, 0x41000000, v19
	v_mul_f32_e32 v16, 0x41000000, v16
	v_fma_mix_f32 v15, v32, v15, -v19 op_sel_hi:[1,0,0]
	v_fma_mix_f32 v17, v35, v17, -v16 op_sel_hi:[1,0,0]
	v_fma_mix_f32 v18, v32, v18, -v19 op_sel_hi:[1,0,0]
	v_fma_mix_f32 v14, v35, v14, -v16 op_sel_hi:[1,0,0]
	v_fma_mix_f32 v7, v15, v29, v7 op_sel_hi:[0,1,0]
	v_fma_mix_f32 v5, v17, v29, v5 op_sel_hi:[0,1,0]
	;; [unrolled: 1-line block ×4, first 2 shown]
	s_andn2_b64 exec, exec, s[12:13]
	s_cbranch_execnz .LBB41_2
; %bb.3:
	s_or_b64 exec, exec, s[12:13]
.LBB41_4:
	s_or_b64 exec, exec, s[10:11]
	v_cmp_eq_u32_e32 vcc, 0, v1
	v_cmp_ne_u32_e64 s[0:1], 0, v1
	v_lshlrev_b32_e32 v2, 2, v0
	s_and_saveexec_b64 s[10:11], s[0:1]
	s_cbranch_execz .LBB41_6
; %bb.5:
	v_lshl_or_b32 v1, v1, 10, v2
	v_add_u32_e32 v1, 0xfffffc00, v1
	ds_write2st64_b32 v1, v7, v6 offset1:1
	ds_write2st64_b32 v1, v5, v4 offset0:2 offset1:3
.LBB41_6:
	s_or_b64 exec, exec, s[10:11]
	s_waitcnt lgkmcnt(0)
	s_barrier
	s_and_saveexec_b64 s[0:1], vcc
	s_cbranch_execz .LBB41_11
; %bb.7:
	v_mbcnt_lo_u32_b32 v1, -1, 0
	v_mbcnt_hi_u32_b32 v11, -1, v1
	ds_read2st64_b32 v[9:10], v2 offset1:1
	v_and_b32_e32 v1, 64, v11
	v_add_u32_e32 v12, 64, v1
	v_xor_b32_e32 v1, 32, v11
	v_cmp_lt_i32_e32 vcc, v1, v12
	v_cndmask_b32_e32 v1, v11, v1, vcc
	v_lshlrev_b32_e32 v1, 2, v1
	s_waitcnt lgkmcnt(0)
	v_add_f32_e32 v7, v9, v7
	v_add_f32_e32 v10, v10, v6
	ds_bpermute_b32 v9, v1, v7
	ds_bpermute_b32 v14, v1, v10
	v_xor_b32_e32 v3, 16, v11
	v_cmp_lt_i32_e32 vcc, v3, v12
	v_cndmask_b32_e32 v3, v11, v3, vcc
	v_lshlrev_b32_e32 v3, 2, v3
	s_waitcnt lgkmcnt(1)
	v_add_f32_e32 v7, v7, v9
	s_waitcnt lgkmcnt(0)
	v_add_f32_e32 v10, v10, v14
	ds_bpermute_b32 v9, v3, v7
	ds_bpermute_b32 v14, v3, v10
	v_xor_b32_e32 v8, 8, v11
	v_cmp_lt_i32_e32 vcc, v8, v12
	v_cndmask_b32_e32 v8, v11, v8, vcc
	v_lshlrev_b32_e32 v8, 2, v8
	s_waitcnt lgkmcnt(1)
	v_add_f32_e32 v9, v7, v9
	s_waitcnt lgkmcnt(0)
	;; [unrolled: 10-line block ×3, first 2 shown]
	v_add_f32_e32 v10, v10, v14
	ds_bpermute_b32 v15, v6, v9
	ds_bpermute_b32 v14, v6, v10
	v_xor_b32_e32 v13, 2, v11
	v_cmp_lt_i32_e32 vcc, v13, v12
	v_cndmask_b32_e32 v13, v11, v13, vcc
	v_lshlrev_b32_e32 v7, 2, v13
	v_xor_b32_e32 v13, 1, v11
	v_cmp_lt_i32_e32 vcc, v13, v12
	s_waitcnt lgkmcnt(1)
	v_add_f32_e32 v9, v9, v15
	s_waitcnt lgkmcnt(0)
	v_add_f32_e32 v10, v10, v14
	v_cndmask_b32_e32 v11, v11, v13, vcc
	ds_bpermute_b32 v12, v7, v9
	ds_bpermute_b32 v13, v7, v10
	s_load_dwordx2 s[0:1], s[4:5], 0x38
	s_mul_i32 s4, s14, s7
	v_lshlrev_b32_e32 v11, 2, v11
	s_waitcnt lgkmcnt(0)
	v_add_f32_e32 v9, v9, v12
	v_add_f32_e32 v10, v10, v13
	s_mul_i32 s3, s18, s8
	s_add_i32 s4, s4, s6
	ds_bpermute_b32 v12, v11, v9
	ds_bpermute_b32 v13, v11, v10
	s_add_i32 s4, s4, s3
	s_mov_b32 s5, 0
	s_lshl_b64 s[4:5], s[4:5], 2
	s_add_u32 s4, s0, s4
	v_add_u32_e32 v14, s6, v0
	s_addc_u32 s5, s1, s5
	v_cmp_gt_u32_e32 vcc, 2, v0
	v_cmp_gt_u32_e64 s[0:1], s2, v14
	s_and_b64 s[0:1], vcc, s[0:1]
	s_waitcnt lgkmcnt(1)
	v_add_f32_e32 v9, v9, v12
	s_waitcnt lgkmcnt(0)
	v_add_f32_e32 v10, v10, v13
	s_and_saveexec_b64 s[6:7], s[0:1]
	s_cbranch_execz .LBB41_9
; %bb.8:
	v_cmp_eq_u32_e32 vcc, 1, v0
	v_cndmask_b32_e32 v12, v9, v10, vcc
	v_cmp_eq_u32_e32 vcc, 2, v0
	v_cndmask_b32_e32 v12, v12, v5, vcc
	;; [unrolled: 2-line block ×3, first 2 shown]
	global_store_dword v2, v12, s[4:5]
.LBB41_9:
	s_or_b64 exec, exec, s[6:7]
	ds_read2st64_b32 v[12:13], v2 offset0:2 offset1:3
	s_waitcnt lgkmcnt(0)
	v_add_f32_e32 v2, v12, v5
	v_add_f32_e32 v4, v13, v4
	ds_bpermute_b32 v5, v1, v2
	ds_bpermute_b32 v1, v1, v4
	s_waitcnt lgkmcnt(1)
	v_add_f32_e32 v2, v2, v5
	s_waitcnt lgkmcnt(0)
	v_add_f32_e32 v1, v4, v1
	ds_bpermute_b32 v4, v3, v2
	ds_bpermute_b32 v3, v3, v1
	s_waitcnt lgkmcnt(1)
	v_add_f32_e32 v2, v2, v4
	s_waitcnt lgkmcnt(0)
	v_add_f32_e32 v1, v1, v3
	ds_bpermute_b32 v3, v8, v2
	ds_bpermute_b32 v4, v8, v1
	s_waitcnt lgkmcnt(1)
	v_add_f32_e32 v2, v2, v3
	s_waitcnt lgkmcnt(0)
	v_add_f32_e32 v1, v1, v4
	ds_bpermute_b32 v3, v6, v2
	ds_bpermute_b32 v4, v6, v1
	s_waitcnt lgkmcnt(1)
	v_add_f32_e32 v2, v2, v3
	s_waitcnt lgkmcnt(0)
	v_add_f32_e32 v3, v1, v4
	ds_bpermute_b32 v1, v7, v2
	ds_bpermute_b32 v4, v7, v3
	s_waitcnt lgkmcnt(1)
	v_add_f32_e32 v1, v2, v1
	s_waitcnt lgkmcnt(0)
	v_add_f32_e32 v2, v3, v4
	ds_bpermute_b32 v3, v11, v1
	ds_bpermute_b32 v4, v11, v2
	s_and_b64 exec, exec, s[0:1]
	s_cbranch_execz .LBB41_11
; %bb.10:
	s_waitcnt lgkmcnt(1)
	v_add_f32_e32 v1, v1, v3
	v_add_u32_e32 v3, 2, v0
	v_cmp_eq_u32_e32 vcc, 1, v3
	s_waitcnt lgkmcnt(0)
	v_add_f32_e32 v2, v2, v4
	v_cndmask_b32_e32 v4, v9, v10, vcc
	v_cmp_eq_u32_e32 vcc, 2, v3
	v_cndmask_b32_e32 v1, v4, v1, vcc
	v_cmp_eq_u32_e32 vcc, 3, v3
	v_cndmask_b32_e32 v2, v1, v2, vcc
	v_add_u32_e32 v0, s2, v0
	v_mov_b32_e32 v1, 0
	v_lshlrev_b64 v[0:1], 2, v[0:1]
	v_mov_b32_e32 v3, s5
	v_add_co_u32_e32 v0, vcc, s4, v0
	v_addc_co_u32_e32 v1, vcc, v3, v1, vcc
	global_store_dword v[0:1], v2, off
.LBB41_11:
	s_endpgm
	.section	.rodata,"a",@progbits
	.p2align	6, 0x0
	.amdhsa_kernel _ZL13mul_mat_vec_qIL9ggml_type6ELi2ELb0ELb0EEvPKvS2_PKi31ggml_cuda_mm_fusion_args_devicePfj15HIP_vector_typeIjLj3EEjjjS8_jjjS8_jjjj
		.amdhsa_group_segment_fixed_size 1024
		.amdhsa_private_segment_fixed_size 0
		.amdhsa_kernarg_size 144
		.amdhsa_user_sgpr_count 6
		.amdhsa_user_sgpr_private_segment_buffer 1
		.amdhsa_user_sgpr_dispatch_ptr 0
		.amdhsa_user_sgpr_queue_ptr 0
		.amdhsa_user_sgpr_kernarg_segment_ptr 1
		.amdhsa_user_sgpr_dispatch_id 0
		.amdhsa_user_sgpr_flat_scratch_init 0
		.amdhsa_user_sgpr_private_segment_size 0
		.amdhsa_uses_dynamic_stack 0
		.amdhsa_system_sgpr_private_segment_wavefront_offset 0
		.amdhsa_system_sgpr_workgroup_id_x 1
		.amdhsa_system_sgpr_workgroup_id_y 1
		.amdhsa_system_sgpr_workgroup_id_z 1
		.amdhsa_system_sgpr_workgroup_info 0
		.amdhsa_system_vgpr_workitem_id 1
		.amdhsa_next_free_vgpr 36
		.amdhsa_next_free_sgpr 26
		.amdhsa_reserve_vcc 1
		.amdhsa_reserve_flat_scratch 0
		.amdhsa_float_round_mode_32 0
		.amdhsa_float_round_mode_16_64 0
		.amdhsa_float_denorm_mode_32 3
		.amdhsa_float_denorm_mode_16_64 3
		.amdhsa_dx10_clamp 1
		.amdhsa_ieee_mode 1
		.amdhsa_fp16_overflow 0
		.amdhsa_exception_fp_ieee_invalid_op 0
		.amdhsa_exception_fp_denorm_src 0
		.amdhsa_exception_fp_ieee_div_zero 0
		.amdhsa_exception_fp_ieee_overflow 0
		.amdhsa_exception_fp_ieee_underflow 0
		.amdhsa_exception_fp_ieee_inexact 0
		.amdhsa_exception_int_div_zero 0
	.end_amdhsa_kernel
	.section	.text._ZL13mul_mat_vec_qIL9ggml_type6ELi2ELb0ELb0EEvPKvS2_PKi31ggml_cuda_mm_fusion_args_devicePfj15HIP_vector_typeIjLj3EEjjjS8_jjjS8_jjjj,"axG",@progbits,_ZL13mul_mat_vec_qIL9ggml_type6ELi2ELb0ELb0EEvPKvS2_PKi31ggml_cuda_mm_fusion_args_devicePfj15HIP_vector_typeIjLj3EEjjjS8_jjjS8_jjjj,comdat
.Lfunc_end41:
	.size	_ZL13mul_mat_vec_qIL9ggml_type6ELi2ELb0ELb0EEvPKvS2_PKi31ggml_cuda_mm_fusion_args_devicePfj15HIP_vector_typeIjLj3EEjjjS8_jjjS8_jjjj, .Lfunc_end41-_ZL13mul_mat_vec_qIL9ggml_type6ELi2ELb0ELb0EEvPKvS2_PKi31ggml_cuda_mm_fusion_args_devicePfj15HIP_vector_typeIjLj3EEjjjS8_jjjS8_jjjj
                                        ; -- End function
	.set _ZL13mul_mat_vec_qIL9ggml_type6ELi2ELb0ELb0EEvPKvS2_PKi31ggml_cuda_mm_fusion_args_devicePfj15HIP_vector_typeIjLj3EEjjjS8_jjjS8_jjjj.num_vgpr, 36
	.set _ZL13mul_mat_vec_qIL9ggml_type6ELi2ELb0ELb0EEvPKvS2_PKi31ggml_cuda_mm_fusion_args_devicePfj15HIP_vector_typeIjLj3EEjjjS8_jjjS8_jjjj.num_agpr, 0
	.set _ZL13mul_mat_vec_qIL9ggml_type6ELi2ELb0ELb0EEvPKvS2_PKi31ggml_cuda_mm_fusion_args_devicePfj15HIP_vector_typeIjLj3EEjjjS8_jjjS8_jjjj.numbered_sgpr, 26
	.set _ZL13mul_mat_vec_qIL9ggml_type6ELi2ELb0ELb0EEvPKvS2_PKi31ggml_cuda_mm_fusion_args_devicePfj15HIP_vector_typeIjLj3EEjjjS8_jjjS8_jjjj.num_named_barrier, 0
	.set _ZL13mul_mat_vec_qIL9ggml_type6ELi2ELb0ELb0EEvPKvS2_PKi31ggml_cuda_mm_fusion_args_devicePfj15HIP_vector_typeIjLj3EEjjjS8_jjjS8_jjjj.private_seg_size, 0
	.set _ZL13mul_mat_vec_qIL9ggml_type6ELi2ELb0ELb0EEvPKvS2_PKi31ggml_cuda_mm_fusion_args_devicePfj15HIP_vector_typeIjLj3EEjjjS8_jjjS8_jjjj.uses_vcc, 1
	.set _ZL13mul_mat_vec_qIL9ggml_type6ELi2ELb0ELb0EEvPKvS2_PKi31ggml_cuda_mm_fusion_args_devicePfj15HIP_vector_typeIjLj3EEjjjS8_jjjS8_jjjj.uses_flat_scratch, 0
	.set _ZL13mul_mat_vec_qIL9ggml_type6ELi2ELb0ELb0EEvPKvS2_PKi31ggml_cuda_mm_fusion_args_devicePfj15HIP_vector_typeIjLj3EEjjjS8_jjjS8_jjjj.has_dyn_sized_stack, 0
	.set _ZL13mul_mat_vec_qIL9ggml_type6ELi2ELb0ELb0EEvPKvS2_PKi31ggml_cuda_mm_fusion_args_devicePfj15HIP_vector_typeIjLj3EEjjjS8_jjjS8_jjjj.has_recursion, 0
	.set _ZL13mul_mat_vec_qIL9ggml_type6ELi2ELb0ELb0EEvPKvS2_PKi31ggml_cuda_mm_fusion_args_devicePfj15HIP_vector_typeIjLj3EEjjjS8_jjjS8_jjjj.has_indirect_call, 0
	.section	.AMDGPU.csdata,"",@progbits
; Kernel info:
; codeLenInByte = 2128
; TotalNumSgprs: 30
; NumVgprs: 36
; ScratchSize: 0
; MemoryBound: 0
; FloatMode: 240
; IeeeMode: 1
; LDSByteSize: 1024 bytes/workgroup (compile time only)
; SGPRBlocks: 3
; VGPRBlocks: 8
; NumSGPRsForWavesPerEU: 30
; NumVGPRsForWavesPerEU: 36
; Occupancy: 7
; WaveLimiterHint : 0
; COMPUTE_PGM_RSRC2:SCRATCH_EN: 0
; COMPUTE_PGM_RSRC2:USER_SGPR: 6
; COMPUTE_PGM_RSRC2:TRAP_HANDLER: 0
; COMPUTE_PGM_RSRC2:TGID_X_EN: 1
; COMPUTE_PGM_RSRC2:TGID_Y_EN: 1
; COMPUTE_PGM_RSRC2:TGID_Z_EN: 1
; COMPUTE_PGM_RSRC2:TIDIG_COMP_CNT: 1
	.section	.text._ZL13mul_mat_vec_qIL9ggml_type6ELi3ELb0ELb0EEvPKvS2_PKi31ggml_cuda_mm_fusion_args_devicePfj15HIP_vector_typeIjLj3EEjjjS8_jjjS8_jjjj,"axG",@progbits,_ZL13mul_mat_vec_qIL9ggml_type6ELi3ELb0ELb0EEvPKvS2_PKi31ggml_cuda_mm_fusion_args_devicePfj15HIP_vector_typeIjLj3EEjjjS8_jjjS8_jjjj,comdat
	.globl	_ZL13mul_mat_vec_qIL9ggml_type6ELi3ELb0ELb0EEvPKvS2_PKi31ggml_cuda_mm_fusion_args_devicePfj15HIP_vector_typeIjLj3EEjjjS8_jjjS8_jjjj ; -- Begin function _ZL13mul_mat_vec_qIL9ggml_type6ELi3ELb0ELb0EEvPKvS2_PKi31ggml_cuda_mm_fusion_args_devicePfj15HIP_vector_typeIjLj3EEjjjS8_jjjS8_jjjj
	.p2align	8
	.type	_ZL13mul_mat_vec_qIL9ggml_type6ELi3ELb0ELb0EEvPKvS2_PKi31ggml_cuda_mm_fusion_args_devicePfj15HIP_vector_typeIjLj3EEjjjS8_jjjS8_jjjj,@function
_ZL13mul_mat_vec_qIL9ggml_type6ELi3ELb0ELb0EEvPKvS2_PKi31ggml_cuda_mm_fusion_args_devicePfj15HIP_vector_typeIjLj3EEjjjS8_jjjS8_jjjj: ; @_ZL13mul_mat_vec_qIL9ggml_type6ELi3ELb0ELb0EEvPKvS2_PKi31ggml_cuda_mm_fusion_args_devicePfj15HIP_vector_typeIjLj3EEjjjS8_jjjS8_jjjj
; %bb.0:
	v_lshlrev_b32_e32 v2, 6, v1
	s_load_dword s9, s[4:5], 0x40
	s_load_dwordx4 s[0:3], s[4:5], 0x50
	s_load_dword s25, s[4:5], 0x60
	s_load_dwordx4 s[12:15], s[4:5], 0x68
	;; [unrolled: 2-line block ×3, first 2 shown]
	v_add_u16_e32 v2, v2, v0
	s_waitcnt lgkmcnt(0)
	s_lshr_b32 s9, s9, 5
	v_lshrrev_b16_e32 v10, 1, v2
	v_mov_b32_e32 v6, 0
	s_lshl_b32 s6, s6, 1
	v_cmp_gt_u32_e32 vcc, s9, v10
	v_mov_b32_e32 v7, v6
	v_mov_b32_e32 v8, v6
	;; [unrolled: 1-line block ×5, first 2 shown]
	s_and_saveexec_b64 s[10:11], vcc
	s_cbranch_execz .LBB42_4
; %bb.1:
	s_load_dwordx4 s[20:23], s[4:5], 0x0
	s_mul_i32 s17, s17, s8
	s_mul_hi_u32 s19, s17, 36
	s_mul_i32 s17, s17, 36
	s_mul_i32 s13, s13, s7
	s_waitcnt lgkmcnt(0)
	s_add_u32 s17, s22, s17
	s_addc_u32 s19, s23, s19
	s_mul_hi_u32 s23, s13, 36
	s_mul_i32 s13, s13, 36
	s_add_u32 s22, s17, s13
	s_mul_hi_u32 s3, s3, s7
	s_addc_u32 s23, s19, s23
	s_add_i32 s3, s7, s3
	s_lshr_b32 s3, s3, s25
	s_mul_i32 s3, s3, s12
	s_mul_hi_u32 s12, s15, s8
	s_add_i32 s12, s8, s12
	s_lshr_b32 s12, s12, s24
	s_mul_i32 s12, s12, s16
	v_lshlrev_b32_e32 v3, 1, v0
	s_add_i32 s13, s6, 1
	v_and_b32_e32 v5, 2, v3
	s_add_i32 s12, s12, s3
	s_mul_i32 s3, s6, s0
	s_mul_i32 s0, s0, s13
	v_and_b32_e32 v3, 1, v0
	v_lshrrev_b16_e32 v2, 1, v2
	s_add_i32 s3, s12, s3
	s_add_i32 s0, s12, s0
	v_lshlrev_b32_e32 v13, 3, v3
	v_mad_u64_u32 v[2:3], s[12:13], v2, 36, s[22:23]
	v_lshlrev_b32_e32 v6, 1, v5
	v_mov_b32_e32 v4, 0
	v_lshlrev_b32_e32 v11, 2, v5
	v_or_b32_e32 v12, 4, v11
	s_lshl_b32 s15, s1, 1
	s_mov_b64 s[12:13], 0
	v_lshlrev_b32_e32 v14, 1, v6
	v_lshlrev_b32_e32 v15, 2, v5
	v_mov_b32_e32 v5, v4
	v_mov_b32_e32 v6, v4
	;; [unrolled: 1-line block ×5, first 2 shown]
.LBB42_2:                               ; =>This Inner Loop Header: Depth=1
	v_add_co_u32_e32 v16, vcc, v2, v13
	v_addc_co_u32_e32 v17, vcc, 0, v3, vcc
	global_load_dwordx2 v[24:25], v[16:17], off offset:4
	global_load_dwordx2 v[26:27], v[16:17], off offset:20
	global_load_dword v30, v[2:3], off
	v_add_u32_e32 v18, s3, v10
	s_waitcnt vmcnt(0)
	v_cvt_f32_f16_sdwa v16, v30 dst_sel:DWORD dst_unused:UNUSED_PAD src0_sel:WORD_1
	v_mul_f32_e32 v31, 0x41000000, v16
	v_mad_i64_i32 v[16:17], s[16:17], v18, 22, s[20:21]
	global_load_dword v21, v[16:17], off offset:2
	v_add_co_u32_e32 v18, vcc, v16, v14
	v_addc_co_u32_e32 v19, vcc, 0, v17, vcc
	global_load_dwordx2 v[19:20], v[18:19], off offset:6
	s_nop 0
	global_load_ushort v16, v[16:17], off
	s_waitcnt vmcnt(2)
	v_ashrrev_i32_e32 v18, v11, v21
	v_lshlrev_b32_e32 v22, 4, v18
	v_lshlrev_b32_e32 v23, 11, v18
	v_and_b32_e32 v22, 16, v22
	v_and_b32_e32 v23, 0x1000, v23
	s_waitcnt vmcnt(1)
	v_and_b32_e32 v17, 0xf0f0f0f, v19
	v_or3_b32 v17, v22, v17, v23
	v_lshlrev_b32_e32 v22, 18, v18
	v_lshlrev_b32_e32 v23, 25, v18
	v_and_b32_e32 v22, 0x100000, v22
	v_and_b32_e32 v23, 0x10000000, v23
	v_or3_b32 v17, v17, v22, v23
	v_lshrrev_b32_e32 v23, 12, v18
	v_lshrrev_b32_e32 v28, 5, v18
	v_lshlrev_b32_e32 v29, 2, v18
	v_lshrrev_b32_e32 v19, 4, v19
	v_and_b32_e32 v23, 16, v23
	v_and_b32_e32 v28, 0x1000, v28
	;; [unrolled: 1-line block ×3, first 2 shown]
	v_lshlrev_b32_e32 v18, 9, v18
	v_ashrrev_i32_e32 v21, v12, v21
	v_and_b32_e32 v19, 0xf0f0f0f, v19
	v_and_b32_e32 v18, 0x10000000, v18
	v_or3_b32 v23, v28, v23, v29
	v_or3_b32 v18, v23, v18, v19
	v_lshlrev_b32_e32 v23, 4, v21
	v_lshlrev_b32_e32 v28, 11, v21
	;; [unrolled: 1-line block ×3, first 2 shown]
	v_and_b32_e32 v23, 16, v23
	v_and_b32_e32 v28, 0x1000, v28
	;; [unrolled: 1-line block ×3, first 2 shown]
	v_lshlrev_b32_e32 v32, 25, v21
	v_and_b32_e32 v19, 0xf0f0f0f, v20
	v_and_b32_e32 v32, 0x10000000, v32
	v_or3_b32 v23, v28, v23, v29
	v_or3_b32 v19, v23, v32, v19
	v_lshrrev_b32_e32 v23, 12, v21
	v_lshrrev_b32_e32 v28, 5, v21
	v_lshlrev_b32_e32 v29, 2, v21
	v_dot4_i32_i8 v22, v17, v24, 0
	v_lshrrev_b32_e32 v20, 4, v20
	v_and_b32_e32 v23, 16, v23
	v_and_b32_e32 v28, 0x1000, v28
	;; [unrolled: 1-line block ×3, first 2 shown]
	v_lshlrev_b32_e32 v21, 9, v21
	v_dot4_i32_i8 v22, v18, v26, v22
	v_and_b32_e32 v20, 0xf0f0f0f, v20
	v_and_b32_e32 v21, 0x10000000, v21
	v_or3_b32 v23, v28, v23, v29
	v_dot4_i32_i8 v22, v19, v25, v22
	v_or3_b32 v20, v23, v21, v20
	v_dot4_i32_i8 v21, v20, v27, v22
	v_cvt_f32_i32_e32 v21, v21
	v_fma_mix_f32 v21, v30, v21, -v31 op_sel_hi:[1,0,0]
	s_waitcnt vmcnt(0)
	v_fma_mix_f32 v9, v21, v16, v9 op_sel_hi:[0,1,0]
	v_add_u32_e32 v21, s0, v10
	v_mad_i64_i32 v[21:22], s[16:17], v21, 22, s[20:21]
	global_load_dword v23, v[21:22], off offset:2
	v_add_co_u32_e32 v28, vcc, v21, v14
	v_addc_co_u32_e32 v29, vcc, 0, v22, vcc
	global_load_dwordx2 v[28:29], v[28:29], off offset:6
	s_waitcnt vmcnt(1)
	v_ashrrev_i32_e32 v32, v11, v23
	global_load_ushort v21, v[21:22], off
	v_ashrrev_i32_e32 v33, v12, v23
	v_lshlrev_b32_e32 v23, 4, v32
	v_lshlrev_b32_e32 v34, 11, v32
	s_waitcnt vmcnt(1)
	v_and_b32_e32 v22, 0xf0f0f0f, v28
	v_and_b32_e32 v23, 16, v23
	;; [unrolled: 1-line block ×3, first 2 shown]
	v_or3_b32 v22, v23, v22, v34
	v_lshlrev_b32_e32 v23, 18, v32
	v_lshlrev_b32_e32 v34, 25, v32
	v_and_b32_e32 v23, 0x100000, v23
	v_and_b32_e32 v34, 0x10000000, v34
	v_or3_b32 v22, v22, v23, v34
	v_lshrrev_b32_e32 v23, 4, v28
	v_lshrrev_b32_e32 v28, 12, v32
	;; [unrolled: 1-line block ×3, first 2 shown]
	v_lshlrev_b32_e32 v35, 2, v32
	v_and_b32_e32 v28, 16, v28
	v_and_b32_e32 v34, 0x1000, v34
	;; [unrolled: 1-line block ×3, first 2 shown]
	v_lshlrev_b32_e32 v32, 9, v32
	v_and_b32_e32 v23, 0xf0f0f0f, v23
	v_and_b32_e32 v32, 0x10000000, v32
	v_or3_b32 v28, v34, v28, v35
	v_or3_b32 v23, v28, v32, v23
	v_lshlrev_b32_e32 v28, 4, v33
	v_lshlrev_b32_e32 v32, 11, v33
	;; [unrolled: 1-line block ×3, first 2 shown]
	v_dot4_i32_i8 v24, v22, v24, 0
	v_and_b32_e32 v28, 16, v28
	v_and_b32_e32 v32, 0x1000, v32
	;; [unrolled: 1-line block ×3, first 2 shown]
	v_lshlrev_b32_e32 v35, 25, v33
	v_dot4_i32_i8 v26, v23, v26, v24
	v_and_b32_e32 v24, 0xf0f0f0f, v29
	v_and_b32_e32 v35, 0x10000000, v35
	v_or3_b32 v28, v32, v28, v34
	v_or3_b32 v24, v28, v35, v24
	v_dot4_i32_i8 v25, v24, v25, v26
	v_lshrrev_b32_e32 v26, 4, v29
	v_lshrrev_b32_e32 v28, 12, v33
	v_lshrrev_b32_e32 v29, 5, v33
	v_lshlrev_b32_e32 v32, 2, v33
	v_and_b32_e32 v28, 16, v28
	v_and_b32_e32 v29, 0x1000, v29
	;; [unrolled: 1-line block ×3, first 2 shown]
	v_lshlrev_b32_e32 v33, 9, v33
	v_and_b32_e32 v26, 0xf0f0f0f, v26
	v_and_b32_e32 v33, 0x10000000, v33
	v_or3_b32 v28, v29, v28, v32
	v_or3_b32 v33, v28, v33, v26
	v_dot4_i32_i8 v25, v33, v27, v25
	v_cvt_f32_i32_e32 v25, v25
	v_fma_mix_f32 v25, v30, v25, -v31 op_sel_hi:[1,0,0]
	s_waitcnt vmcnt(0)
	v_fma_mix_f32 v8, v25, v21, v8 op_sel_hi:[0,1,0]
	v_add_u32_e32 v25, s1, v10
	v_mad_u64_u32 v[25:26], s[16:17], v25, 36, s[22:23]
	v_add_co_u32_e32 v27, vcc, v25, v15
	v_addc_co_u32_e32 v28, vcc, 0, v26, vcc
	global_load_dwordx2 v[29:30], v[27:28], off offset:4
	global_load_dwordx2 v[31:32], v[27:28], off offset:20
	global_load_dword v34, v[25:26], off
	s_waitcnt vmcnt(2)
	v_dot4_i32_i8 v26, v17, v29, 0
	s_waitcnt vmcnt(1)
	v_dot4_i32_i8 v26, v18, v31, v26
	v_dot4_i32_i8 v26, v19, v30, v26
	s_waitcnt vmcnt(0)
	v_cvt_f32_f16_sdwa v25, v34 dst_sel:DWORD dst_unused:UNUSED_PAD src0_sel:WORD_1
	v_dot4_i32_i8 v26, v20, v32, v26
	v_cvt_f32_i32_e32 v26, v26
	v_mul_f32_e32 v25, 0x41000000, v25
	v_fma_mix_f32 v26, v34, v26, -v25 op_sel_hi:[1,0,0]
	v_fma_mix_f32 v7, v26, v16, v7 op_sel_hi:[0,1,0]
	v_dot4_i32_i8 v26, v22, v29, 0
	v_dot4_i32_i8 v26, v23, v31, v26
	;; [unrolled: 1-line block ×4, first 2 shown]
	v_cvt_f32_i32_e32 v26, v26
	v_fma_mix_f32 v25, v34, v26, -v25 op_sel_hi:[1,0,0]
	v_fma_mix_f32 v6, v25, v21, v6 op_sel_hi:[0,1,0]
	v_add_u32_e32 v25, s15, v10
	v_mad_u64_u32 v[25:26], s[16:17], v25, 36, s[22:23]
	v_add_u32_e32 v10, 64, v10
	v_add_co_u32_e32 v27, vcc, v25, v15
	v_addc_co_u32_e32 v28, vcc, 0, v26, vcc
	global_load_dwordx2 v[29:30], v[27:28], off offset:4
	global_load_dwordx2 v[31:32], v[27:28], off offset:20
	global_load_dword v34, v[25:26], off
	v_add_co_u32_e32 v2, vcc, 0x900, v2
	v_addc_co_u32_e32 v3, vcc, 0, v3, vcc
	v_cmp_le_u32_e32 vcc, s9, v10
	s_or_b64 s[12:13], vcc, s[12:13]
	s_waitcnt vmcnt(2)
	v_dot4_i32_i8 v17, v17, v29, 0
	s_waitcnt vmcnt(1)
	v_dot4_i32_i8 v17, v18, v31, v17
	v_dot4_i32_i8 v17, v19, v30, v17
	s_waitcnt vmcnt(0)
	v_cvt_f32_f16_sdwa v25, v34 dst_sel:DWORD dst_unused:UNUSED_PAD src0_sel:WORD_1
	v_dot4_i32_i8 v17, v20, v32, v17
	v_cvt_f32_i32_e32 v17, v17
	v_mul_f32_e32 v25, 0x41000000, v25
	v_fma_mix_f32 v17, v34, v17, -v25 op_sel_hi:[1,0,0]
	v_fma_mix_f32 v5, v17, v16, v5 op_sel_hi:[0,1,0]
	v_dot4_i32_i8 v16, v22, v29, 0
	v_dot4_i32_i8 v16, v23, v31, v16
	v_dot4_i32_i8 v16, v24, v30, v16
	v_dot4_i32_i8 v16, v33, v32, v16
	v_cvt_f32_i32_e32 v16, v16
	v_fma_mix_f32 v16, v34, v16, -v25 op_sel_hi:[1,0,0]
	v_fma_mix_f32 v4, v16, v21, v4 op_sel_hi:[0,1,0]
	s_andn2_b64 exec, exec, s[12:13]
	s_cbranch_execnz .LBB42_2
; %bb.3:
	s_or_b64 exec, exec, s[12:13]
.LBB42_4:
	s_or_b64 exec, exec, s[10:11]
	v_cmp_eq_u32_e32 vcc, 0, v1
	v_cmp_ne_u32_e64 s[0:1], 0, v1
	s_and_saveexec_b64 s[10:11], s[0:1]
	s_cbranch_execz .LBB42_6
; %bb.5:
	v_mul_u32_u24_e32 v1, 0x600, v1
	v_lshl_or_b32 v1, v0, 2, v1
	v_add_u32_e32 v1, 0xfffffa00, v1
	ds_write2st64_b32 v1, v9, v8 offset1:1
	ds_write2st64_b32 v1, v7, v6 offset0:2 offset1:3
	ds_write2st64_b32 v1, v5, v4 offset0:4 offset1:5
.LBB42_6:
	s_or_b64 exec, exec, s[10:11]
	s_waitcnt lgkmcnt(0)
	s_barrier
	s_and_saveexec_b64 s[0:1], vcc
	s_cbranch_execz .LBB42_13
; %bb.7:
	v_lshlrev_b32_e32 v3, 2, v0
	v_mbcnt_lo_u32_b32 v1, -1, 0
	v_mbcnt_hi_u32_b32 v13, -1, v1
	ds_read2st64_b32 v[11:12], v3 offset1:1
	v_and_b32_e32 v1, 64, v13
	v_add_u32_e32 v14, 64, v1
	v_xor_b32_e32 v1, 32, v13
	v_cmp_lt_i32_e32 vcc, v1, v14
	v_cndmask_b32_e32 v1, v13, v1, vcc
	v_lshlrev_b32_e32 v1, 2, v1
	s_waitcnt lgkmcnt(0)
	v_add_f32_e32 v9, v11, v9
	v_add_f32_e32 v12, v12, v8
	ds_bpermute_b32 v11, v1, v9
	ds_bpermute_b32 v16, v1, v12
	v_xor_b32_e32 v2, 16, v13
	v_cmp_lt_i32_e32 vcc, v2, v14
	v_cndmask_b32_e32 v2, v13, v2, vcc
	v_lshlrev_b32_e32 v2, 2, v2
	s_waitcnt lgkmcnt(1)
	v_add_f32_e32 v9, v9, v11
	s_waitcnt lgkmcnt(0)
	v_add_f32_e32 v12, v12, v16
	ds_bpermute_b32 v11, v2, v9
	ds_bpermute_b32 v16, v2, v12
	v_xor_b32_e32 v10, 8, v13
	v_cmp_lt_i32_e32 vcc, v10, v14
	v_cndmask_b32_e32 v10, v13, v10, vcc
	v_lshlrev_b32_e32 v10, 2, v10
	s_waitcnt lgkmcnt(1)
	v_add_f32_e32 v11, v9, v11
	s_waitcnt lgkmcnt(0)
	;; [unrolled: 10-line block ×3, first 2 shown]
	v_add_f32_e32 v12, v12, v16
	ds_bpermute_b32 v17, v8, v11
	ds_bpermute_b32 v16, v8, v12
	v_xor_b32_e32 v15, 2, v13
	v_cmp_lt_i32_e32 vcc, v15, v14
	v_cndmask_b32_e32 v15, v13, v15, vcc
	v_lshlrev_b32_e32 v9, 2, v15
	v_xor_b32_e32 v15, 1, v13
	v_cmp_lt_i32_e32 vcc, v15, v14
	s_waitcnt lgkmcnt(1)
	v_add_f32_e32 v11, v11, v17
	s_waitcnt lgkmcnt(0)
	v_add_f32_e32 v12, v12, v16
	v_cndmask_b32_e32 v13, v13, v15, vcc
	ds_bpermute_b32 v14, v9, v11
	ds_bpermute_b32 v15, v9, v12
	s_load_dwordx2 s[0:1], s[4:5], 0x38
	s_mul_i32 s4, s14, s7
	v_lshlrev_b32_e32 v13, 2, v13
	s_waitcnt lgkmcnt(0)
	v_add_f32_e32 v11, v11, v14
	v_add_f32_e32 v12, v12, v15
	s_mul_i32 s3, s18, s8
	s_add_i32 s4, s4, s6
	ds_bpermute_b32 v14, v13, v11
	ds_bpermute_b32 v15, v13, v12
	s_add_i32 s4, s4, s3
	s_mov_b32 s5, 0
	s_lshl_b64 s[4:5], s[4:5], 2
	s_add_u32 s4, s0, s4
	v_add_u32_e32 v16, s6, v0
	s_addc_u32 s5, s1, s5
	v_cmp_gt_u32_e32 vcc, 2, v0
	v_cmp_gt_u32_e64 s[0:1], s2, v16
	s_and_b64 s[0:1], vcc, s[0:1]
	s_waitcnt lgkmcnt(1)
	v_add_f32_e32 v11, v11, v14
	s_waitcnt lgkmcnt(0)
	v_add_f32_e32 v12, v12, v15
	s_and_saveexec_b64 s[6:7], s[0:1]
	s_cbranch_execz .LBB42_9
; %bb.8:
	v_cmp_eq_u32_e32 vcc, 1, v0
	v_cndmask_b32_e32 v14, v11, v12, vcc
	v_cmp_eq_u32_e32 vcc, 2, v0
	v_cndmask_b32_e32 v14, v14, v7, vcc
	;; [unrolled: 2-line block ×5, first 2 shown]
	global_store_dword v3, v14, s[4:5]
.LBB42_9:
	s_or_b64 exec, exec, s[6:7]
	ds_read2st64_b32 v[14:15], v3 offset0:2 offset1:3
	s_waitcnt lgkmcnt(0)
	v_add_f32_e32 v7, v14, v7
	v_add_f32_e32 v6, v15, v6
	ds_bpermute_b32 v14, v1, v7
	ds_bpermute_b32 v15, v1, v6
	s_waitcnt lgkmcnt(1)
	v_add_f32_e32 v7, v7, v14
	s_waitcnt lgkmcnt(0)
	v_add_f32_e32 v6, v6, v15
	ds_bpermute_b32 v14, v2, v7
	ds_bpermute_b32 v15, v2, v6
	s_waitcnt lgkmcnt(1)
	v_add_f32_e32 v7, v7, v14
	s_waitcnt lgkmcnt(0)
	;; [unrolled: 6-line block ×6, first 2 shown]
	v_add_f32_e32 v6, v6, v15
	s_and_saveexec_b64 s[6:7], s[0:1]
	s_cbranch_execz .LBB42_11
; %bb.10:
	v_add_u32_e32 v14, 2, v0
	v_cmp_eq_u32_e32 vcc, 1, v14
	v_cndmask_b32_e32 v15, v11, v12, vcc
	v_cmp_eq_u32_e32 vcc, 2, v14
	v_cndmask_b32_e32 v15, v15, v7, vcc
	;; [unrolled: 2-line block ×5, first 2 shown]
	v_add_u32_e32 v14, s2, v0
	v_mov_b32_e32 v15, 0
	v_lshlrev_b64 v[14:15], 2, v[14:15]
	v_mov_b32_e32 v17, s5
	v_add_co_u32_e32 v14, vcc, s4, v14
	v_addc_co_u32_e32 v15, vcc, v17, v15, vcc
	global_store_dword v[14:15], v16, off
.LBB42_11:
	s_or_b64 exec, exec, s[6:7]
	ds_read2st64_b32 v[14:15], v3 offset0:4 offset1:5
	s_waitcnt lgkmcnt(0)
	v_add_f32_e32 v3, v14, v5
	v_add_f32_e32 v4, v15, v4
	ds_bpermute_b32 v5, v1, v3
	ds_bpermute_b32 v1, v1, v4
	s_waitcnt lgkmcnt(1)
	v_add_f32_e32 v3, v3, v5
	s_waitcnt lgkmcnt(0)
	v_add_f32_e32 v1, v4, v1
	ds_bpermute_b32 v4, v2, v3
	ds_bpermute_b32 v2, v2, v1
	s_waitcnt lgkmcnt(1)
	v_add_f32_e32 v3, v3, v4
	s_waitcnt lgkmcnt(0)
	;; [unrolled: 6-line block ×5, first 2 shown]
	v_add_f32_e32 v2, v3, v4
	ds_bpermute_b32 v3, v13, v1
	ds_bpermute_b32 v4, v13, v2
	s_and_b64 exec, exec, s[0:1]
	s_cbranch_execz .LBB42_13
; %bb.12:
	s_waitcnt lgkmcnt(1)
	v_add_f32_e32 v1, v1, v3
	v_add_u32_e32 v3, 4, v0
	v_cmp_eq_u32_e32 vcc, 1, v3
	s_waitcnt lgkmcnt(0)
	v_add_f32_e32 v2, v2, v4
	v_cndmask_b32_e32 v4, v11, v12, vcc
	v_cmp_eq_u32_e32 vcc, 2, v3
	v_cndmask_b32_e32 v4, v4, v7, vcc
	v_cmp_eq_u32_e32 vcc, 3, v3
	;; [unrolled: 2-line block ×4, first 2 shown]
	v_cndmask_b32_e32 v2, v1, v2, vcc
	v_lshl_or_b32 v0, s2, 1, v0
	v_mov_b32_e32 v1, 0
	v_lshlrev_b64 v[0:1], 2, v[0:1]
	v_mov_b32_e32 v3, s5
	v_add_co_u32_e32 v0, vcc, s4, v0
	v_addc_co_u32_e32 v1, vcc, v3, v1, vcc
	global_store_dword v[0:1], v2, off
.LBB42_13:
	s_endpgm
	.section	.rodata,"a",@progbits
	.p2align	6, 0x0
	.amdhsa_kernel _ZL13mul_mat_vec_qIL9ggml_type6ELi3ELb0ELb0EEvPKvS2_PKi31ggml_cuda_mm_fusion_args_devicePfj15HIP_vector_typeIjLj3EEjjjS8_jjjS8_jjjj
		.amdhsa_group_segment_fixed_size 1536
		.amdhsa_private_segment_fixed_size 0
		.amdhsa_kernarg_size 144
		.amdhsa_user_sgpr_count 6
		.amdhsa_user_sgpr_private_segment_buffer 1
		.amdhsa_user_sgpr_dispatch_ptr 0
		.amdhsa_user_sgpr_queue_ptr 0
		.amdhsa_user_sgpr_kernarg_segment_ptr 1
		.amdhsa_user_sgpr_dispatch_id 0
		.amdhsa_user_sgpr_flat_scratch_init 0
		.amdhsa_user_sgpr_private_segment_size 0
		.amdhsa_uses_dynamic_stack 0
		.amdhsa_system_sgpr_private_segment_wavefront_offset 0
		.amdhsa_system_sgpr_workgroup_id_x 1
		.amdhsa_system_sgpr_workgroup_id_y 1
		.amdhsa_system_sgpr_workgroup_id_z 1
		.amdhsa_system_sgpr_workgroup_info 0
		.amdhsa_system_vgpr_workitem_id 1
		.amdhsa_next_free_vgpr 36
		.amdhsa_next_free_sgpr 26
		.amdhsa_reserve_vcc 1
		.amdhsa_reserve_flat_scratch 0
		.amdhsa_float_round_mode_32 0
		.amdhsa_float_round_mode_16_64 0
		.amdhsa_float_denorm_mode_32 3
		.amdhsa_float_denorm_mode_16_64 3
		.amdhsa_dx10_clamp 1
		.amdhsa_ieee_mode 1
		.amdhsa_fp16_overflow 0
		.amdhsa_exception_fp_ieee_invalid_op 0
		.amdhsa_exception_fp_denorm_src 0
		.amdhsa_exception_fp_ieee_div_zero 0
		.amdhsa_exception_fp_ieee_overflow 0
		.amdhsa_exception_fp_ieee_underflow 0
		.amdhsa_exception_fp_ieee_inexact 0
		.amdhsa_exception_int_div_zero 0
	.end_amdhsa_kernel
	.section	.text._ZL13mul_mat_vec_qIL9ggml_type6ELi3ELb0ELb0EEvPKvS2_PKi31ggml_cuda_mm_fusion_args_devicePfj15HIP_vector_typeIjLj3EEjjjS8_jjjS8_jjjj,"axG",@progbits,_ZL13mul_mat_vec_qIL9ggml_type6ELi3ELb0ELb0EEvPKvS2_PKi31ggml_cuda_mm_fusion_args_devicePfj15HIP_vector_typeIjLj3EEjjjS8_jjjS8_jjjj,comdat
.Lfunc_end42:
	.size	_ZL13mul_mat_vec_qIL9ggml_type6ELi3ELb0ELb0EEvPKvS2_PKi31ggml_cuda_mm_fusion_args_devicePfj15HIP_vector_typeIjLj3EEjjjS8_jjjS8_jjjj, .Lfunc_end42-_ZL13mul_mat_vec_qIL9ggml_type6ELi3ELb0ELb0EEvPKvS2_PKi31ggml_cuda_mm_fusion_args_devicePfj15HIP_vector_typeIjLj3EEjjjS8_jjjS8_jjjj
                                        ; -- End function
	.set _ZL13mul_mat_vec_qIL9ggml_type6ELi3ELb0ELb0EEvPKvS2_PKi31ggml_cuda_mm_fusion_args_devicePfj15HIP_vector_typeIjLj3EEjjjS8_jjjS8_jjjj.num_vgpr, 36
	.set _ZL13mul_mat_vec_qIL9ggml_type6ELi3ELb0ELb0EEvPKvS2_PKi31ggml_cuda_mm_fusion_args_devicePfj15HIP_vector_typeIjLj3EEjjjS8_jjjS8_jjjj.num_agpr, 0
	.set _ZL13mul_mat_vec_qIL9ggml_type6ELi3ELb0ELb0EEvPKvS2_PKi31ggml_cuda_mm_fusion_args_devicePfj15HIP_vector_typeIjLj3EEjjjS8_jjjS8_jjjj.numbered_sgpr, 26
	.set _ZL13mul_mat_vec_qIL9ggml_type6ELi3ELb0ELb0EEvPKvS2_PKi31ggml_cuda_mm_fusion_args_devicePfj15HIP_vector_typeIjLj3EEjjjS8_jjjS8_jjjj.num_named_barrier, 0
	.set _ZL13mul_mat_vec_qIL9ggml_type6ELi3ELb0ELb0EEvPKvS2_PKi31ggml_cuda_mm_fusion_args_devicePfj15HIP_vector_typeIjLj3EEjjjS8_jjjS8_jjjj.private_seg_size, 0
	.set _ZL13mul_mat_vec_qIL9ggml_type6ELi3ELb0ELb0EEvPKvS2_PKi31ggml_cuda_mm_fusion_args_devicePfj15HIP_vector_typeIjLj3EEjjjS8_jjjS8_jjjj.uses_vcc, 1
	.set _ZL13mul_mat_vec_qIL9ggml_type6ELi3ELb0ELb0EEvPKvS2_PKi31ggml_cuda_mm_fusion_args_devicePfj15HIP_vector_typeIjLj3EEjjjS8_jjjS8_jjjj.uses_flat_scratch, 0
	.set _ZL13mul_mat_vec_qIL9ggml_type6ELi3ELb0ELb0EEvPKvS2_PKi31ggml_cuda_mm_fusion_args_devicePfj15HIP_vector_typeIjLj3EEjjjS8_jjjS8_jjjj.has_dyn_sized_stack, 0
	.set _ZL13mul_mat_vec_qIL9ggml_type6ELi3ELb0ELb0EEvPKvS2_PKi31ggml_cuda_mm_fusion_args_devicePfj15HIP_vector_typeIjLj3EEjjjS8_jjjS8_jjjj.has_recursion, 0
	.set _ZL13mul_mat_vec_qIL9ggml_type6ELi3ELb0ELb0EEvPKvS2_PKi31ggml_cuda_mm_fusion_args_devicePfj15HIP_vector_typeIjLj3EEjjjS8_jjjS8_jjjj.has_indirect_call, 0
	.section	.AMDGPU.csdata,"",@progbits
; Kernel info:
; codeLenInByte = 2688
; TotalNumSgprs: 30
; NumVgprs: 36
; ScratchSize: 0
; MemoryBound: 0
; FloatMode: 240
; IeeeMode: 1
; LDSByteSize: 1536 bytes/workgroup (compile time only)
; SGPRBlocks: 3
; VGPRBlocks: 8
; NumSGPRsForWavesPerEU: 30
; NumVGPRsForWavesPerEU: 36
; Occupancy: 7
; WaveLimiterHint : 0
; COMPUTE_PGM_RSRC2:SCRATCH_EN: 0
; COMPUTE_PGM_RSRC2:USER_SGPR: 6
; COMPUTE_PGM_RSRC2:TRAP_HANDLER: 0
; COMPUTE_PGM_RSRC2:TGID_X_EN: 1
; COMPUTE_PGM_RSRC2:TGID_Y_EN: 1
; COMPUTE_PGM_RSRC2:TGID_Z_EN: 1
; COMPUTE_PGM_RSRC2:TIDIG_COMP_CNT: 1
	.section	.text._ZL13mul_mat_vec_qIL9ggml_type6ELi4ELb0ELb0EEvPKvS2_PKi31ggml_cuda_mm_fusion_args_devicePfj15HIP_vector_typeIjLj3EEjjjS8_jjjS8_jjjj,"axG",@progbits,_ZL13mul_mat_vec_qIL9ggml_type6ELi4ELb0ELb0EEvPKvS2_PKi31ggml_cuda_mm_fusion_args_devicePfj15HIP_vector_typeIjLj3EEjjjS8_jjjS8_jjjj,comdat
	.globl	_ZL13mul_mat_vec_qIL9ggml_type6ELi4ELb0ELb0EEvPKvS2_PKi31ggml_cuda_mm_fusion_args_devicePfj15HIP_vector_typeIjLj3EEjjjS8_jjjS8_jjjj ; -- Begin function _ZL13mul_mat_vec_qIL9ggml_type6ELi4ELb0ELb0EEvPKvS2_PKi31ggml_cuda_mm_fusion_args_devicePfj15HIP_vector_typeIjLj3EEjjjS8_jjjS8_jjjj
	.p2align	8
	.type	_ZL13mul_mat_vec_qIL9ggml_type6ELi4ELb0ELb0EEvPKvS2_PKi31ggml_cuda_mm_fusion_args_devicePfj15HIP_vector_typeIjLj3EEjjjS8_jjjS8_jjjj,@function
_ZL13mul_mat_vec_qIL9ggml_type6ELi4ELb0ELb0EEvPKvS2_PKi31ggml_cuda_mm_fusion_args_devicePfj15HIP_vector_typeIjLj3EEjjjS8_jjjS8_jjjj: ; @_ZL13mul_mat_vec_qIL9ggml_type6ELi4ELb0ELb0EEvPKvS2_PKi31ggml_cuda_mm_fusion_args_devicePfj15HIP_vector_typeIjLj3EEjjjS8_jjjS8_jjjj
; %bb.0:
	v_lshlrev_b32_e32 v2, 6, v1
	s_load_dword s9, s[4:5], 0x40
	s_load_dwordx4 s[0:3], s[4:5], 0x50
	s_load_dword s25, s[4:5], 0x60
	s_load_dwordx4 s[12:15], s[4:5], 0x68
	;; [unrolled: 2-line block ×3, first 2 shown]
	v_add_u16_e32 v2, v2, v0
	s_waitcnt lgkmcnt(0)
	s_lshr_b32 s9, s9, 5
	v_lshrrev_b16_e32 v16, 1, v2
	v_mov_b32_e32 v10, 0
	s_lshl_b32 s6, s6, 1
	v_cmp_gt_u32_e32 vcc, s9, v16
	v_mov_b32_e32 v11, v10
	v_mov_b32_e32 v12, v10
	;; [unrolled: 1-line block ×7, first 2 shown]
	s_and_saveexec_b64 s[10:11], vcc
	s_cbranch_execz .LBB43_4
; %bb.1:
	s_load_dwordx4 s[20:23], s[4:5], 0x0
	s_mul_i32 s17, s17, s8
	s_mul_hi_u32 s19, s17, 36
	s_mul_i32 s17, s17, 36
	s_mul_i32 s13, s13, s7
	s_waitcnt lgkmcnt(0)
	s_add_u32 s17, s22, s17
	s_addc_u32 s19, s23, s19
	s_mul_hi_u32 s23, s13, 36
	s_mul_i32 s13, s13, 36
	s_add_u32 s22, s17, s13
	s_mul_hi_u32 s3, s3, s7
	s_addc_u32 s23, s19, s23
	s_add_i32 s3, s7, s3
	s_lshr_b32 s3, s3, s25
	s_mul_i32 s3, s3, s12
	s_mul_hi_u32 s12, s15, s8
	s_add_i32 s12, s8, s12
	s_lshr_b32 s12, s12, s24
	s_mul_i32 s12, s12, s16
	v_lshlrev_b32_e32 v3, 1, v0
	s_add_i32 s13, s6, 1
	v_and_b32_e32 v4, 2, v3
	s_add_i32 s12, s12, s3
	s_mul_i32 s3, s6, s0
	s_mul_i32 s0, s0, s13
	v_and_b32_e32 v3, 1, v0
	v_lshrrev_b16_e32 v2, 1, v2
	s_add_i32 s3, s12, s3
	s_add_i32 s0, s12, s0
	v_lshlrev_b32_e32 v19, 3, v3
	v_mad_u64_u32 v[2:3], s[12:13], v2, 36, s[22:23]
	v_lshlrev_b32_e32 v5, 1, v4
	v_mov_b32_e32 v8, 0
	v_lshlrev_b32_e32 v17, 2, v4
	v_or_b32_e32 v18, 4, v17
	s_lshl_b32 s15, s1, 1
	s_mul_i32 s16, s1, 3
	s_mov_b64 s[12:13], 0
	v_lshlrev_b32_e32 v20, 1, v5
	v_lshlrev_b32_e32 v21, 2, v4
	v_mov_b32_e32 v9, v8
	v_mov_b32_e32 v10, v8
	;; [unrolled: 1-line block ×7, first 2 shown]
.LBB43_2:                               ; =>This Inner Loop Header: Depth=1
	v_add_co_u32_e32 v22, vcc, v2, v19
	v_addc_co_u32_e32 v23, vcc, 0, v3, vcc
	global_load_dwordx2 v[6:7], v[22:23], off offset:4
	global_load_dwordx2 v[4:5], v[22:23], off offset:20
	global_load_dword v28, v[2:3], off
	v_add_u32_e32 v24, s3, v16
	s_waitcnt vmcnt(0)
	v_cvt_f32_f16_sdwa v22, v28 dst_sel:DWORD dst_unused:UNUSED_PAD src0_sel:WORD_1
	v_mul_f32_e32 v29, 0x41000000, v22
	v_mad_i64_i32 v[22:23], s[24:25], v24, 22, s[20:21]
	global_load_dword v27, v[22:23], off offset:2
	v_add_co_u32_e32 v24, vcc, v22, v20
	v_addc_co_u32_e32 v25, vcc, 0, v23, vcc
	global_load_dwordx2 v[25:26], v[24:25], off offset:6
	s_nop 0
	global_load_ushort v22, v[22:23], off
	s_waitcnt vmcnt(2)
	v_ashrrev_i32_e32 v24, v17, v27
	v_lshlrev_b32_e32 v30, 4, v24
	v_lshlrev_b32_e32 v31, 11, v24
	v_and_b32_e32 v30, 16, v30
	v_and_b32_e32 v31, 0x1000, v31
	s_waitcnt vmcnt(1)
	v_and_b32_e32 v23, 0xf0f0f0f, v25
	v_or3_b32 v23, v30, v23, v31
	v_lshlrev_b32_e32 v30, 18, v24
	v_lshlrev_b32_e32 v31, 25, v24
	v_and_b32_e32 v30, 0x100000, v30
	v_and_b32_e32 v31, 0x10000000, v31
	v_or3_b32 v23, v23, v30, v31
	v_lshrrev_b32_e32 v31, 12, v24
	v_lshrrev_b32_e32 v32, 5, v24
	v_lshlrev_b32_e32 v33, 2, v24
	v_lshrrev_b32_e32 v25, 4, v25
	v_and_b32_e32 v31, 16, v31
	v_and_b32_e32 v32, 0x1000, v32
	v_and_b32_e32 v33, 0x100000, v33
	v_lshlrev_b32_e32 v24, 9, v24
	v_ashrrev_i32_e32 v27, v18, v27
	v_and_b32_e32 v25, 0xf0f0f0f, v25
	v_and_b32_e32 v24, 0x10000000, v24
	v_or3_b32 v31, v32, v31, v33
	v_or3_b32 v24, v31, v24, v25
	v_lshlrev_b32_e32 v31, 4, v27
	v_lshlrev_b32_e32 v32, 11, v27
	;; [unrolled: 1-line block ×3, first 2 shown]
	v_and_b32_e32 v31, 16, v31
	v_and_b32_e32 v32, 0x1000, v32
	;; [unrolled: 1-line block ×3, first 2 shown]
	v_lshlrev_b32_e32 v34, 25, v27
	v_and_b32_e32 v25, 0xf0f0f0f, v26
	v_and_b32_e32 v34, 0x10000000, v34
	v_or3_b32 v31, v32, v31, v33
	v_or3_b32 v25, v31, v34, v25
	v_lshrrev_b32_e32 v31, 12, v27
	v_lshrrev_b32_e32 v32, 5, v27
	v_lshlrev_b32_e32 v33, 2, v27
	v_dot4_i32_i8 v30, v23, v6, 0
	v_lshrrev_b32_e32 v26, 4, v26
	v_and_b32_e32 v31, 16, v31
	v_and_b32_e32 v32, 0x1000, v32
	v_and_b32_e32 v33, 0x100000, v33
	v_lshlrev_b32_e32 v27, 9, v27
	v_dot4_i32_i8 v30, v24, v4, v30
	v_and_b32_e32 v26, 0xf0f0f0f, v26
	v_and_b32_e32 v27, 0x10000000, v27
	v_or3_b32 v31, v32, v31, v33
	v_dot4_i32_i8 v30, v25, v7, v30
	v_or3_b32 v26, v31, v27, v26
	v_dot4_i32_i8 v27, v26, v5, v30
	v_cvt_f32_i32_e32 v27, v27
	v_fma_mix_f32 v27, v28, v27, -v29 op_sel_hi:[1,0,0]
	s_waitcnt vmcnt(0)
	v_fma_mix_f32 v15, v27, v22, v15 op_sel_hi:[0,1,0]
	v_add_u32_e32 v27, s0, v16
	v_mad_i64_i32 v[30:31], s[24:25], v27, 22, s[20:21]
	global_load_dword v27, v[30:31], off offset:2
	v_add_co_u32_e32 v32, vcc, v30, v20
	v_addc_co_u32_e32 v33, vcc, 0, v31, vcc
	global_load_dwordx2 v[32:33], v[32:33], off offset:6
	s_waitcnt vmcnt(1)
	v_ashrrev_i32_e32 v34, v17, v27
	v_ashrrev_i32_e32 v35, v18, v27
	global_load_ushort v27, v[30:31], off
	v_lshlrev_b32_e32 v31, 4, v34
	v_lshlrev_b32_e32 v36, 11, v34
	s_waitcnt vmcnt(1)
	v_and_b32_e32 v30, 0xf0f0f0f, v32
	v_and_b32_e32 v31, 16, v31
	;; [unrolled: 1-line block ×3, first 2 shown]
	v_or3_b32 v30, v31, v30, v36
	v_lshlrev_b32_e32 v31, 18, v34
	v_lshlrev_b32_e32 v36, 25, v34
	v_and_b32_e32 v31, 0x100000, v31
	v_and_b32_e32 v36, 0x10000000, v36
	v_or3_b32 v30, v30, v31, v36
	v_lshrrev_b32_e32 v31, 4, v32
	v_lshrrev_b32_e32 v32, 12, v34
	v_lshrrev_b32_e32 v36, 5, v34
	v_lshlrev_b32_e32 v37, 2, v34
	v_and_b32_e32 v32, 16, v32
	v_and_b32_e32 v36, 0x1000, v36
	;; [unrolled: 1-line block ×3, first 2 shown]
	v_lshlrev_b32_e32 v34, 9, v34
	v_and_b32_e32 v31, 0xf0f0f0f, v31
	v_and_b32_e32 v34, 0x10000000, v34
	v_or3_b32 v32, v36, v32, v37
	v_or3_b32 v34, v32, v34, v31
	v_lshlrev_b32_e32 v31, 4, v35
	v_lshlrev_b32_e32 v32, 11, v35
	;; [unrolled: 1-line block ×3, first 2 shown]
	v_dot4_i32_i8 v6, v30, v6, 0
	v_and_b32_e32 v31, 16, v31
	v_and_b32_e32 v32, 0x1000, v32
	;; [unrolled: 1-line block ×3, first 2 shown]
	v_lshlrev_b32_e32 v37, 25, v35
	v_dot4_i32_i8 v4, v34, v4, v6
	v_and_b32_e32 v6, 0xf0f0f0f, v33
	v_and_b32_e32 v37, 0x10000000, v37
	v_or3_b32 v31, v32, v31, v36
	v_or3_b32 v36, v31, v37, v6
	v_dot4_i32_i8 v4, v36, v7, v4
	v_lshrrev_b32_e32 v7, 12, v35
	v_lshrrev_b32_e32 v31, 5, v35
	v_lshlrev_b32_e32 v32, 2, v35
	v_lshrrev_b32_e32 v6, 4, v33
	v_and_b32_e32 v7, 16, v7
	v_and_b32_e32 v31, 0x1000, v31
	;; [unrolled: 1-line block ×3, first 2 shown]
	v_lshlrev_b32_e32 v33, 9, v35
	v_and_b32_e32 v6, 0xf0f0f0f, v6
	v_and_b32_e32 v33, 0x10000000, v33
	v_or3_b32 v7, v31, v7, v32
	v_or3_b32 v33, v7, v33, v6
	v_dot4_i32_i8 v4, v33, v5, v4
	v_cvt_f32_i32_e32 v4, v4
	v_fma_mix_f32 v4, v28, v4, -v29 op_sel_hi:[1,0,0]
	s_waitcnt vmcnt(0)
	v_fma_mix_f32 v14, v4, v27, v14 op_sel_hi:[0,1,0]
	v_add_u32_e32 v4, s1, v16
	v_mad_u64_u32 v[4:5], s[24:25], v4, 36, s[22:23]
	v_add_co_u32_e32 v6, vcc, v4, v21
	v_addc_co_u32_e32 v7, vcc, 0, v5, vcc
	global_load_dwordx2 v[28:29], v[6:7], off offset:4
	global_load_dwordx2 v[31:32], v[6:7], off offset:20
	global_load_dword v35, v[4:5], off
	s_waitcnt vmcnt(2)
	v_dot4_i32_i8 v5, v23, v28, 0
	s_waitcnt vmcnt(1)
	v_dot4_i32_i8 v5, v24, v31, v5
	v_dot4_i32_i8 v5, v25, v29, v5
	s_waitcnt vmcnt(0)
	v_cvt_f32_f16_sdwa v4, v35 dst_sel:DWORD dst_unused:UNUSED_PAD src0_sel:WORD_1
	v_dot4_i32_i8 v5, v26, v32, v5
	v_cvt_f32_i32_e32 v5, v5
	v_mul_f32_e32 v4, 0x41000000, v4
	v_fma_mix_f32 v5, v35, v5, -v4 op_sel_hi:[1,0,0]
	v_fma_mix_f32 v13, v5, v22, v13 op_sel_hi:[0,1,0]
	v_dot4_i32_i8 v5, v30, v28, 0
	v_dot4_i32_i8 v5, v34, v31, v5
	;; [unrolled: 1-line block ×4, first 2 shown]
	v_cvt_f32_i32_e32 v5, v5
	v_fma_mix_f32 v4, v35, v5, -v4 op_sel_hi:[1,0,0]
	v_fma_mix_f32 v12, v4, v27, v12 op_sel_hi:[0,1,0]
	v_add_u32_e32 v4, s15, v16
	v_mad_u64_u32 v[4:5], s[24:25], v4, 36, s[22:23]
	v_add_co_u32_e32 v6, vcc, v4, v21
	v_addc_co_u32_e32 v7, vcc, 0, v5, vcc
	global_load_dwordx2 v[28:29], v[6:7], off offset:4
	global_load_dwordx2 v[31:32], v[6:7], off offset:20
	global_load_dword v35, v[4:5], off
	s_waitcnt vmcnt(2)
	v_dot4_i32_i8 v5, v23, v28, 0
	s_waitcnt vmcnt(1)
	v_dot4_i32_i8 v5, v24, v31, v5
	v_dot4_i32_i8 v5, v25, v29, v5
	s_waitcnt vmcnt(0)
	v_cvt_f32_f16_sdwa v4, v35 dst_sel:DWORD dst_unused:UNUSED_PAD src0_sel:WORD_1
	v_dot4_i32_i8 v5, v26, v32, v5
	v_cvt_f32_i32_e32 v5, v5
	v_mul_f32_e32 v4, 0x41000000, v4
	v_fma_mix_f32 v5, v35, v5, -v4 op_sel_hi:[1,0,0]
	v_fma_mix_f32 v11, v5, v22, v11 op_sel_hi:[0,1,0]
	v_dot4_i32_i8 v5, v30, v28, 0
	v_dot4_i32_i8 v5, v34, v31, v5
	;; [unrolled: 1-line block ×4, first 2 shown]
	v_cvt_f32_i32_e32 v5, v5
	v_fma_mix_f32 v4, v35, v5, -v4 op_sel_hi:[1,0,0]
	v_fma_mix_f32 v10, v4, v27, v10 op_sel_hi:[0,1,0]
	v_add_u32_e32 v4, s16, v16
	v_mad_u64_u32 v[4:5], s[24:25], v4, 36, s[22:23]
	v_add_u32_e32 v16, 64, v16
	v_add_co_u32_e32 v6, vcc, v4, v21
	v_addc_co_u32_e32 v7, vcc, 0, v5, vcc
	global_load_dwordx2 v[28:29], v[6:7], off offset:4
	global_load_dwordx2 v[31:32], v[6:7], off offset:20
	global_load_dword v35, v[4:5], off
	v_add_co_u32_e32 v2, vcc, 0x900, v2
	v_addc_co_u32_e32 v3, vcc, 0, v3, vcc
	v_cmp_le_u32_e32 vcc, s9, v16
	s_or_b64 s[12:13], vcc, s[12:13]
	s_waitcnt vmcnt(2)
	v_dot4_i32_i8 v5, v23, v28, 0
	s_waitcnt vmcnt(1)
	v_dot4_i32_i8 v5, v24, v31, v5
	v_dot4_i32_i8 v5, v25, v29, v5
	s_waitcnt vmcnt(0)
	v_cvt_f32_f16_sdwa v4, v35 dst_sel:DWORD dst_unused:UNUSED_PAD src0_sel:WORD_1
	v_dot4_i32_i8 v5, v26, v32, v5
	v_cvt_f32_i32_e32 v5, v5
	v_mul_f32_e32 v4, 0x41000000, v4
	v_fma_mix_f32 v5, v35, v5, -v4 op_sel_hi:[1,0,0]
	v_fma_mix_f32 v9, v5, v22, v9 op_sel_hi:[0,1,0]
	v_dot4_i32_i8 v5, v30, v28, 0
	v_dot4_i32_i8 v5, v34, v31, v5
	;; [unrolled: 1-line block ×4, first 2 shown]
	v_cvt_f32_i32_e32 v5, v5
	v_fma_mix_f32 v4, v35, v5, -v4 op_sel_hi:[1,0,0]
	v_fma_mix_f32 v8, v4, v27, v8 op_sel_hi:[0,1,0]
	s_andn2_b64 exec, exec, s[12:13]
	s_cbranch_execnz .LBB43_2
; %bb.3:
	s_or_b64 exec, exec, s[12:13]
.LBB43_4:
	s_or_b64 exec, exec, s[10:11]
	v_cmp_eq_u32_e32 vcc, 0, v1
	v_cmp_ne_u32_e64 s[0:1], 0, v1
	v_lshlrev_b32_e32 v2, 2, v0
	s_and_saveexec_b64 s[10:11], s[0:1]
	s_cbranch_execz .LBB43_6
; %bb.5:
	v_lshl_or_b32 v1, v1, 11, v2
	v_add_u32_e32 v1, 0xfffff800, v1
	ds_write2st64_b32 v1, v15, v14 offset1:1
	ds_write2st64_b32 v1, v13, v12 offset0:2 offset1:3
	ds_write2st64_b32 v1, v11, v10 offset0:4 offset1:5
	ds_write2st64_b32 v1, v9, v8 offset0:6 offset1:7
.LBB43_6:
	s_or_b64 exec, exec, s[10:11]
	s_waitcnt lgkmcnt(0)
	s_barrier
	s_and_saveexec_b64 s[0:1], vcc
	s_cbranch_execz .LBB43_15
; %bb.7:
	v_mbcnt_lo_u32_b32 v1, -1, 0
	v_mbcnt_hi_u32_b32 v7, -1, v1
	ds_read2st64_b32 v[5:6], v2 offset1:1
	v_and_b32_e32 v1, 64, v7
	v_add_u32_e32 v16, 64, v1
	v_xor_b32_e32 v1, 32, v7
	v_cmp_lt_i32_e32 vcc, v1, v16
	v_cndmask_b32_e32 v1, v7, v1, vcc
	v_lshlrev_b32_e32 v1, 2, v1
	s_waitcnt lgkmcnt(0)
	v_add_f32_e32 v15, v5, v15
	v_add_f32_e32 v6, v6, v14
	ds_bpermute_b32 v18, v1, v15
	ds_bpermute_b32 v14, v1, v6
	v_xor_b32_e32 v3, 16, v7
	v_cmp_lt_i32_e32 vcc, v3, v16
	v_cndmask_b32_e32 v3, v7, v3, vcc
	v_lshlrev_b32_e32 v3, 2, v3
	s_waitcnt lgkmcnt(1)
	v_add_f32_e32 v15, v15, v18
	s_waitcnt lgkmcnt(0)
	v_add_f32_e32 v6, v6, v14
	ds_bpermute_b32 v18, v3, v15
	ds_bpermute_b32 v14, v3, v6
	v_xor_b32_e32 v4, 8, v7
	v_cmp_lt_i32_e32 vcc, v4, v16
	v_cndmask_b32_e32 v4, v7, v4, vcc
	v_lshlrev_b32_e32 v4, 2, v4
	s_waitcnt lgkmcnt(1)
	v_add_f32_e32 v15, v15, v18
	s_waitcnt lgkmcnt(0)
	v_add_f32_e32 v14, v6, v14
	ds_bpermute_b32 v18, v4, v15
	ds_bpermute_b32 v19, v4, v14
	v_xor_b32_e32 v17, 4, v7
	v_cmp_lt_i32_e32 vcc, v17, v16
	v_cndmask_b32_e32 v17, v7, v17, vcc
	v_lshlrev_b32_e32 v5, 2, v17
	s_waitcnt lgkmcnt(1)
	v_add_f32_e32 v15, v15, v18
	s_waitcnt lgkmcnt(0)
	v_add_f32_e32 v14, v14, v19
	ds_bpermute_b32 v18, v5, v15
	ds_bpermute_b32 v19, v5, v14
	v_xor_b32_e32 v17, 2, v7
	v_cmp_lt_i32_e32 vcc, v17, v16
	v_cndmask_b32_e32 v17, v7, v17, vcc
	v_lshlrev_b32_e32 v6, 2, v17
	v_xor_b32_e32 v17, 1, v7
	v_cmp_lt_i32_e32 vcc, v17, v16
	s_waitcnt lgkmcnt(1)
	v_add_f32_e32 v16, v15, v18
	s_waitcnt lgkmcnt(0)
	v_add_f32_e32 v14, v14, v19
	v_cndmask_b32_e32 v7, v7, v17, vcc
	ds_bpermute_b32 v17, v6, v16
	ds_bpermute_b32 v18, v6, v14
	s_load_dwordx2 s[0:1], s[4:5], 0x38
	s_mul_i32 s4, s14, s7
	v_lshlrev_b32_e32 v15, 2, v7
	s_waitcnt lgkmcnt(0)
	v_add_f32_e32 v7, v16, v17
	v_add_f32_e32 v14, v14, v18
	s_mul_i32 s3, s18, s8
	s_add_i32 s4, s4, s6
	ds_bpermute_b32 v16, v15, v7
	ds_bpermute_b32 v17, v15, v14
	s_add_i32 s4, s4, s3
	s_mov_b32 s5, 0
	s_lshl_b64 s[4:5], s[4:5], 2
	s_add_u32 s4, s0, s4
	v_add_u32_e32 v18, s6, v0
	s_addc_u32 s5, s1, s5
	v_cmp_gt_u32_e32 vcc, 2, v0
	v_cmp_gt_u32_e64 s[0:1], s2, v18
	s_and_b64 s[0:1], vcc, s[0:1]
	s_waitcnt lgkmcnt(1)
	v_add_f32_e32 v7, v7, v16
	s_waitcnt lgkmcnt(0)
	v_add_f32_e32 v14, v14, v17
	s_and_saveexec_b64 s[6:7], s[0:1]
	s_cbranch_execz .LBB43_9
; %bb.8:
	v_cmp_eq_u32_e32 vcc, 1, v0
	v_cndmask_b32_e32 v16, v7, v14, vcc
	v_cmp_eq_u32_e32 vcc, 2, v0
	v_cndmask_b32_e32 v16, v16, v13, vcc
	;; [unrolled: 2-line block ×7, first 2 shown]
	global_store_dword v2, v16, s[4:5]
.LBB43_9:
	s_or_b64 exec, exec, s[6:7]
	ds_read2st64_b32 v[16:17], v2 offset0:2 offset1:3
	s_waitcnt lgkmcnt(0)
	v_add_f32_e32 v13, v16, v13
	v_add_f32_e32 v12, v17, v12
	ds_bpermute_b32 v16, v1, v13
	ds_bpermute_b32 v17, v1, v12
	s_waitcnt lgkmcnt(1)
	v_add_f32_e32 v13, v13, v16
	s_waitcnt lgkmcnt(0)
	v_add_f32_e32 v12, v12, v17
	ds_bpermute_b32 v16, v3, v13
	ds_bpermute_b32 v17, v3, v12
	s_waitcnt lgkmcnt(1)
	v_add_f32_e32 v13, v13, v16
	s_waitcnt lgkmcnt(0)
	v_add_f32_e32 v12, v12, v17
	ds_bpermute_b32 v16, v4, v13
	ds_bpermute_b32 v17, v4, v12
	s_waitcnt lgkmcnt(1)
	v_add_f32_e32 v13, v13, v16
	s_waitcnt lgkmcnt(0)
	v_add_f32_e32 v12, v12, v17
	ds_bpermute_b32 v16, v5, v13
	ds_bpermute_b32 v17, v5, v12
	s_waitcnt lgkmcnt(1)
	v_add_f32_e32 v13, v13, v16
	s_waitcnt lgkmcnt(0)
	v_add_f32_e32 v12, v12, v17
	ds_bpermute_b32 v16, v6, v13
	ds_bpermute_b32 v17, v6, v12
	s_waitcnt lgkmcnt(1)
	v_add_f32_e32 v13, v13, v16
	s_waitcnt lgkmcnt(0)
	v_add_f32_e32 v12, v12, v17
	ds_bpermute_b32 v16, v15, v13
	ds_bpermute_b32 v17, v15, v12
	s_waitcnt lgkmcnt(1)
	v_add_f32_e32 v13, v13, v16
	s_waitcnt lgkmcnt(0)
	v_add_f32_e32 v12, v12, v17
	s_and_saveexec_b64 s[6:7], s[0:1]
	s_cbranch_execz .LBB43_11
; %bb.10:
	v_add_u32_e32 v16, 2, v0
	v_cmp_eq_u32_e32 vcc, 1, v16
	v_cndmask_b32_e32 v17, v7, v14, vcc
	v_cmp_eq_u32_e32 vcc, 2, v16
	v_cndmask_b32_e32 v17, v17, v13, vcc
	;; [unrolled: 2-line block ×7, first 2 shown]
	v_add_u32_e32 v16, s2, v0
	v_mov_b32_e32 v17, 0
	v_lshlrev_b64 v[16:17], 2, v[16:17]
	v_mov_b32_e32 v19, s5
	v_add_co_u32_e32 v16, vcc, s4, v16
	v_addc_co_u32_e32 v17, vcc, v19, v17, vcc
	global_store_dword v[16:17], v18, off
.LBB43_11:
	s_or_b64 exec, exec, s[6:7]
	ds_read2st64_b32 v[16:17], v2 offset0:4 offset1:5
	s_waitcnt lgkmcnt(0)
	v_add_f32_e32 v11, v16, v11
	v_add_f32_e32 v10, v17, v10
	ds_bpermute_b32 v16, v1, v11
	ds_bpermute_b32 v17, v1, v10
	s_waitcnt lgkmcnt(1)
	v_add_f32_e32 v11, v11, v16
	s_waitcnt lgkmcnt(0)
	v_add_f32_e32 v10, v10, v17
	ds_bpermute_b32 v16, v3, v11
	ds_bpermute_b32 v17, v3, v10
	s_waitcnt lgkmcnt(1)
	v_add_f32_e32 v11, v11, v16
	s_waitcnt lgkmcnt(0)
	;; [unrolled: 6-line block ×6, first 2 shown]
	v_add_f32_e32 v10, v10, v17
	s_and_saveexec_b64 s[6:7], s[0:1]
	s_cbranch_execz .LBB43_13
; %bb.12:
	v_add_u32_e32 v16, 4, v0
	v_cmp_eq_u32_e32 vcc, 1, v16
	v_cndmask_b32_e32 v17, v7, v14, vcc
	v_cmp_eq_u32_e32 vcc, 2, v16
	v_cndmask_b32_e32 v17, v17, v13, vcc
	;; [unrolled: 2-line block ×7, first 2 shown]
	v_lshl_or_b32 v16, s2, 1, v0
	v_mov_b32_e32 v17, 0
	v_lshlrev_b64 v[16:17], 2, v[16:17]
	v_mov_b32_e32 v19, s5
	v_add_co_u32_e32 v16, vcc, s4, v16
	v_addc_co_u32_e32 v17, vcc, v19, v17, vcc
	global_store_dword v[16:17], v18, off
.LBB43_13:
	s_or_b64 exec, exec, s[6:7]
	ds_read2st64_b32 v[16:17], v2 offset0:6 offset1:7
	s_waitcnt lgkmcnt(0)
	v_add_f32_e32 v2, v16, v9
	v_add_f32_e32 v8, v17, v8
	ds_bpermute_b32 v9, v1, v2
	ds_bpermute_b32 v1, v1, v8
	s_waitcnt lgkmcnt(1)
	v_add_f32_e32 v2, v2, v9
	s_waitcnt lgkmcnt(0)
	v_add_f32_e32 v1, v8, v1
	ds_bpermute_b32 v8, v3, v2
	ds_bpermute_b32 v3, v3, v1
	s_waitcnt lgkmcnt(1)
	v_add_f32_e32 v2, v2, v8
	s_waitcnt lgkmcnt(0)
	;; [unrolled: 6-line block ×5, first 2 shown]
	v_add_f32_e32 v2, v3, v4
	ds_bpermute_b32 v3, v15, v1
	ds_bpermute_b32 v4, v15, v2
	s_and_b64 exec, exec, s[0:1]
	s_cbranch_execz .LBB43_15
; %bb.14:
	s_waitcnt lgkmcnt(1)
	v_add_f32_e32 v1, v1, v3
	v_add_u32_e32 v3, 6, v0
	v_cmp_eq_u32_e32 vcc, 1, v3
	s_waitcnt lgkmcnt(0)
	v_add_f32_e32 v2, v2, v4
	v_cndmask_b32_e32 v4, v7, v14, vcc
	v_cmp_eq_u32_e32 vcc, 2, v3
	v_cndmask_b32_e32 v4, v4, v13, vcc
	v_cmp_eq_u32_e32 vcc, 3, v3
	;; [unrolled: 2-line block ×5, first 2 shown]
	v_cndmask_b32_e32 v4, v4, v1, vcc
	v_mad_u64_u32 v[0:1], s[0:1], s2, 3, v[0:1]
	v_mov_b32_e32 v1, 0
	v_cmp_eq_u32_e32 vcc, 7, v3
	v_lshlrev_b64 v[0:1], 2, v[0:1]
	v_cndmask_b32_e32 v2, v4, v2, vcc
	v_mov_b32_e32 v3, s5
	v_add_co_u32_e32 v0, vcc, s4, v0
	v_addc_co_u32_e32 v1, vcc, v3, v1, vcc
	global_store_dword v[0:1], v2, off
.LBB43_15:
	s_endpgm
	.section	.rodata,"a",@progbits
	.p2align	6, 0x0
	.amdhsa_kernel _ZL13mul_mat_vec_qIL9ggml_type6ELi4ELb0ELb0EEvPKvS2_PKi31ggml_cuda_mm_fusion_args_devicePfj15HIP_vector_typeIjLj3EEjjjS8_jjjS8_jjjj
		.amdhsa_group_segment_fixed_size 2048
		.amdhsa_private_segment_fixed_size 0
		.amdhsa_kernarg_size 144
		.amdhsa_user_sgpr_count 6
		.amdhsa_user_sgpr_private_segment_buffer 1
		.amdhsa_user_sgpr_dispatch_ptr 0
		.amdhsa_user_sgpr_queue_ptr 0
		.amdhsa_user_sgpr_kernarg_segment_ptr 1
		.amdhsa_user_sgpr_dispatch_id 0
		.amdhsa_user_sgpr_flat_scratch_init 0
		.amdhsa_user_sgpr_private_segment_size 0
		.amdhsa_uses_dynamic_stack 0
		.amdhsa_system_sgpr_private_segment_wavefront_offset 0
		.amdhsa_system_sgpr_workgroup_id_x 1
		.amdhsa_system_sgpr_workgroup_id_y 1
		.amdhsa_system_sgpr_workgroup_id_z 1
		.amdhsa_system_sgpr_workgroup_info 0
		.amdhsa_system_vgpr_workitem_id 1
		.amdhsa_next_free_vgpr 38
		.amdhsa_next_free_sgpr 61
		.amdhsa_reserve_vcc 1
		.amdhsa_reserve_flat_scratch 0
		.amdhsa_float_round_mode_32 0
		.amdhsa_float_round_mode_16_64 0
		.amdhsa_float_denorm_mode_32 3
		.amdhsa_float_denorm_mode_16_64 3
		.amdhsa_dx10_clamp 1
		.amdhsa_ieee_mode 1
		.amdhsa_fp16_overflow 0
		.amdhsa_exception_fp_ieee_invalid_op 0
		.amdhsa_exception_fp_denorm_src 0
		.amdhsa_exception_fp_ieee_div_zero 0
		.amdhsa_exception_fp_ieee_overflow 0
		.amdhsa_exception_fp_ieee_underflow 0
		.amdhsa_exception_fp_ieee_inexact 0
		.amdhsa_exception_int_div_zero 0
	.end_amdhsa_kernel
	.section	.text._ZL13mul_mat_vec_qIL9ggml_type6ELi4ELb0ELb0EEvPKvS2_PKi31ggml_cuda_mm_fusion_args_devicePfj15HIP_vector_typeIjLj3EEjjjS8_jjjS8_jjjj,"axG",@progbits,_ZL13mul_mat_vec_qIL9ggml_type6ELi4ELb0ELb0EEvPKvS2_PKi31ggml_cuda_mm_fusion_args_devicePfj15HIP_vector_typeIjLj3EEjjjS8_jjjS8_jjjj,comdat
.Lfunc_end43:
	.size	_ZL13mul_mat_vec_qIL9ggml_type6ELi4ELb0ELb0EEvPKvS2_PKi31ggml_cuda_mm_fusion_args_devicePfj15HIP_vector_typeIjLj3EEjjjS8_jjjS8_jjjj, .Lfunc_end43-_ZL13mul_mat_vec_qIL9ggml_type6ELi4ELb0ELb0EEvPKvS2_PKi31ggml_cuda_mm_fusion_args_devicePfj15HIP_vector_typeIjLj3EEjjjS8_jjjS8_jjjj
                                        ; -- End function
	.set _ZL13mul_mat_vec_qIL9ggml_type6ELi4ELb0ELb0EEvPKvS2_PKi31ggml_cuda_mm_fusion_args_devicePfj15HIP_vector_typeIjLj3EEjjjS8_jjjS8_jjjj.num_vgpr, 38
	.set _ZL13mul_mat_vec_qIL9ggml_type6ELi4ELb0ELb0EEvPKvS2_PKi31ggml_cuda_mm_fusion_args_devicePfj15HIP_vector_typeIjLj3EEjjjS8_jjjS8_jjjj.num_agpr, 0
	.set _ZL13mul_mat_vec_qIL9ggml_type6ELi4ELb0ELb0EEvPKvS2_PKi31ggml_cuda_mm_fusion_args_devicePfj15HIP_vector_typeIjLj3EEjjjS8_jjjS8_jjjj.numbered_sgpr, 26
	.set _ZL13mul_mat_vec_qIL9ggml_type6ELi4ELb0ELb0EEvPKvS2_PKi31ggml_cuda_mm_fusion_args_devicePfj15HIP_vector_typeIjLj3EEjjjS8_jjjS8_jjjj.num_named_barrier, 0
	.set _ZL13mul_mat_vec_qIL9ggml_type6ELi4ELb0ELb0EEvPKvS2_PKi31ggml_cuda_mm_fusion_args_devicePfj15HIP_vector_typeIjLj3EEjjjS8_jjjS8_jjjj.private_seg_size, 0
	.set _ZL13mul_mat_vec_qIL9ggml_type6ELi4ELb0ELb0EEvPKvS2_PKi31ggml_cuda_mm_fusion_args_devicePfj15HIP_vector_typeIjLj3EEjjjS8_jjjS8_jjjj.uses_vcc, 1
	.set _ZL13mul_mat_vec_qIL9ggml_type6ELi4ELb0ELb0EEvPKvS2_PKi31ggml_cuda_mm_fusion_args_devicePfj15HIP_vector_typeIjLj3EEjjjS8_jjjS8_jjjj.uses_flat_scratch, 0
	.set _ZL13mul_mat_vec_qIL9ggml_type6ELi4ELb0ELb0EEvPKvS2_PKi31ggml_cuda_mm_fusion_args_devicePfj15HIP_vector_typeIjLj3EEjjjS8_jjjS8_jjjj.has_dyn_sized_stack, 0
	.set _ZL13mul_mat_vec_qIL9ggml_type6ELi4ELb0ELb0EEvPKvS2_PKi31ggml_cuda_mm_fusion_args_devicePfj15HIP_vector_typeIjLj3EEjjjS8_jjjS8_jjjj.has_recursion, 0
	.set _ZL13mul_mat_vec_qIL9ggml_type6ELi4ELb0ELb0EEvPKvS2_PKi31ggml_cuda_mm_fusion_args_devicePfj15HIP_vector_typeIjLj3EEjjjS8_jjjS8_jjjj.has_indirect_call, 0
	.section	.AMDGPU.csdata,"",@progbits
; Kernel info:
; codeLenInByte = 3256
; TotalNumSgprs: 30
; NumVgprs: 38
; ScratchSize: 0
; MemoryBound: 0
; FloatMode: 240
; IeeeMode: 1
; LDSByteSize: 2048 bytes/workgroup (compile time only)
; SGPRBlocks: 8
; VGPRBlocks: 9
; NumSGPRsForWavesPerEU: 65
; NumVGPRsForWavesPerEU: 38
; Occupancy: 6
; WaveLimiterHint : 0
; COMPUTE_PGM_RSRC2:SCRATCH_EN: 0
; COMPUTE_PGM_RSRC2:USER_SGPR: 6
; COMPUTE_PGM_RSRC2:TRAP_HANDLER: 0
; COMPUTE_PGM_RSRC2:TGID_X_EN: 1
; COMPUTE_PGM_RSRC2:TGID_Y_EN: 1
; COMPUTE_PGM_RSRC2:TGID_Z_EN: 1
; COMPUTE_PGM_RSRC2:TIDIG_COMP_CNT: 1
	.section	.text._ZL13mul_mat_vec_qIL9ggml_type6ELi5ELb0ELb0EEvPKvS2_PKi31ggml_cuda_mm_fusion_args_devicePfj15HIP_vector_typeIjLj3EEjjjS8_jjjS8_jjjj,"axG",@progbits,_ZL13mul_mat_vec_qIL9ggml_type6ELi5ELb0ELb0EEvPKvS2_PKi31ggml_cuda_mm_fusion_args_devicePfj15HIP_vector_typeIjLj3EEjjjS8_jjjS8_jjjj,comdat
	.globl	_ZL13mul_mat_vec_qIL9ggml_type6ELi5ELb0ELb0EEvPKvS2_PKi31ggml_cuda_mm_fusion_args_devicePfj15HIP_vector_typeIjLj3EEjjjS8_jjjS8_jjjj ; -- Begin function _ZL13mul_mat_vec_qIL9ggml_type6ELi5ELb0ELb0EEvPKvS2_PKi31ggml_cuda_mm_fusion_args_devicePfj15HIP_vector_typeIjLj3EEjjjS8_jjjS8_jjjj
	.p2align	8
	.type	_ZL13mul_mat_vec_qIL9ggml_type6ELi5ELb0ELb0EEvPKvS2_PKi31ggml_cuda_mm_fusion_args_devicePfj15HIP_vector_typeIjLj3EEjjjS8_jjjS8_jjjj,@function
_ZL13mul_mat_vec_qIL9ggml_type6ELi5ELb0ELb0EEvPKvS2_PKi31ggml_cuda_mm_fusion_args_devicePfj15HIP_vector_typeIjLj3EEjjjS8_jjjS8_jjjj: ; @_ZL13mul_mat_vec_qIL9ggml_type6ELi5ELb0ELb0EEvPKvS2_PKi31ggml_cuda_mm_fusion_args_devicePfj15HIP_vector_typeIjLj3EEjjjS8_jjjS8_jjjj
; %bb.0:
	s_load_dword s9, s[4:5], 0x40
	s_load_dwordx4 s[0:3], s[4:5], 0x50
	s_load_dword s25, s[4:5], 0x60
	s_load_dwordx4 s[12:15], s[4:5], 0x68
	;; [unrolled: 2-line block ×3, first 2 shown]
	v_lshl_or_b32 v2, v1, 6, v0
	s_waitcnt lgkmcnt(0)
	s_lshr_b32 s9, s9, 5
	v_lshrrev_b16_e32 v14, 1, v2
	v_mov_b32_e32 v4, 0
	s_lshl_b32 s6, s6, 1
	v_cmp_gt_u32_e32 vcc, s9, v14
	v_mov_b32_e32 v5, v4
	v_mov_b32_e32 v6, v4
	;; [unrolled: 1-line block ×9, first 2 shown]
	s_and_saveexec_b64 s[10:11], vcc
	s_cbranch_execz .LBB44_4
; %bb.1:
	s_load_dwordx4 s[20:23], s[4:5], 0x0
	s_mul_i32 s17, s17, s8
	s_mul_hi_u32 s19, s17, 36
	s_mul_i32 s17, s17, 36
	s_mul_i32 s13, s13, s7
	s_waitcnt lgkmcnt(0)
	s_add_u32 s17, s22, s17
	s_addc_u32 s19, s23, s19
	s_mul_hi_u32 s23, s13, 36
	s_mul_i32 s13, s13, 36
	s_add_u32 s22, s17, s13
	s_mul_hi_u32 s3, s3, s7
	s_addc_u32 s23, s19, s23
	s_add_i32 s3, s7, s3
	s_lshr_b32 s3, s3, s25
	s_mul_i32 s3, s3, s12
	s_mul_hi_u32 s12, s15, s8
	s_add_i32 s12, s8, s12
	s_lshr_b32 s12, s12, s24
	s_mul_i32 s12, s12, s16
	v_lshlrev_b32_e32 v3, 1, v0
	s_add_i32 s13, s6, 1
	v_and_b32_e32 v5, 2, v3
	s_add_i32 s12, s12, s3
	s_mul_i32 s3, s6, s0
	s_mul_i32 s0, s0, s13
	v_and_b32_e32 v3, 1, v0
	v_lshrrev_b32_e32 v2, 1, v2
	s_add_i32 s3, s12, s3
	s_add_i32 s0, s12, s0
	v_lshlrev_b32_e32 v17, 3, v3
	v_mad_u64_u32 v[2:3], s[12:13], v2, 36, s[22:23]
	v_lshlrev_b32_e32 v6, 1, v5
	v_mov_b32_e32 v4, 0
	v_lshlrev_b32_e32 v15, 2, v5
	v_or_b32_e32 v16, 4, v15
	s_lshl_b32 s15, s1, 1
	s_mul_i32 s16, s1, 3
	s_lshl_b32 s17, s1, 2
	s_mov_b64 s[12:13], 0
	v_lshlrev_b32_e32 v18, 1, v6
	v_lshlrev_b32_e32 v19, 2, v5
	v_mov_b32_e32 v5, v4
	v_mov_b32_e32 v6, v4
	;; [unrolled: 1-line block ×9, first 2 shown]
.LBB44_2:                               ; =>This Inner Loop Header: Depth=1
	v_add_co_u32_e32 v20, vcc, v2, v17
	v_addc_co_u32_e32 v21, vcc, 0, v3, vcc
	global_load_dwordx2 v[28:29], v[20:21], off offset:4
	global_load_dwordx2 v[30:31], v[20:21], off offset:20
	global_load_dword v34, v[2:3], off
	v_add_u32_e32 v22, s3, v14
	s_waitcnt vmcnt(0)
	v_cvt_f32_f16_sdwa v20, v34 dst_sel:DWORD dst_unused:UNUSED_PAD src0_sel:WORD_1
	v_mul_f32_e32 v35, 0x41000000, v20
	v_mad_i64_i32 v[20:21], s[24:25], v22, 22, s[20:21]
	global_load_dword v25, v[20:21], off offset:2
	v_add_co_u32_e32 v22, vcc, v20, v18
	v_addc_co_u32_e32 v23, vcc, 0, v21, vcc
	global_load_dwordx2 v[23:24], v[22:23], off offset:6
	s_nop 0
	global_load_ushort v20, v[20:21], off
	s_waitcnt vmcnt(2)
	v_ashrrev_i32_e32 v22, v15, v25
	v_lshlrev_b32_e32 v26, 4, v22
	v_lshlrev_b32_e32 v27, 11, v22
	v_and_b32_e32 v26, 16, v26
	v_and_b32_e32 v27, 0x1000, v27
	s_waitcnt vmcnt(1)
	v_and_b32_e32 v21, 0xf0f0f0f, v23
	v_or3_b32 v21, v26, v21, v27
	v_lshlrev_b32_e32 v26, 18, v22
	v_lshlrev_b32_e32 v27, 25, v22
	v_and_b32_e32 v26, 0x100000, v26
	v_and_b32_e32 v27, 0x10000000, v27
	v_or3_b32 v21, v21, v26, v27
	v_lshrrev_b32_e32 v27, 12, v22
	v_lshrrev_b32_e32 v32, 5, v22
	v_lshlrev_b32_e32 v33, 2, v22
	v_lshrrev_b32_e32 v23, 4, v23
	v_and_b32_e32 v27, 16, v27
	v_and_b32_e32 v32, 0x1000, v32
	v_and_b32_e32 v33, 0x100000, v33
	v_lshlrev_b32_e32 v22, 9, v22
	v_ashrrev_i32_e32 v25, v16, v25
	v_and_b32_e32 v23, 0xf0f0f0f, v23
	v_and_b32_e32 v22, 0x10000000, v22
	v_or3_b32 v27, v32, v27, v33
	v_or3_b32 v22, v27, v22, v23
	v_lshlrev_b32_e32 v27, 4, v25
	v_lshlrev_b32_e32 v32, 11, v25
	v_lshlrev_b32_e32 v33, 18, v25
	v_and_b32_e32 v27, 16, v27
	v_and_b32_e32 v32, 0x1000, v32
	;; [unrolled: 1-line block ×3, first 2 shown]
	v_lshlrev_b32_e32 v36, 25, v25
	v_and_b32_e32 v23, 0xf0f0f0f, v24
	v_and_b32_e32 v36, 0x10000000, v36
	v_or3_b32 v27, v32, v27, v33
	v_or3_b32 v23, v27, v36, v23
	v_lshrrev_b32_e32 v27, 12, v25
	v_lshrrev_b32_e32 v32, 5, v25
	v_lshlrev_b32_e32 v33, 2, v25
	v_dot4_i32_i8 v26, v21, v28, 0
	v_lshrrev_b32_e32 v24, 4, v24
	v_and_b32_e32 v27, 16, v27
	v_and_b32_e32 v32, 0x1000, v32
	;; [unrolled: 1-line block ×3, first 2 shown]
	v_lshlrev_b32_e32 v25, 9, v25
	v_dot4_i32_i8 v26, v22, v30, v26
	v_and_b32_e32 v24, 0xf0f0f0f, v24
	v_and_b32_e32 v25, 0x10000000, v25
	v_or3_b32 v27, v32, v27, v33
	v_dot4_i32_i8 v26, v23, v29, v26
	v_or3_b32 v24, v27, v25, v24
	v_dot4_i32_i8 v25, v24, v31, v26
	v_cvt_f32_i32_e32 v25, v25
	v_fma_mix_f32 v25, v34, v25, -v35 op_sel_hi:[1,0,0]
	s_waitcnt vmcnt(0)
	v_fma_mix_f32 v13, v25, v20, v13 op_sel_hi:[0,1,0]
	v_add_u32_e32 v25, s0, v14
	v_mad_i64_i32 v[25:26], s[24:25], v25, 22, s[20:21]
	global_load_dword v27, v[25:26], off offset:2
	v_add_co_u32_e32 v32, vcc, v25, v18
	v_addc_co_u32_e32 v33, vcc, 0, v26, vcc
	global_load_dwordx2 v[32:33], v[32:33], off offset:6
	s_waitcnt vmcnt(1)
	v_ashrrev_i32_e32 v36, v15, v27
	global_load_ushort v25, v[25:26], off
	v_ashrrev_i32_e32 v37, v16, v27
	v_lshlrev_b32_e32 v27, 4, v36
	v_lshlrev_b32_e32 v38, 11, v36
	s_waitcnt vmcnt(1)
	v_and_b32_e32 v26, 0xf0f0f0f, v32
	v_and_b32_e32 v27, 16, v27
	;; [unrolled: 1-line block ×3, first 2 shown]
	v_or3_b32 v26, v27, v26, v38
	v_lshlrev_b32_e32 v27, 18, v36
	v_lshlrev_b32_e32 v38, 25, v36
	v_and_b32_e32 v27, 0x100000, v27
	v_and_b32_e32 v38, 0x10000000, v38
	v_or3_b32 v26, v26, v27, v38
	v_lshrrev_b32_e32 v27, 4, v32
	v_lshrrev_b32_e32 v32, 12, v36
	;; [unrolled: 1-line block ×3, first 2 shown]
	v_lshlrev_b32_e32 v39, 2, v36
	v_and_b32_e32 v32, 16, v32
	v_and_b32_e32 v38, 0x1000, v38
	;; [unrolled: 1-line block ×3, first 2 shown]
	v_lshlrev_b32_e32 v36, 9, v36
	v_and_b32_e32 v27, 0xf0f0f0f, v27
	v_and_b32_e32 v36, 0x10000000, v36
	v_or3_b32 v32, v38, v32, v39
	v_or3_b32 v27, v32, v36, v27
	v_lshlrev_b32_e32 v32, 4, v37
	v_lshlrev_b32_e32 v36, 11, v37
	;; [unrolled: 1-line block ×3, first 2 shown]
	v_dot4_i32_i8 v28, v26, v28, 0
	v_and_b32_e32 v32, 16, v32
	v_and_b32_e32 v36, 0x1000, v36
	;; [unrolled: 1-line block ×3, first 2 shown]
	v_lshlrev_b32_e32 v39, 25, v37
	v_dot4_i32_i8 v30, v27, v30, v28
	v_and_b32_e32 v28, 0xf0f0f0f, v33
	v_and_b32_e32 v39, 0x10000000, v39
	v_or3_b32 v32, v36, v32, v38
	v_or3_b32 v28, v32, v39, v28
	v_dot4_i32_i8 v30, v28, v29, v30
	v_lshrrev_b32_e32 v29, 4, v33
	v_lshrrev_b32_e32 v32, 12, v37
	;; [unrolled: 1-line block ×3, first 2 shown]
	v_lshlrev_b32_e32 v36, 2, v37
	v_and_b32_e32 v32, 16, v32
	v_and_b32_e32 v33, 0x1000, v33
	;; [unrolled: 1-line block ×3, first 2 shown]
	v_lshlrev_b32_e32 v37, 9, v37
	v_and_b32_e32 v29, 0xf0f0f0f, v29
	v_and_b32_e32 v37, 0x10000000, v37
	v_or3_b32 v32, v33, v32, v36
	v_or3_b32 v29, v32, v37, v29
	v_dot4_i32_i8 v30, v29, v31, v30
	v_cvt_f32_i32_e32 v30, v30
	v_fma_mix_f32 v30, v34, v30, -v35 op_sel_hi:[1,0,0]
	s_waitcnt vmcnt(0)
	v_fma_mix_f32 v12, v30, v25, v12 op_sel_hi:[0,1,0]
	v_add_u32_e32 v30, s1, v14
	v_mad_u64_u32 v[30:31], s[24:25], v30, 36, s[22:23]
	v_add_co_u32_e32 v32, vcc, v30, v19
	v_addc_co_u32_e32 v33, vcc, 0, v31, vcc
	global_load_dwordx2 v[34:35], v[32:33], off offset:4
	global_load_dwordx2 v[36:37], v[32:33], off offset:20
	global_load_dword v38, v[30:31], off
	s_waitcnt vmcnt(2)
	v_dot4_i32_i8 v31, v21, v34, 0
	s_waitcnt vmcnt(1)
	v_dot4_i32_i8 v31, v22, v36, v31
	v_dot4_i32_i8 v31, v23, v35, v31
	s_waitcnt vmcnt(0)
	v_cvt_f32_f16_sdwa v30, v38 dst_sel:DWORD dst_unused:UNUSED_PAD src0_sel:WORD_1
	v_dot4_i32_i8 v31, v24, v37, v31
	v_cvt_f32_i32_e32 v31, v31
	v_mul_f32_e32 v30, 0x41000000, v30
	v_fma_mix_f32 v31, v38, v31, -v30 op_sel_hi:[1,0,0]
	v_fma_mix_f32 v11, v31, v20, v11 op_sel_hi:[0,1,0]
	v_dot4_i32_i8 v31, v26, v34, 0
	v_dot4_i32_i8 v31, v27, v36, v31
	v_dot4_i32_i8 v31, v28, v35, v31
	v_dot4_i32_i8 v31, v29, v37, v31
	v_cvt_f32_i32_e32 v31, v31
	v_fma_mix_f32 v30, v38, v31, -v30 op_sel_hi:[1,0,0]
	v_fma_mix_f32 v10, v30, v25, v10 op_sel_hi:[0,1,0]
	v_add_u32_e32 v30, s15, v14
	v_mad_u64_u32 v[30:31], s[24:25], v30, 36, s[22:23]
	v_add_co_u32_e32 v32, vcc, v30, v19
	v_addc_co_u32_e32 v33, vcc, 0, v31, vcc
	global_load_dwordx2 v[34:35], v[32:33], off offset:4
	global_load_dwordx2 v[36:37], v[32:33], off offset:20
	global_load_dword v38, v[30:31], off
	s_waitcnt vmcnt(2)
	v_dot4_i32_i8 v31, v21, v34, 0
	s_waitcnt vmcnt(1)
	v_dot4_i32_i8 v31, v22, v36, v31
	v_dot4_i32_i8 v31, v23, v35, v31
	s_waitcnt vmcnt(0)
	v_cvt_f32_f16_sdwa v30, v38 dst_sel:DWORD dst_unused:UNUSED_PAD src0_sel:WORD_1
	v_dot4_i32_i8 v31, v24, v37, v31
	v_cvt_f32_i32_e32 v31, v31
	v_mul_f32_e32 v30, 0x41000000, v30
	v_fma_mix_f32 v31, v38, v31, -v30 op_sel_hi:[1,0,0]
	v_fma_mix_f32 v9, v31, v20, v9 op_sel_hi:[0,1,0]
	v_dot4_i32_i8 v31, v26, v34, 0
	v_dot4_i32_i8 v31, v27, v36, v31
	v_dot4_i32_i8 v31, v28, v35, v31
	v_dot4_i32_i8 v31, v29, v37, v31
	v_cvt_f32_i32_e32 v31, v31
	v_fma_mix_f32 v30, v38, v31, -v30 op_sel_hi:[1,0,0]
	;; [unrolled: 26-line block ×3, first 2 shown]
	v_fma_mix_f32 v6, v30, v25, v6 op_sel_hi:[0,1,0]
	v_add_u32_e32 v30, s17, v14
	v_mad_u64_u32 v[30:31], s[24:25], v30, 36, s[22:23]
	v_add_u32_e32 v14, 32, v14
	v_add_co_u32_e32 v32, vcc, v30, v19
	v_addc_co_u32_e32 v33, vcc, 0, v31, vcc
	global_load_dwordx2 v[34:35], v[32:33], off offset:4
	global_load_dwordx2 v[36:37], v[32:33], off offset:20
	global_load_dword v38, v[30:31], off
	v_add_co_u32_e32 v2, vcc, 0x480, v2
	v_addc_co_u32_e32 v3, vcc, 0, v3, vcc
	v_cmp_le_u32_e32 vcc, s9, v14
	s_or_b64 s[12:13], vcc, s[12:13]
	s_waitcnt vmcnt(2)
	v_dot4_i32_i8 v21, v21, v34, 0
	s_waitcnt vmcnt(1)
	v_dot4_i32_i8 v21, v22, v36, v21
	v_dot4_i32_i8 v21, v23, v35, v21
	s_waitcnt vmcnt(0)
	v_cvt_f32_f16_sdwa v30, v38 dst_sel:DWORD dst_unused:UNUSED_PAD src0_sel:WORD_1
	v_dot4_i32_i8 v21, v24, v37, v21
	v_cvt_f32_i32_e32 v21, v21
	v_mul_f32_e32 v30, 0x41000000, v30
	v_fma_mix_f32 v21, v38, v21, -v30 op_sel_hi:[1,0,0]
	v_fma_mix_f32 v5, v21, v20, v5 op_sel_hi:[0,1,0]
	v_dot4_i32_i8 v20, v26, v34, 0
	v_dot4_i32_i8 v20, v27, v36, v20
	;; [unrolled: 1-line block ×4, first 2 shown]
	v_cvt_f32_i32_e32 v20, v20
	v_fma_mix_f32 v20, v38, v20, -v30 op_sel_hi:[1,0,0]
	v_fma_mix_f32 v4, v20, v25, v4 op_sel_hi:[0,1,0]
	s_andn2_b64 exec, exec, s[12:13]
	s_cbranch_execnz .LBB44_2
; %bb.3:
	s_or_b64 exec, exec, s[12:13]
.LBB44_4:
	s_or_b64 exec, exec, s[10:11]
	s_mov_b32 s1, 0
	v_cmp_eq_u32_e32 vcc, 0, v1
	; wave barrier
	s_and_saveexec_b64 s[10:11], vcc
	s_cbranch_execz .LBB44_15
; %bb.5:
	v_mbcnt_lo_u32_b32 v1, -1, 0
	v_mbcnt_hi_u32_b32 v15, -1, v1
	v_and_b32_e32 v1, 64, v15
	v_add_u32_e32 v16, 64, v1
	v_xor_b32_e32 v1, 32, v15
	v_cmp_lt_i32_e32 vcc, v1, v16
	v_cndmask_b32_e32 v1, v15, v1, vcc
	v_lshlrev_b32_e32 v1, 2, v1
	ds_bpermute_b32 v17, v1, v13
	ds_bpermute_b32 v18, v1, v12
	v_xor_b32_e32 v2, 16, v15
	v_cmp_lt_i32_e32 vcc, v2, v16
	v_cndmask_b32_e32 v2, v15, v2, vcc
	v_lshlrev_b32_e32 v2, 2, v2
	s_waitcnt lgkmcnt(1)
	v_add_f32_e32 v13, v13, v17
	s_waitcnt lgkmcnt(0)
	v_add_f32_e32 v12, v12, v18
	ds_bpermute_b32 v17, v2, v13
	ds_bpermute_b32 v18, v2, v12
	v_xor_b32_e32 v3, 8, v15
	v_cmp_lt_i32_e32 vcc, v3, v16
	v_cndmask_b32_e32 v3, v15, v3, vcc
	v_lshlrev_b32_e32 v3, 2, v3
	s_waitcnt lgkmcnt(1)
	v_add_f32_e32 v13, v13, v17
	s_waitcnt lgkmcnt(0)
	v_add_f32_e32 v18, v12, v18
	;; [unrolled: 10-line block ×3, first 2 shown]
	ds_bpermute_b32 v17, v14, v13
	ds_bpermute_b32 v20, v14, v18
	v_xor_b32_e32 v19, 2, v15
	v_cmp_lt_i32_e32 vcc, v19, v16
	v_cndmask_b32_e32 v19, v15, v19, vcc
	v_lshlrev_b32_e32 v12, 2, v19
	v_xor_b32_e32 v19, 1, v15
	v_cmp_lt_i32_e32 vcc, v19, v16
	s_waitcnt lgkmcnt(1)
	v_add_f32_e32 v13, v13, v17
	s_waitcnt lgkmcnt(0)
	v_add_f32_e32 v18, v18, v20
	v_cndmask_b32_e32 v15, v15, v19, vcc
	ds_bpermute_b32 v17, v12, v13
	ds_bpermute_b32 v19, v12, v18
	s_load_dwordx2 s[4:5], s[4:5], 0x38
	s_mul_i32 s3, s14, s7
	v_lshlrev_b32_e32 v16, 2, v15
	s_waitcnt lgkmcnt(0)
	v_add_f32_e32 v13, v13, v17
	v_add_f32_e32 v17, v18, v19
	s_mul_i32 s0, s18, s8
	s_add_i32 s3, s3, s6
	ds_bpermute_b32 v15, v16, v13
	ds_bpermute_b32 v18, v16, v17
	s_add_i32 s0, s3, s0
	s_lshl_b64 s[0:1], s[0:1], 2
	s_add_u32 s4, s4, s0
	v_add_u32_e32 v19, s6, v0
	s_addc_u32 s5, s5, s1
	v_cmp_gt_u32_e32 vcc, 2, v0
	v_cmp_gt_u32_e64 s[0:1], s2, v19
	s_and_b64 s[0:1], vcc, s[0:1]
	s_waitcnt lgkmcnt(1)
	v_add_f32_e32 v13, v13, v15
	s_waitcnt lgkmcnt(0)
	v_add_f32_e32 v15, v17, v18
	s_and_saveexec_b64 s[6:7], s[0:1]
	s_cbranch_execz .LBB44_7
; %bb.6:
	v_cmp_eq_u32_e32 vcc, 1, v0
	v_cndmask_b32_e32 v17, v13, v15, vcc
	v_cmp_eq_u32_e32 vcc, 2, v0
	v_cndmask_b32_e32 v17, v17, v11, vcc
	;; [unrolled: 2-line block ×9, first 2 shown]
	v_lshlrev_b32_e32 v18, 2, v0
	global_store_dword v18, v17, s[4:5]
.LBB44_7:
	s_or_b64 exec, exec, s[6:7]
	ds_bpermute_b32 v17, v1, v11
	ds_bpermute_b32 v18, v1, v10
	s_waitcnt lgkmcnt(1)
	v_add_f32_e32 v11, v11, v17
	s_waitcnt lgkmcnt(0)
	v_add_f32_e32 v10, v10, v18
	ds_bpermute_b32 v17, v2, v11
	ds_bpermute_b32 v18, v2, v10
	s_waitcnt lgkmcnt(1)
	v_add_f32_e32 v11, v11, v17
	s_waitcnt lgkmcnt(0)
	v_add_f32_e32 v10, v10, v18
	;; [unrolled: 6-line block ×6, first 2 shown]
	s_and_saveexec_b64 s[6:7], s[0:1]
	s_cbranch_execz .LBB44_9
; %bb.8:
	v_add_u32_e32 v17, 2, v0
	v_cmp_eq_u32_e32 vcc, 1, v17
	v_cndmask_b32_e32 v18, v13, v15, vcc
	v_cmp_eq_u32_e32 vcc, 2, v17
	v_cndmask_b32_e32 v18, v18, v11, vcc
	;; [unrolled: 2-line block ×9, first 2 shown]
	v_add_u32_e32 v17, s2, v0
	v_mov_b32_e32 v18, 0
	v_lshlrev_b64 v[17:18], 2, v[17:18]
	v_mov_b32_e32 v20, s5
	v_add_co_u32_e32 v17, vcc, s4, v17
	v_addc_co_u32_e32 v18, vcc, v20, v18, vcc
	global_store_dword v[17:18], v19, off
.LBB44_9:
	s_or_b64 exec, exec, s[6:7]
	ds_bpermute_b32 v17, v1, v9
	ds_bpermute_b32 v18, v1, v8
	s_waitcnt lgkmcnt(1)
	v_add_f32_e32 v9, v9, v17
	s_waitcnt lgkmcnt(0)
	v_add_f32_e32 v8, v8, v18
	ds_bpermute_b32 v17, v2, v9
	ds_bpermute_b32 v18, v2, v8
	s_waitcnt lgkmcnt(1)
	v_add_f32_e32 v9, v9, v17
	s_waitcnt lgkmcnt(0)
	v_add_f32_e32 v8, v8, v18
	;; [unrolled: 6-line block ×6, first 2 shown]
	s_and_saveexec_b64 s[6:7], s[0:1]
	s_cbranch_execz .LBB44_11
; %bb.10:
	v_add_u32_e32 v17, 4, v0
	v_cmp_eq_u32_e32 vcc, 1, v17
	v_cndmask_b32_e32 v18, v13, v15, vcc
	v_cmp_eq_u32_e32 vcc, 2, v17
	v_cndmask_b32_e32 v18, v18, v11, vcc
	;; [unrolled: 2-line block ×9, first 2 shown]
	v_lshl_or_b32 v17, s2, 1, v0
	v_mov_b32_e32 v18, 0
	v_lshlrev_b64 v[17:18], 2, v[17:18]
	v_mov_b32_e32 v20, s5
	v_add_co_u32_e32 v17, vcc, s4, v17
	v_addc_co_u32_e32 v18, vcc, v20, v18, vcc
	global_store_dword v[17:18], v19, off
.LBB44_11:
	s_or_b64 exec, exec, s[6:7]
	ds_bpermute_b32 v17, v1, v7
	ds_bpermute_b32 v18, v1, v6
	s_waitcnt lgkmcnt(1)
	v_add_f32_e32 v7, v7, v17
	s_waitcnt lgkmcnt(0)
	v_add_f32_e32 v6, v6, v18
	ds_bpermute_b32 v17, v2, v7
	ds_bpermute_b32 v18, v2, v6
	s_waitcnt lgkmcnt(1)
	v_add_f32_e32 v7, v7, v17
	s_waitcnt lgkmcnt(0)
	v_add_f32_e32 v6, v6, v18
	;; [unrolled: 6-line block ×6, first 2 shown]
	s_and_saveexec_b64 s[6:7], s[0:1]
	s_cbranch_execz .LBB44_13
; %bb.12:
	v_add_u32_e32 v19, 6, v0
	v_cmp_eq_u32_e32 vcc, 1, v19
	v_cndmask_b32_e32 v17, v13, v15, vcc
	v_cmp_eq_u32_e32 vcc, 2, v19
	v_cndmask_b32_e32 v17, v17, v11, vcc
	;; [unrolled: 2-line block ×8, first 2 shown]
	v_mad_u64_u32 v[17:18], s[8:9], s2, 3, v[0:1]
	v_mov_b32_e32 v18, 0
	v_cmp_eq_u32_e32 vcc, 9, v19
	v_lshlrev_b64 v[17:18], 2, v[17:18]
	v_cndmask_b32_e32 v19, v20, v4, vcc
	v_mov_b32_e32 v20, s5
	v_add_co_u32_e32 v17, vcc, s4, v17
	v_addc_co_u32_e32 v18, vcc, v20, v18, vcc
	global_store_dword v[17:18], v19, off
.LBB44_13:
	s_or_b64 exec, exec, s[6:7]
	ds_bpermute_b32 v17, v1, v5
	ds_bpermute_b32 v1, v1, v4
	s_waitcnt lgkmcnt(1)
	v_add_f32_e32 v5, v5, v17
	s_waitcnt lgkmcnt(0)
	v_add_f32_e32 v1, v4, v1
	ds_bpermute_b32 v4, v2, v5
	ds_bpermute_b32 v2, v2, v1
	s_waitcnt lgkmcnt(1)
	v_add_f32_e32 v4, v5, v4
	s_waitcnt lgkmcnt(0)
	v_add_f32_e32 v1, v1, v2
	;; [unrolled: 6-line block ×5, first 2 shown]
	ds_bpermute_b32 v3, v16, v1
	ds_bpermute_b32 v4, v16, v2
	s_and_b64 exec, exec, s[0:1]
	s_cbranch_execz .LBB44_15
; %bb.14:
	s_waitcnt lgkmcnt(1)
	v_add_f32_e32 v1, v1, v3
	v_add_u32_e32 v3, 8, v0
	v_cmp_eq_u32_e32 vcc, 1, v3
	s_waitcnt lgkmcnt(0)
	v_add_f32_e32 v2, v2, v4
	v_cndmask_b32_e32 v4, v13, v15, vcc
	v_cmp_eq_u32_e32 vcc, 2, v3
	v_cndmask_b32_e32 v4, v4, v11, vcc
	v_cmp_eq_u32_e32 vcc, 3, v3
	;; [unrolled: 2-line block ×8, first 2 shown]
	v_cndmask_b32_e32 v2, v1, v2, vcc
	v_lshl_or_b32 v0, s2, 2, v0
	v_mov_b32_e32 v1, 0
	v_lshlrev_b64 v[0:1], 2, v[0:1]
	v_mov_b32_e32 v3, s5
	v_add_co_u32_e32 v0, vcc, s4, v0
	v_addc_co_u32_e32 v1, vcc, v3, v1, vcc
	global_store_dword v[0:1], v2, off
.LBB44_15:
	s_endpgm
	.section	.rodata,"a",@progbits
	.p2align	6, 0x0
	.amdhsa_kernel _ZL13mul_mat_vec_qIL9ggml_type6ELi5ELb0ELb0EEvPKvS2_PKi31ggml_cuda_mm_fusion_args_devicePfj15HIP_vector_typeIjLj3EEjjjS8_jjjS8_jjjj
		.amdhsa_group_segment_fixed_size 0
		.amdhsa_private_segment_fixed_size 0
		.amdhsa_kernarg_size 144
		.amdhsa_user_sgpr_count 6
		.amdhsa_user_sgpr_private_segment_buffer 1
		.amdhsa_user_sgpr_dispatch_ptr 0
		.amdhsa_user_sgpr_queue_ptr 0
		.amdhsa_user_sgpr_kernarg_segment_ptr 1
		.amdhsa_user_sgpr_dispatch_id 0
		.amdhsa_user_sgpr_flat_scratch_init 0
		.amdhsa_user_sgpr_private_segment_size 0
		.amdhsa_uses_dynamic_stack 0
		.amdhsa_system_sgpr_private_segment_wavefront_offset 0
		.amdhsa_system_sgpr_workgroup_id_x 1
		.amdhsa_system_sgpr_workgroup_id_y 1
		.amdhsa_system_sgpr_workgroup_id_z 1
		.amdhsa_system_sgpr_workgroup_info 0
		.amdhsa_system_vgpr_workitem_id 1
		.amdhsa_next_free_vgpr 40
		.amdhsa_next_free_sgpr 26
		.amdhsa_reserve_vcc 1
		.amdhsa_reserve_flat_scratch 0
		.amdhsa_float_round_mode_32 0
		.amdhsa_float_round_mode_16_64 0
		.amdhsa_float_denorm_mode_32 3
		.amdhsa_float_denorm_mode_16_64 3
		.amdhsa_dx10_clamp 1
		.amdhsa_ieee_mode 1
		.amdhsa_fp16_overflow 0
		.amdhsa_exception_fp_ieee_invalid_op 0
		.amdhsa_exception_fp_denorm_src 0
		.amdhsa_exception_fp_ieee_div_zero 0
		.amdhsa_exception_fp_ieee_overflow 0
		.amdhsa_exception_fp_ieee_underflow 0
		.amdhsa_exception_fp_ieee_inexact 0
		.amdhsa_exception_int_div_zero 0
	.end_amdhsa_kernel
	.section	.text._ZL13mul_mat_vec_qIL9ggml_type6ELi5ELb0ELb0EEvPKvS2_PKi31ggml_cuda_mm_fusion_args_devicePfj15HIP_vector_typeIjLj3EEjjjS8_jjjS8_jjjj,"axG",@progbits,_ZL13mul_mat_vec_qIL9ggml_type6ELi5ELb0ELb0EEvPKvS2_PKi31ggml_cuda_mm_fusion_args_devicePfj15HIP_vector_typeIjLj3EEjjjS8_jjjS8_jjjj,comdat
.Lfunc_end44:
	.size	_ZL13mul_mat_vec_qIL9ggml_type6ELi5ELb0ELb0EEvPKvS2_PKi31ggml_cuda_mm_fusion_args_devicePfj15HIP_vector_typeIjLj3EEjjjS8_jjjS8_jjjj, .Lfunc_end44-_ZL13mul_mat_vec_qIL9ggml_type6ELi5ELb0ELb0EEvPKvS2_PKi31ggml_cuda_mm_fusion_args_devicePfj15HIP_vector_typeIjLj3EEjjjS8_jjjS8_jjjj
                                        ; -- End function
	.set _ZL13mul_mat_vec_qIL9ggml_type6ELi5ELb0ELb0EEvPKvS2_PKi31ggml_cuda_mm_fusion_args_devicePfj15HIP_vector_typeIjLj3EEjjjS8_jjjS8_jjjj.num_vgpr, 40
	.set _ZL13mul_mat_vec_qIL9ggml_type6ELi5ELb0ELb0EEvPKvS2_PKi31ggml_cuda_mm_fusion_args_devicePfj15HIP_vector_typeIjLj3EEjjjS8_jjjS8_jjjj.num_agpr, 0
	.set _ZL13mul_mat_vec_qIL9ggml_type6ELi5ELb0ELb0EEvPKvS2_PKi31ggml_cuda_mm_fusion_args_devicePfj15HIP_vector_typeIjLj3EEjjjS8_jjjS8_jjjj.numbered_sgpr, 26
	.set _ZL13mul_mat_vec_qIL9ggml_type6ELi5ELb0ELb0EEvPKvS2_PKi31ggml_cuda_mm_fusion_args_devicePfj15HIP_vector_typeIjLj3EEjjjS8_jjjS8_jjjj.num_named_barrier, 0
	.set _ZL13mul_mat_vec_qIL9ggml_type6ELi5ELb0ELb0EEvPKvS2_PKi31ggml_cuda_mm_fusion_args_devicePfj15HIP_vector_typeIjLj3EEjjjS8_jjjS8_jjjj.private_seg_size, 0
	.set _ZL13mul_mat_vec_qIL9ggml_type6ELi5ELb0ELb0EEvPKvS2_PKi31ggml_cuda_mm_fusion_args_devicePfj15HIP_vector_typeIjLj3EEjjjS8_jjjS8_jjjj.uses_vcc, 1
	.set _ZL13mul_mat_vec_qIL9ggml_type6ELi5ELb0ELb0EEvPKvS2_PKi31ggml_cuda_mm_fusion_args_devicePfj15HIP_vector_typeIjLj3EEjjjS8_jjjS8_jjjj.uses_flat_scratch, 0
	.set _ZL13mul_mat_vec_qIL9ggml_type6ELi5ELb0ELb0EEvPKvS2_PKi31ggml_cuda_mm_fusion_args_devicePfj15HIP_vector_typeIjLj3EEjjjS8_jjjS8_jjjj.has_dyn_sized_stack, 0
	.set _ZL13mul_mat_vec_qIL9ggml_type6ELi5ELb0ELb0EEvPKvS2_PKi31ggml_cuda_mm_fusion_args_devicePfj15HIP_vector_typeIjLj3EEjjjS8_jjjS8_jjjj.has_recursion, 0
	.set _ZL13mul_mat_vec_qIL9ggml_type6ELi5ELb0ELb0EEvPKvS2_PKi31ggml_cuda_mm_fusion_args_devicePfj15HIP_vector_typeIjLj3EEjjjS8_jjjS8_jjjj.has_indirect_call, 0
	.section	.AMDGPU.csdata,"",@progbits
; Kernel info:
; codeLenInByte = 3680
; TotalNumSgprs: 30
; NumVgprs: 40
; ScratchSize: 0
; MemoryBound: 0
; FloatMode: 240
; IeeeMode: 1
; LDSByteSize: 0 bytes/workgroup (compile time only)
; SGPRBlocks: 3
; VGPRBlocks: 9
; NumSGPRsForWavesPerEU: 30
; NumVGPRsForWavesPerEU: 40
; Occupancy: 6
; WaveLimiterHint : 0
; COMPUTE_PGM_RSRC2:SCRATCH_EN: 0
; COMPUTE_PGM_RSRC2:USER_SGPR: 6
; COMPUTE_PGM_RSRC2:TRAP_HANDLER: 0
; COMPUTE_PGM_RSRC2:TGID_X_EN: 1
; COMPUTE_PGM_RSRC2:TGID_Y_EN: 1
; COMPUTE_PGM_RSRC2:TGID_Z_EN: 1
; COMPUTE_PGM_RSRC2:TIDIG_COMP_CNT: 1
	.section	.text._ZL13mul_mat_vec_qIL9ggml_type6ELi6ELb0ELb0EEvPKvS2_PKi31ggml_cuda_mm_fusion_args_devicePfj15HIP_vector_typeIjLj3EEjjjS8_jjjS8_jjjj,"axG",@progbits,_ZL13mul_mat_vec_qIL9ggml_type6ELi6ELb0ELb0EEvPKvS2_PKi31ggml_cuda_mm_fusion_args_devicePfj15HIP_vector_typeIjLj3EEjjjS8_jjjS8_jjjj,comdat
	.globl	_ZL13mul_mat_vec_qIL9ggml_type6ELi6ELb0ELb0EEvPKvS2_PKi31ggml_cuda_mm_fusion_args_devicePfj15HIP_vector_typeIjLj3EEjjjS8_jjjS8_jjjj ; -- Begin function _ZL13mul_mat_vec_qIL9ggml_type6ELi6ELb0ELb0EEvPKvS2_PKi31ggml_cuda_mm_fusion_args_devicePfj15HIP_vector_typeIjLj3EEjjjS8_jjjS8_jjjj
	.p2align	8
	.type	_ZL13mul_mat_vec_qIL9ggml_type6ELi6ELb0ELb0EEvPKvS2_PKi31ggml_cuda_mm_fusion_args_devicePfj15HIP_vector_typeIjLj3EEjjjS8_jjjS8_jjjj,@function
_ZL13mul_mat_vec_qIL9ggml_type6ELi6ELb0ELb0EEvPKvS2_PKi31ggml_cuda_mm_fusion_args_devicePfj15HIP_vector_typeIjLj3EEjjjS8_jjjS8_jjjj: ; @_ZL13mul_mat_vec_qIL9ggml_type6ELi6ELb0ELb0EEvPKvS2_PKi31ggml_cuda_mm_fusion_args_devicePfj15HIP_vector_typeIjLj3EEjjjS8_jjjS8_jjjj
; %bb.0:
	s_load_dword s9, s[4:5], 0x40
	s_load_dwordx4 s[0:3], s[4:5], 0x50
	s_load_dword s25, s[4:5], 0x60
	s_load_dwordx4 s[12:15], s[4:5], 0x68
	;; [unrolled: 2-line block ×3, first 2 shown]
	v_lshl_or_b32 v2, v1, 6, v0
	s_waitcnt lgkmcnt(0)
	s_lshr_b32 s9, s9, 5
	v_lshrrev_b16_e32 v16, 1, v2
	v_mov_b32_e32 v4, 0
	s_lshl_b32 s6, s6, 1
	v_cmp_gt_u32_e32 vcc, s9, v16
	v_mov_b32_e32 v5, v4
	v_mov_b32_e32 v6, v4
	;; [unrolled: 1-line block ×11, first 2 shown]
	s_and_saveexec_b64 s[10:11], vcc
	s_cbranch_execz .LBB45_4
; %bb.1:
	s_load_dwordx4 s[20:23], s[4:5], 0x0
	s_mul_i32 s17, s17, s8
	s_mul_hi_u32 s19, s17, 36
	s_mul_i32 s17, s17, 36
	s_mul_i32 s13, s13, s7
	s_waitcnt lgkmcnt(0)
	s_add_u32 s17, s22, s17
	s_addc_u32 s19, s23, s19
	s_mul_hi_u32 s23, s13, 36
	s_mul_i32 s13, s13, 36
	s_add_u32 s22, s17, s13
	s_mul_hi_u32 s3, s3, s7
	s_addc_u32 s23, s19, s23
	s_add_i32 s3, s7, s3
	s_lshr_b32 s3, s3, s25
	s_mul_i32 s3, s3, s12
	s_mul_hi_u32 s12, s15, s8
	s_add_i32 s12, s8, s12
	s_lshr_b32 s12, s12, s24
	s_mul_i32 s12, s12, s16
	v_lshlrev_b32_e32 v3, 1, v0
	s_add_i32 s13, s6, 1
	v_and_b32_e32 v5, 2, v3
	s_add_i32 s12, s12, s3
	s_mul_i32 s3, s6, s0
	s_mul_i32 s0, s0, s13
	v_and_b32_e32 v3, 1, v0
	v_lshrrev_b32_e32 v2, 1, v2
	s_add_i32 s3, s12, s3
	s_add_i32 s0, s12, s0
	v_lshlrev_b32_e32 v19, 3, v3
	v_mad_u64_u32 v[2:3], s[12:13], v2, 36, s[22:23]
	v_lshlrev_b32_e32 v6, 1, v5
	v_mov_b32_e32 v4, 0
	v_lshlrev_b32_e32 v17, 2, v5
	v_or_b32_e32 v18, 4, v17
	s_lshl_b32 s15, s1, 1
	s_mul_i32 s16, s1, 3
	s_lshl_b32 s17, s1, 2
	s_mul_i32 s19, s1, 5
	s_mov_b64 s[12:13], 0
	v_lshlrev_b32_e32 v20, 1, v6
	v_lshlrev_b32_e32 v21, 2, v5
	v_mov_b32_e32 v5, v4
	v_mov_b32_e32 v6, v4
	;; [unrolled: 1-line block ×11, first 2 shown]
.LBB45_2:                               ; =>This Inner Loop Header: Depth=1
	v_add_co_u32_e32 v22, vcc, v2, v19
	v_addc_co_u32_e32 v23, vcc, 0, v3, vcc
	global_load_dwordx2 v[30:31], v[22:23], off offset:4
	global_load_dwordx2 v[32:33], v[22:23], off offset:20
	global_load_dword v36, v[2:3], off
	v_add_u32_e32 v24, s3, v16
	s_waitcnt vmcnt(0)
	v_cvt_f32_f16_sdwa v22, v36 dst_sel:DWORD dst_unused:UNUSED_PAD src0_sel:WORD_1
	v_mul_f32_e32 v37, 0x41000000, v22
	v_mad_i64_i32 v[22:23], s[24:25], v24, 22, s[20:21]
	global_load_dword v27, v[22:23], off offset:2
	v_add_co_u32_e32 v24, vcc, v22, v20
	v_addc_co_u32_e32 v25, vcc, 0, v23, vcc
	global_load_dwordx2 v[25:26], v[24:25], off offset:6
	s_nop 0
	global_load_ushort v22, v[22:23], off
	s_waitcnt vmcnt(2)
	v_ashrrev_i32_e32 v24, v17, v27
	v_lshlrev_b32_e32 v28, 4, v24
	v_lshlrev_b32_e32 v29, 11, v24
	v_and_b32_e32 v28, 16, v28
	v_and_b32_e32 v29, 0x1000, v29
	s_waitcnt vmcnt(1)
	v_and_b32_e32 v23, 0xf0f0f0f, v25
	v_or3_b32 v23, v28, v23, v29
	v_lshlrev_b32_e32 v28, 18, v24
	v_lshlrev_b32_e32 v29, 25, v24
	v_and_b32_e32 v28, 0x100000, v28
	v_and_b32_e32 v29, 0x10000000, v29
	v_or3_b32 v23, v23, v28, v29
	v_lshrrev_b32_e32 v29, 12, v24
	v_lshrrev_b32_e32 v34, 5, v24
	v_lshlrev_b32_e32 v35, 2, v24
	v_lshrrev_b32_e32 v25, 4, v25
	v_and_b32_e32 v29, 16, v29
	v_and_b32_e32 v34, 0x1000, v34
	;; [unrolled: 1-line block ×3, first 2 shown]
	v_lshlrev_b32_e32 v24, 9, v24
	v_ashrrev_i32_e32 v27, v18, v27
	v_and_b32_e32 v25, 0xf0f0f0f, v25
	v_and_b32_e32 v24, 0x10000000, v24
	v_or3_b32 v29, v34, v29, v35
	v_or3_b32 v24, v29, v24, v25
	v_lshlrev_b32_e32 v29, 4, v27
	v_lshlrev_b32_e32 v34, 11, v27
	;; [unrolled: 1-line block ×3, first 2 shown]
	v_and_b32_e32 v29, 16, v29
	v_and_b32_e32 v34, 0x1000, v34
	;; [unrolled: 1-line block ×3, first 2 shown]
	v_lshlrev_b32_e32 v38, 25, v27
	v_and_b32_e32 v25, 0xf0f0f0f, v26
	v_and_b32_e32 v38, 0x10000000, v38
	v_or3_b32 v29, v34, v29, v35
	v_or3_b32 v25, v29, v38, v25
	v_lshrrev_b32_e32 v29, 12, v27
	v_lshrrev_b32_e32 v34, 5, v27
	v_lshlrev_b32_e32 v35, 2, v27
	v_dot4_i32_i8 v28, v23, v30, 0
	v_lshrrev_b32_e32 v26, 4, v26
	v_and_b32_e32 v29, 16, v29
	v_and_b32_e32 v34, 0x1000, v34
	;; [unrolled: 1-line block ×3, first 2 shown]
	v_lshlrev_b32_e32 v27, 9, v27
	v_dot4_i32_i8 v28, v24, v32, v28
	v_and_b32_e32 v26, 0xf0f0f0f, v26
	v_and_b32_e32 v27, 0x10000000, v27
	v_or3_b32 v29, v34, v29, v35
	v_dot4_i32_i8 v28, v25, v31, v28
	v_or3_b32 v26, v29, v27, v26
	v_dot4_i32_i8 v27, v26, v33, v28
	v_cvt_f32_i32_e32 v27, v27
	v_fma_mix_f32 v27, v36, v27, -v37 op_sel_hi:[1,0,0]
	s_waitcnt vmcnt(0)
	v_fma_mix_f32 v15, v27, v22, v15 op_sel_hi:[0,1,0]
	v_add_u32_e32 v27, s0, v16
	v_mad_i64_i32 v[27:28], s[24:25], v27, 22, s[20:21]
	global_load_dword v29, v[27:28], off offset:2
	v_add_co_u32_e32 v34, vcc, v27, v20
	v_addc_co_u32_e32 v35, vcc, 0, v28, vcc
	global_load_dwordx2 v[34:35], v[34:35], off offset:6
	s_waitcnt vmcnt(1)
	v_ashrrev_i32_e32 v38, v17, v29
	global_load_ushort v27, v[27:28], off
	v_ashrrev_i32_e32 v39, v18, v29
	v_lshlrev_b32_e32 v29, 4, v38
	v_lshlrev_b32_e32 v40, 11, v38
	s_waitcnt vmcnt(1)
	v_and_b32_e32 v28, 0xf0f0f0f, v34
	v_and_b32_e32 v29, 16, v29
	;; [unrolled: 1-line block ×3, first 2 shown]
	v_or3_b32 v28, v29, v28, v40
	v_lshlrev_b32_e32 v29, 18, v38
	v_lshlrev_b32_e32 v40, 25, v38
	v_and_b32_e32 v29, 0x100000, v29
	v_and_b32_e32 v40, 0x10000000, v40
	v_or3_b32 v28, v28, v29, v40
	v_lshrrev_b32_e32 v29, 4, v34
	v_lshrrev_b32_e32 v34, 12, v38
	;; [unrolled: 1-line block ×3, first 2 shown]
	v_lshlrev_b32_e32 v41, 2, v38
	v_and_b32_e32 v34, 16, v34
	v_and_b32_e32 v40, 0x1000, v40
	;; [unrolled: 1-line block ×3, first 2 shown]
	v_lshlrev_b32_e32 v38, 9, v38
	v_and_b32_e32 v29, 0xf0f0f0f, v29
	v_and_b32_e32 v38, 0x10000000, v38
	v_or3_b32 v34, v40, v34, v41
	v_or3_b32 v29, v34, v38, v29
	v_lshlrev_b32_e32 v34, 4, v39
	v_lshlrev_b32_e32 v38, 11, v39
	;; [unrolled: 1-line block ×3, first 2 shown]
	v_dot4_i32_i8 v30, v28, v30, 0
	v_and_b32_e32 v34, 16, v34
	v_and_b32_e32 v38, 0x1000, v38
	v_and_b32_e32 v40, 0x100000, v40
	v_lshlrev_b32_e32 v41, 25, v39
	v_dot4_i32_i8 v32, v29, v32, v30
	v_and_b32_e32 v30, 0xf0f0f0f, v35
	v_and_b32_e32 v41, 0x10000000, v41
	v_or3_b32 v34, v38, v34, v40
	v_or3_b32 v30, v34, v41, v30
	v_dot4_i32_i8 v32, v30, v31, v32
	v_lshrrev_b32_e32 v31, 4, v35
	v_lshrrev_b32_e32 v34, 12, v39
	;; [unrolled: 1-line block ×3, first 2 shown]
	v_lshlrev_b32_e32 v38, 2, v39
	v_and_b32_e32 v34, 16, v34
	v_and_b32_e32 v35, 0x1000, v35
	;; [unrolled: 1-line block ×3, first 2 shown]
	v_lshlrev_b32_e32 v39, 9, v39
	v_and_b32_e32 v31, 0xf0f0f0f, v31
	v_and_b32_e32 v39, 0x10000000, v39
	v_or3_b32 v34, v35, v34, v38
	v_or3_b32 v31, v34, v39, v31
	v_dot4_i32_i8 v32, v31, v33, v32
	v_cvt_f32_i32_e32 v32, v32
	v_fma_mix_f32 v32, v36, v32, -v37 op_sel_hi:[1,0,0]
	s_waitcnt vmcnt(0)
	v_fma_mix_f32 v14, v32, v27, v14 op_sel_hi:[0,1,0]
	v_add_u32_e32 v32, s1, v16
	v_mad_u64_u32 v[32:33], s[24:25], v32, 36, s[22:23]
	v_add_co_u32_e32 v34, vcc, v32, v21
	v_addc_co_u32_e32 v35, vcc, 0, v33, vcc
	global_load_dwordx2 v[36:37], v[34:35], off offset:4
	global_load_dwordx2 v[38:39], v[34:35], off offset:20
	global_load_dword v40, v[32:33], off
	s_waitcnt vmcnt(2)
	v_dot4_i32_i8 v33, v23, v36, 0
	s_waitcnt vmcnt(1)
	v_dot4_i32_i8 v33, v24, v38, v33
	v_dot4_i32_i8 v33, v25, v37, v33
	s_waitcnt vmcnt(0)
	v_cvt_f32_f16_sdwa v32, v40 dst_sel:DWORD dst_unused:UNUSED_PAD src0_sel:WORD_1
	v_dot4_i32_i8 v33, v26, v39, v33
	v_cvt_f32_i32_e32 v33, v33
	v_mul_f32_e32 v32, 0x41000000, v32
	v_fma_mix_f32 v33, v40, v33, -v32 op_sel_hi:[1,0,0]
	v_fma_mix_f32 v13, v33, v22, v13 op_sel_hi:[0,1,0]
	v_dot4_i32_i8 v33, v28, v36, 0
	v_dot4_i32_i8 v33, v29, v38, v33
	v_dot4_i32_i8 v33, v30, v37, v33
	v_dot4_i32_i8 v33, v31, v39, v33
	v_cvt_f32_i32_e32 v33, v33
	v_fma_mix_f32 v32, v40, v33, -v32 op_sel_hi:[1,0,0]
	v_fma_mix_f32 v12, v32, v27, v12 op_sel_hi:[0,1,0]
	v_add_u32_e32 v32, s15, v16
	v_mad_u64_u32 v[32:33], s[24:25], v32, 36, s[22:23]
	v_add_co_u32_e32 v34, vcc, v32, v21
	v_addc_co_u32_e32 v35, vcc, 0, v33, vcc
	global_load_dwordx2 v[36:37], v[34:35], off offset:4
	global_load_dwordx2 v[38:39], v[34:35], off offset:20
	global_load_dword v40, v[32:33], off
	s_waitcnt vmcnt(2)
	v_dot4_i32_i8 v33, v23, v36, 0
	s_waitcnt vmcnt(1)
	v_dot4_i32_i8 v33, v24, v38, v33
	v_dot4_i32_i8 v33, v25, v37, v33
	s_waitcnt vmcnt(0)
	v_cvt_f32_f16_sdwa v32, v40 dst_sel:DWORD dst_unused:UNUSED_PAD src0_sel:WORD_1
	v_dot4_i32_i8 v33, v26, v39, v33
	v_cvt_f32_i32_e32 v33, v33
	v_mul_f32_e32 v32, 0x41000000, v32
	v_fma_mix_f32 v33, v40, v33, -v32 op_sel_hi:[1,0,0]
	v_fma_mix_f32 v11, v33, v22, v11 op_sel_hi:[0,1,0]
	v_dot4_i32_i8 v33, v28, v36, 0
	v_dot4_i32_i8 v33, v29, v38, v33
	v_dot4_i32_i8 v33, v30, v37, v33
	v_dot4_i32_i8 v33, v31, v39, v33
	v_cvt_f32_i32_e32 v33, v33
	v_fma_mix_f32 v32, v40, v33, -v32 op_sel_hi:[1,0,0]
	;; [unrolled: 26-line block ×4, first 2 shown]
	v_fma_mix_f32 v6, v32, v27, v6 op_sel_hi:[0,1,0]
	v_add_u32_e32 v32, s19, v16
	v_mad_u64_u32 v[32:33], s[24:25], v32, 36, s[22:23]
	v_add_u32_e32 v16, 32, v16
	v_add_co_u32_e32 v34, vcc, v32, v21
	v_addc_co_u32_e32 v35, vcc, 0, v33, vcc
	global_load_dwordx2 v[36:37], v[34:35], off offset:4
	global_load_dwordx2 v[38:39], v[34:35], off offset:20
	global_load_dword v40, v[32:33], off
	v_add_co_u32_e32 v2, vcc, 0x480, v2
	v_addc_co_u32_e32 v3, vcc, 0, v3, vcc
	v_cmp_le_u32_e32 vcc, s9, v16
	s_or_b64 s[12:13], vcc, s[12:13]
	s_waitcnt vmcnt(2)
	v_dot4_i32_i8 v23, v23, v36, 0
	s_waitcnt vmcnt(1)
	v_dot4_i32_i8 v23, v24, v38, v23
	v_dot4_i32_i8 v23, v25, v37, v23
	s_waitcnt vmcnt(0)
	v_cvt_f32_f16_sdwa v32, v40 dst_sel:DWORD dst_unused:UNUSED_PAD src0_sel:WORD_1
	v_dot4_i32_i8 v23, v26, v39, v23
	v_cvt_f32_i32_e32 v23, v23
	v_mul_f32_e32 v32, 0x41000000, v32
	v_fma_mix_f32 v23, v40, v23, -v32 op_sel_hi:[1,0,0]
	v_fma_mix_f32 v5, v23, v22, v5 op_sel_hi:[0,1,0]
	v_dot4_i32_i8 v22, v28, v36, 0
	v_dot4_i32_i8 v22, v29, v38, v22
	;; [unrolled: 1-line block ×4, first 2 shown]
	v_cvt_f32_i32_e32 v22, v22
	v_fma_mix_f32 v22, v40, v22, -v32 op_sel_hi:[1,0,0]
	v_fma_mix_f32 v4, v22, v27, v4 op_sel_hi:[0,1,0]
	s_andn2_b64 exec, exec, s[12:13]
	s_cbranch_execnz .LBB45_2
; %bb.3:
	s_or_b64 exec, exec, s[12:13]
.LBB45_4:
	s_or_b64 exec, exec, s[10:11]
	s_mov_b32 s1, 0
	v_cmp_eq_u32_e32 vcc, 0, v1
	; wave barrier
	s_and_saveexec_b64 s[10:11], vcc
	s_cbranch_execz .LBB45_17
; %bb.5:
	v_mbcnt_lo_u32_b32 v1, -1, 0
	v_mbcnt_hi_u32_b32 v17, -1, v1
	v_and_b32_e32 v1, 64, v17
	v_add_u32_e32 v18, 64, v1
	v_xor_b32_e32 v1, 32, v17
	v_cmp_lt_i32_e32 vcc, v1, v18
	v_cndmask_b32_e32 v1, v17, v1, vcc
	v_lshlrev_b32_e32 v1, 2, v1
	ds_bpermute_b32 v19, v1, v15
	ds_bpermute_b32 v20, v1, v14
	v_xor_b32_e32 v2, 16, v17
	v_cmp_lt_i32_e32 vcc, v2, v18
	v_cndmask_b32_e32 v2, v17, v2, vcc
	v_lshlrev_b32_e32 v2, 2, v2
	s_waitcnt lgkmcnt(1)
	v_add_f32_e32 v15, v15, v19
	s_waitcnt lgkmcnt(0)
	v_add_f32_e32 v14, v14, v20
	ds_bpermute_b32 v19, v2, v15
	ds_bpermute_b32 v20, v2, v14
	v_xor_b32_e32 v3, 8, v17
	v_cmp_lt_i32_e32 vcc, v3, v18
	v_cndmask_b32_e32 v3, v17, v3, vcc
	v_lshlrev_b32_e32 v3, 2, v3
	s_waitcnt lgkmcnt(1)
	v_add_f32_e32 v15, v15, v19
	s_waitcnt lgkmcnt(0)
	v_add_f32_e32 v20, v14, v20
	ds_bpermute_b32 v19, v3, v15
	ds_bpermute_b32 v22, v3, v20
	v_xor_b32_e32 v16, 4, v17
	v_cmp_lt_i32_e32 vcc, v16, v18
	v_cndmask_b32_e32 v16, v17, v16, vcc
	v_lshlrev_b32_e32 v16, 2, v16
	s_waitcnt lgkmcnt(1)
	v_add_f32_e32 v15, v15, v19
	s_waitcnt lgkmcnt(0)
	v_add_f32_e32 v20, v20, v22
	ds_bpermute_b32 v19, v16, v15
	ds_bpermute_b32 v22, v16, v20
	v_xor_b32_e32 v21, 2, v17
	v_cmp_lt_i32_e32 vcc, v21, v18
	v_cndmask_b32_e32 v21, v17, v21, vcc
	v_lshlrev_b32_e32 v14, 2, v21
	v_xor_b32_e32 v21, 1, v17
	v_cmp_lt_i32_e32 vcc, v21, v18
	s_waitcnt lgkmcnt(1)
	v_add_f32_e32 v15, v15, v19
	s_waitcnt lgkmcnt(0)
	v_add_f32_e32 v20, v20, v22
	v_cndmask_b32_e32 v17, v17, v21, vcc
	ds_bpermute_b32 v19, v14, v15
	ds_bpermute_b32 v21, v14, v20
	s_load_dwordx2 s[4:5], s[4:5], 0x38
	s_mul_i32 s3, s14, s7
	v_lshlrev_b32_e32 v18, 2, v17
	s_waitcnt lgkmcnt(0)
	v_add_f32_e32 v15, v15, v19
	v_add_f32_e32 v19, v20, v21
	s_mul_i32 s0, s18, s8
	s_add_i32 s3, s3, s6
	ds_bpermute_b32 v17, v18, v15
	ds_bpermute_b32 v20, v18, v19
	s_add_i32 s0, s3, s0
	s_lshl_b64 s[0:1], s[0:1], 2
	s_add_u32 s4, s4, s0
	v_add_u32_e32 v21, s6, v0
	s_addc_u32 s5, s5, s1
	v_cmp_gt_u32_e32 vcc, 2, v0
	v_cmp_gt_u32_e64 s[0:1], s2, v21
	s_and_b64 s[0:1], vcc, s[0:1]
	s_waitcnt lgkmcnt(1)
	v_add_f32_e32 v15, v15, v17
	s_waitcnt lgkmcnt(0)
	v_add_f32_e32 v17, v19, v20
	s_and_saveexec_b64 s[6:7], s[0:1]
	s_cbranch_execz .LBB45_7
; %bb.6:
	v_cmp_eq_u32_e32 vcc, 1, v0
	v_cndmask_b32_e32 v19, v15, v17, vcc
	v_cmp_eq_u32_e32 vcc, 2, v0
	v_cndmask_b32_e32 v19, v19, v13, vcc
	;; [unrolled: 2-line block ×11, first 2 shown]
	v_lshlrev_b32_e32 v20, 2, v0
	global_store_dword v20, v19, s[4:5]
.LBB45_7:
	s_or_b64 exec, exec, s[6:7]
	ds_bpermute_b32 v19, v1, v13
	ds_bpermute_b32 v20, v1, v12
	s_waitcnt lgkmcnt(1)
	v_add_f32_e32 v13, v13, v19
	s_waitcnt lgkmcnt(0)
	v_add_f32_e32 v12, v12, v20
	ds_bpermute_b32 v19, v2, v13
	ds_bpermute_b32 v20, v2, v12
	s_waitcnt lgkmcnt(1)
	v_add_f32_e32 v13, v13, v19
	s_waitcnt lgkmcnt(0)
	v_add_f32_e32 v12, v12, v20
	;; [unrolled: 6-line block ×6, first 2 shown]
	s_and_saveexec_b64 s[6:7], s[0:1]
	s_cbranch_execz .LBB45_9
; %bb.8:
	v_add_u32_e32 v19, 2, v0
	v_cmp_eq_u32_e32 vcc, 1, v19
	v_cndmask_b32_e32 v20, v15, v17, vcc
	v_cmp_eq_u32_e32 vcc, 2, v19
	v_cndmask_b32_e32 v20, v20, v13, vcc
	;; [unrolled: 2-line block ×11, first 2 shown]
	v_add_u32_e32 v19, s2, v0
	v_mov_b32_e32 v20, 0
	v_lshlrev_b64 v[19:20], 2, v[19:20]
	v_mov_b32_e32 v22, s5
	v_add_co_u32_e32 v19, vcc, s4, v19
	v_addc_co_u32_e32 v20, vcc, v22, v20, vcc
	global_store_dword v[19:20], v21, off
.LBB45_9:
	s_or_b64 exec, exec, s[6:7]
	ds_bpermute_b32 v19, v1, v11
	ds_bpermute_b32 v20, v1, v10
	s_waitcnt lgkmcnt(1)
	v_add_f32_e32 v11, v11, v19
	s_waitcnt lgkmcnt(0)
	v_add_f32_e32 v10, v10, v20
	ds_bpermute_b32 v19, v2, v11
	ds_bpermute_b32 v20, v2, v10
	s_waitcnt lgkmcnt(1)
	v_add_f32_e32 v11, v11, v19
	s_waitcnt lgkmcnt(0)
	v_add_f32_e32 v10, v10, v20
	;; [unrolled: 6-line block ×6, first 2 shown]
	s_and_saveexec_b64 s[6:7], s[0:1]
	s_cbranch_execz .LBB45_11
; %bb.10:
	v_add_u32_e32 v19, 4, v0
	v_cmp_eq_u32_e32 vcc, 1, v19
	v_cndmask_b32_e32 v20, v15, v17, vcc
	v_cmp_eq_u32_e32 vcc, 2, v19
	v_cndmask_b32_e32 v20, v20, v13, vcc
	;; [unrolled: 2-line block ×11, first 2 shown]
	v_lshl_or_b32 v19, s2, 1, v0
	v_mov_b32_e32 v20, 0
	v_lshlrev_b64 v[19:20], 2, v[19:20]
	v_mov_b32_e32 v22, s5
	v_add_co_u32_e32 v19, vcc, s4, v19
	v_addc_co_u32_e32 v20, vcc, v22, v20, vcc
	global_store_dword v[19:20], v21, off
.LBB45_11:
	s_or_b64 exec, exec, s[6:7]
	ds_bpermute_b32 v19, v1, v9
	ds_bpermute_b32 v20, v1, v8
	s_waitcnt lgkmcnt(1)
	v_add_f32_e32 v9, v9, v19
	s_waitcnt lgkmcnt(0)
	v_add_f32_e32 v8, v8, v20
	ds_bpermute_b32 v19, v2, v9
	ds_bpermute_b32 v20, v2, v8
	s_waitcnt lgkmcnt(1)
	v_add_f32_e32 v9, v9, v19
	s_waitcnt lgkmcnt(0)
	v_add_f32_e32 v8, v8, v20
	;; [unrolled: 6-line block ×6, first 2 shown]
	s_and_saveexec_b64 s[6:7], s[0:1]
	s_cbranch_execz .LBB45_13
; %bb.12:
	v_add_u32_e32 v21, 6, v0
	v_cmp_eq_u32_e32 vcc, 1, v21
	v_cndmask_b32_e32 v19, v15, v17, vcc
	v_cmp_eq_u32_e32 vcc, 2, v21
	v_cndmask_b32_e32 v19, v19, v13, vcc
	;; [unrolled: 2-line block ×10, first 2 shown]
	v_mad_u64_u32 v[19:20], s[8:9], s2, 3, v[0:1]
	v_mov_b32_e32 v20, 0
	v_cmp_eq_u32_e32 vcc, 11, v21
	v_lshlrev_b64 v[19:20], 2, v[19:20]
	v_cndmask_b32_e32 v21, v22, v4, vcc
	v_mov_b32_e32 v22, s5
	v_add_co_u32_e32 v19, vcc, s4, v19
	v_addc_co_u32_e32 v20, vcc, v22, v20, vcc
	global_store_dword v[19:20], v21, off
.LBB45_13:
	s_or_b64 exec, exec, s[6:7]
	ds_bpermute_b32 v19, v1, v7
	ds_bpermute_b32 v20, v1, v6
	s_waitcnt lgkmcnt(1)
	v_add_f32_e32 v7, v7, v19
	s_waitcnt lgkmcnt(0)
	v_add_f32_e32 v6, v6, v20
	ds_bpermute_b32 v19, v2, v7
	ds_bpermute_b32 v20, v2, v6
	s_waitcnt lgkmcnt(1)
	v_add_f32_e32 v7, v7, v19
	s_waitcnt lgkmcnt(0)
	v_add_f32_e32 v6, v6, v20
	;; [unrolled: 6-line block ×6, first 2 shown]
	s_and_saveexec_b64 s[6:7], s[0:1]
	s_cbranch_execz .LBB45_15
; %bb.14:
	v_add_u32_e32 v19, 8, v0
	v_cmp_eq_u32_e32 vcc, 1, v19
	v_cndmask_b32_e32 v20, v15, v17, vcc
	v_cmp_eq_u32_e32 vcc, 2, v19
	v_cndmask_b32_e32 v20, v20, v13, vcc
	;; [unrolled: 2-line block ×11, first 2 shown]
	v_lshl_or_b32 v19, s2, 2, v0
	v_mov_b32_e32 v20, 0
	v_lshlrev_b64 v[19:20], 2, v[19:20]
	v_mov_b32_e32 v22, s5
	v_add_co_u32_e32 v19, vcc, s4, v19
	v_addc_co_u32_e32 v20, vcc, v22, v20, vcc
	global_store_dword v[19:20], v21, off
.LBB45_15:
	s_or_b64 exec, exec, s[6:7]
	ds_bpermute_b32 v19, v1, v5
	ds_bpermute_b32 v1, v1, v4
	s_waitcnt lgkmcnt(1)
	v_add_f32_e32 v5, v5, v19
	s_waitcnt lgkmcnt(0)
	v_add_f32_e32 v1, v4, v1
	ds_bpermute_b32 v4, v2, v5
	ds_bpermute_b32 v2, v2, v1
	s_waitcnt lgkmcnt(1)
	v_add_f32_e32 v4, v5, v4
	s_waitcnt lgkmcnt(0)
	v_add_f32_e32 v1, v1, v2
	;; [unrolled: 6-line block ×5, first 2 shown]
	ds_bpermute_b32 v3, v18, v1
	ds_bpermute_b32 v4, v18, v2
	s_and_b64 exec, exec, s[0:1]
	s_cbranch_execz .LBB45_17
; %bb.16:
	s_waitcnt lgkmcnt(1)
	v_add_f32_e32 v1, v1, v3
	v_add_u32_e32 v3, 10, v0
	v_cmp_eq_u32_e32 vcc, 1, v3
	s_waitcnt lgkmcnt(0)
	v_add_f32_e32 v2, v2, v4
	v_cndmask_b32_e32 v4, v15, v17, vcc
	v_cmp_eq_u32_e32 vcc, 2, v3
	v_cndmask_b32_e32 v4, v4, v13, vcc
	v_cmp_eq_u32_e32 vcc, 3, v3
	;; [unrolled: 2-line block ×9, first 2 shown]
	v_cndmask_b32_e32 v4, v4, v1, vcc
	v_mad_u64_u32 v[0:1], s[0:1], s2, 5, v[0:1]
	v_mov_b32_e32 v1, 0
	v_cmp_eq_u32_e32 vcc, 11, v3
	v_lshlrev_b64 v[0:1], 2, v[0:1]
	v_cndmask_b32_e32 v2, v4, v2, vcc
	v_mov_b32_e32 v3, s5
	v_add_co_u32_e32 v0, vcc, s4, v0
	v_addc_co_u32_e32 v1, vcc, v3, v1, vcc
	global_store_dword v[0:1], v2, off
.LBB45_17:
	s_endpgm
	.section	.rodata,"a",@progbits
	.p2align	6, 0x0
	.amdhsa_kernel _ZL13mul_mat_vec_qIL9ggml_type6ELi6ELb0ELb0EEvPKvS2_PKi31ggml_cuda_mm_fusion_args_devicePfj15HIP_vector_typeIjLj3EEjjjS8_jjjS8_jjjj
		.amdhsa_group_segment_fixed_size 0
		.amdhsa_private_segment_fixed_size 0
		.amdhsa_kernarg_size 144
		.amdhsa_user_sgpr_count 6
		.amdhsa_user_sgpr_private_segment_buffer 1
		.amdhsa_user_sgpr_dispatch_ptr 0
		.amdhsa_user_sgpr_queue_ptr 0
		.amdhsa_user_sgpr_kernarg_segment_ptr 1
		.amdhsa_user_sgpr_dispatch_id 0
		.amdhsa_user_sgpr_flat_scratch_init 0
		.amdhsa_user_sgpr_private_segment_size 0
		.amdhsa_uses_dynamic_stack 0
		.amdhsa_system_sgpr_private_segment_wavefront_offset 0
		.amdhsa_system_sgpr_workgroup_id_x 1
		.amdhsa_system_sgpr_workgroup_id_y 1
		.amdhsa_system_sgpr_workgroup_id_z 1
		.amdhsa_system_sgpr_workgroup_info 0
		.amdhsa_system_vgpr_workitem_id 1
		.amdhsa_next_free_vgpr 42
		.amdhsa_next_free_sgpr 26
		.amdhsa_reserve_vcc 1
		.amdhsa_reserve_flat_scratch 0
		.amdhsa_float_round_mode_32 0
		.amdhsa_float_round_mode_16_64 0
		.amdhsa_float_denorm_mode_32 3
		.amdhsa_float_denorm_mode_16_64 3
		.amdhsa_dx10_clamp 1
		.amdhsa_ieee_mode 1
		.amdhsa_fp16_overflow 0
		.amdhsa_exception_fp_ieee_invalid_op 0
		.amdhsa_exception_fp_denorm_src 0
		.amdhsa_exception_fp_ieee_div_zero 0
		.amdhsa_exception_fp_ieee_overflow 0
		.amdhsa_exception_fp_ieee_underflow 0
		.amdhsa_exception_fp_ieee_inexact 0
		.amdhsa_exception_int_div_zero 0
	.end_amdhsa_kernel
	.section	.text._ZL13mul_mat_vec_qIL9ggml_type6ELi6ELb0ELb0EEvPKvS2_PKi31ggml_cuda_mm_fusion_args_devicePfj15HIP_vector_typeIjLj3EEjjjS8_jjjS8_jjjj,"axG",@progbits,_ZL13mul_mat_vec_qIL9ggml_type6ELi6ELb0ELb0EEvPKvS2_PKi31ggml_cuda_mm_fusion_args_devicePfj15HIP_vector_typeIjLj3EEjjjS8_jjjS8_jjjj,comdat
.Lfunc_end45:
	.size	_ZL13mul_mat_vec_qIL9ggml_type6ELi6ELb0ELb0EEvPKvS2_PKi31ggml_cuda_mm_fusion_args_devicePfj15HIP_vector_typeIjLj3EEjjjS8_jjjS8_jjjj, .Lfunc_end45-_ZL13mul_mat_vec_qIL9ggml_type6ELi6ELb0ELb0EEvPKvS2_PKi31ggml_cuda_mm_fusion_args_devicePfj15HIP_vector_typeIjLj3EEjjjS8_jjjS8_jjjj
                                        ; -- End function
	.set _ZL13mul_mat_vec_qIL9ggml_type6ELi6ELb0ELb0EEvPKvS2_PKi31ggml_cuda_mm_fusion_args_devicePfj15HIP_vector_typeIjLj3EEjjjS8_jjjS8_jjjj.num_vgpr, 42
	.set _ZL13mul_mat_vec_qIL9ggml_type6ELi6ELb0ELb0EEvPKvS2_PKi31ggml_cuda_mm_fusion_args_devicePfj15HIP_vector_typeIjLj3EEjjjS8_jjjS8_jjjj.num_agpr, 0
	.set _ZL13mul_mat_vec_qIL9ggml_type6ELi6ELb0ELb0EEvPKvS2_PKi31ggml_cuda_mm_fusion_args_devicePfj15HIP_vector_typeIjLj3EEjjjS8_jjjS8_jjjj.numbered_sgpr, 26
	.set _ZL13mul_mat_vec_qIL9ggml_type6ELi6ELb0ELb0EEvPKvS2_PKi31ggml_cuda_mm_fusion_args_devicePfj15HIP_vector_typeIjLj3EEjjjS8_jjjS8_jjjj.num_named_barrier, 0
	.set _ZL13mul_mat_vec_qIL9ggml_type6ELi6ELb0ELb0EEvPKvS2_PKi31ggml_cuda_mm_fusion_args_devicePfj15HIP_vector_typeIjLj3EEjjjS8_jjjS8_jjjj.private_seg_size, 0
	.set _ZL13mul_mat_vec_qIL9ggml_type6ELi6ELb0ELb0EEvPKvS2_PKi31ggml_cuda_mm_fusion_args_devicePfj15HIP_vector_typeIjLj3EEjjjS8_jjjS8_jjjj.uses_vcc, 1
	.set _ZL13mul_mat_vec_qIL9ggml_type6ELi6ELb0ELb0EEvPKvS2_PKi31ggml_cuda_mm_fusion_args_devicePfj15HIP_vector_typeIjLj3EEjjjS8_jjjS8_jjjj.uses_flat_scratch, 0
	.set _ZL13mul_mat_vec_qIL9ggml_type6ELi6ELb0ELb0EEvPKvS2_PKi31ggml_cuda_mm_fusion_args_devicePfj15HIP_vector_typeIjLj3EEjjjS8_jjjS8_jjjj.has_dyn_sized_stack, 0
	.set _ZL13mul_mat_vec_qIL9ggml_type6ELi6ELb0ELb0EEvPKvS2_PKi31ggml_cuda_mm_fusion_args_devicePfj15HIP_vector_typeIjLj3EEjjjS8_jjjS8_jjjj.has_recursion, 0
	.set _ZL13mul_mat_vec_qIL9ggml_type6ELi6ELb0ELb0EEvPKvS2_PKi31ggml_cuda_mm_fusion_args_devicePfj15HIP_vector_typeIjLj3EEjjjS8_jjjS8_jjjj.has_indirect_call, 0
	.section	.AMDGPU.csdata,"",@progbits
; Kernel info:
; codeLenInByte = 4292
; TotalNumSgprs: 30
; NumVgprs: 42
; ScratchSize: 0
; MemoryBound: 0
; FloatMode: 240
; IeeeMode: 1
; LDSByteSize: 0 bytes/workgroup (compile time only)
; SGPRBlocks: 3
; VGPRBlocks: 10
; NumSGPRsForWavesPerEU: 30
; NumVGPRsForWavesPerEU: 42
; Occupancy: 5
; WaveLimiterHint : 0
; COMPUTE_PGM_RSRC2:SCRATCH_EN: 0
; COMPUTE_PGM_RSRC2:USER_SGPR: 6
; COMPUTE_PGM_RSRC2:TRAP_HANDLER: 0
; COMPUTE_PGM_RSRC2:TGID_X_EN: 1
; COMPUTE_PGM_RSRC2:TGID_Y_EN: 1
; COMPUTE_PGM_RSRC2:TGID_Z_EN: 1
; COMPUTE_PGM_RSRC2:TIDIG_COMP_CNT: 1
	.section	.text._ZL13mul_mat_vec_qIL9ggml_type6ELi7ELb0ELb0EEvPKvS2_PKi31ggml_cuda_mm_fusion_args_devicePfj15HIP_vector_typeIjLj3EEjjjS8_jjjS8_jjjj,"axG",@progbits,_ZL13mul_mat_vec_qIL9ggml_type6ELi7ELb0ELb0EEvPKvS2_PKi31ggml_cuda_mm_fusion_args_devicePfj15HIP_vector_typeIjLj3EEjjjS8_jjjS8_jjjj,comdat
	.globl	_ZL13mul_mat_vec_qIL9ggml_type6ELi7ELb0ELb0EEvPKvS2_PKi31ggml_cuda_mm_fusion_args_devicePfj15HIP_vector_typeIjLj3EEjjjS8_jjjS8_jjjj ; -- Begin function _ZL13mul_mat_vec_qIL9ggml_type6ELi7ELb0ELb0EEvPKvS2_PKi31ggml_cuda_mm_fusion_args_devicePfj15HIP_vector_typeIjLj3EEjjjS8_jjjS8_jjjj
	.p2align	8
	.type	_ZL13mul_mat_vec_qIL9ggml_type6ELi7ELb0ELb0EEvPKvS2_PKi31ggml_cuda_mm_fusion_args_devicePfj15HIP_vector_typeIjLj3EEjjjS8_jjjS8_jjjj,@function
_ZL13mul_mat_vec_qIL9ggml_type6ELi7ELb0ELb0EEvPKvS2_PKi31ggml_cuda_mm_fusion_args_devicePfj15HIP_vector_typeIjLj3EEjjjS8_jjjS8_jjjj: ; @_ZL13mul_mat_vec_qIL9ggml_type6ELi7ELb0ELb0EEvPKvS2_PKi31ggml_cuda_mm_fusion_args_devicePfj15HIP_vector_typeIjLj3EEjjjS8_jjjS8_jjjj
; %bb.0:
	s_load_dword s9, s[4:5], 0x40
	s_load_dwordx4 s[0:3], s[4:5], 0x50
	s_load_dword s25, s[4:5], 0x60
	s_load_dwordx4 s[12:15], s[4:5], 0x68
	;; [unrolled: 2-line block ×3, first 2 shown]
	v_lshl_or_b32 v2, v1, 6, v0
	s_waitcnt lgkmcnt(0)
	s_lshr_b32 s9, s9, 5
	v_lshrrev_b16_e32 v18, 1, v2
	s_lshl_b32 s6, s6, 1
	v_cmp_gt_u32_e32 vcc, s9, v18
	v_mov_b32_e32 v4, 0
	v_mov_b32_e32 v5, 0
	;; [unrolled: 1-line block ×14, first 2 shown]
	s_and_saveexec_b64 s[10:11], vcc
	s_cbranch_execz .LBB46_4
; %bb.1:
	s_load_dwordx4 s[20:23], s[4:5], 0x0
	s_mul_i32 s17, s17, s8
	s_mul_hi_u32 s19, s17, 36
	s_mul_i32 s17, s17, 36
	s_mul_i32 s13, s13, s7
	s_waitcnt lgkmcnt(0)
	s_add_u32 s17, s22, s17
	s_addc_u32 s19, s23, s19
	s_mul_hi_u32 s23, s13, 36
	s_mul_i32 s13, s13, 36
	s_add_u32 s22, s17, s13
	s_mul_hi_u32 s3, s3, s7
	s_addc_u32 s23, s19, s23
	s_add_i32 s3, s7, s3
	s_lshr_b32 s3, s3, s25
	s_mul_i32 s3, s3, s12
	s_mul_hi_u32 s12, s15, s8
	s_add_i32 s12, s8, s12
	s_lshr_b32 s12, s12, s24
	s_mul_i32 s12, s12, s16
	v_lshlrev_b32_e32 v3, 1, v0
	s_add_i32 s13, s6, 1
	v_and_b32_e32 v5, 2, v3
	s_add_i32 s12, s12, s3
	s_mul_i32 s3, s6, s0
	s_mul_i32 s0, s0, s13
	v_and_b32_e32 v3, 1, v0
	v_lshrrev_b32_e32 v2, 1, v2
	s_add_i32 s3, s12, s3
	s_add_i32 s0, s12, s0
	v_lshlrev_b32_e32 v21, 3, v3
	v_mad_u64_u32 v[2:3], s[12:13], v2, 36, s[22:23]
	v_lshlrev_b32_e32 v6, 1, v5
	v_lshlrev_b32_e32 v19, 2, v5
	v_mov_b32_e32 v4, 0
	v_or_b32_e32 v20, 4, v19
	s_lshl_b32 s15, s1, 1
	s_mul_i32 s16, s1, 3
	s_lshl_b32 s17, s1, 2
	s_mul_i32 s19, s1, 5
	s_mul_i32 s24, s1, 6
	s_mov_b64 s[12:13], 0
	v_lshlrev_b32_e32 v22, 1, v6
	v_lshlrev_b32_e32 v23, 2, v5
	v_mov_b32_e32 v5, 0
	v_mov_b32_e32 v6, 0
	;; [unrolled: 1-line block ×13, first 2 shown]
.LBB46_2:                               ; =>This Inner Loop Header: Depth=1
	v_add_co_u32_e32 v24, vcc, v2, v21
	v_addc_co_u32_e32 v25, vcc, 0, v3, vcc
	global_load_dwordx2 v[33:34], v[24:25], off offset:4
	global_load_dwordx2 v[35:36], v[24:25], off offset:20
	global_load_dword v39, v[2:3], off
	v_add_u32_e32 v26, s3, v18
	s_waitcnt vmcnt(0)
	v_cvt_f32_f16_sdwa v24, v39 dst_sel:DWORD dst_unused:UNUSED_PAD src0_sel:WORD_1
	v_mul_f32_e32 v40, 0x41000000, v24
	v_mad_i64_i32 v[24:25], s[26:27], v26, 22, s[20:21]
	global_load_dword v29, v[24:25], off offset:2
	v_add_co_u32_e32 v26, vcc, v24, v22
	v_addc_co_u32_e32 v27, vcc, 0, v25, vcc
	global_load_dwordx2 v[27:28], v[26:27], off offset:6
	s_nop 0
	global_load_ushort v24, v[24:25], off
	s_waitcnt vmcnt(2)
	v_ashrrev_i32_e32 v26, v19, v29
	v_lshlrev_b32_e32 v30, 4, v26
	v_lshlrev_b32_e32 v31, 11, v26
	v_and_b32_e32 v30, 16, v30
	v_and_b32_e32 v31, 0x1000, v31
	s_waitcnt vmcnt(1)
	v_and_b32_e32 v25, 0xf0f0f0f, v27
	v_or3_b32 v25, v30, v25, v31
	v_lshlrev_b32_e32 v30, 18, v26
	v_lshlrev_b32_e32 v31, 25, v26
	v_and_b32_e32 v30, 0x100000, v30
	v_and_b32_e32 v31, 0x10000000, v31
	v_or3_b32 v25, v25, v30, v31
	v_lshrrev_b32_e32 v31, 12, v26
	v_lshrrev_b32_e32 v32, 5, v26
	v_lshlrev_b32_e32 v37, 2, v26
	v_lshrrev_b32_e32 v27, 4, v27
	v_and_b32_e32 v31, 16, v31
	v_and_b32_e32 v32, 0x1000, v32
	;; [unrolled: 1-line block ×3, first 2 shown]
	v_lshlrev_b32_e32 v26, 9, v26
	v_ashrrev_i32_e32 v29, v20, v29
	v_and_b32_e32 v27, 0xf0f0f0f, v27
	v_and_b32_e32 v26, 0x10000000, v26
	v_or3_b32 v31, v32, v31, v37
	v_or3_b32 v26, v31, v26, v27
	v_lshlrev_b32_e32 v31, 4, v29
	v_lshlrev_b32_e32 v32, 11, v29
	;; [unrolled: 1-line block ×3, first 2 shown]
	v_and_b32_e32 v31, 16, v31
	v_and_b32_e32 v32, 0x1000, v32
	;; [unrolled: 1-line block ×3, first 2 shown]
	v_lshlrev_b32_e32 v38, 25, v29
	v_and_b32_e32 v27, 0xf0f0f0f, v28
	v_and_b32_e32 v38, 0x10000000, v38
	v_or3_b32 v31, v32, v31, v37
	v_or3_b32 v27, v31, v38, v27
	v_lshrrev_b32_e32 v31, 12, v29
	v_lshrrev_b32_e32 v32, 5, v29
	v_lshlrev_b32_e32 v37, 2, v29
	v_dot4_i32_i8 v30, v25, v33, 0
	v_lshrrev_b32_e32 v28, 4, v28
	v_and_b32_e32 v31, 16, v31
	v_and_b32_e32 v32, 0x1000, v32
	;; [unrolled: 1-line block ×3, first 2 shown]
	v_lshlrev_b32_e32 v29, 9, v29
	v_dot4_i32_i8 v30, v26, v35, v30
	v_and_b32_e32 v28, 0xf0f0f0f, v28
	v_and_b32_e32 v29, 0x10000000, v29
	v_or3_b32 v31, v32, v31, v37
	v_dot4_i32_i8 v30, v27, v34, v30
	v_or3_b32 v28, v31, v29, v28
	v_dot4_i32_i8 v29, v28, v36, v30
	v_cvt_f32_i32_e32 v29, v29
	v_fma_mix_f32 v29, v39, v29, -v40 op_sel_hi:[1,0,0]
	s_waitcnt vmcnt(0)
	v_fma_mix_f32 v17, v29, v24, v17 op_sel_hi:[0,1,0]
	v_add_u32_e32 v29, s0, v18
	v_mad_i64_i32 v[29:30], s[26:27], v29, 22, s[20:21]
	global_load_dword v41, v[29:30], off offset:2
	v_add_co_u32_e32 v31, vcc, v29, v22
	v_addc_co_u32_e32 v32, vcc, 0, v30, vcc
	global_load_dwordx2 v[37:38], v[31:32], off offset:6
	s_nop 0
	global_load_ushort v29, v[29:30], off
	s_waitcnt vmcnt(2)
	v_ashrrev_i32_e32 v32, v19, v41
	v_lshlrev_b32_e32 v31, 4, v32
	v_lshlrev_b32_e32 v42, 11, v32
	v_and_b32_e32 v31, 16, v31
	v_and_b32_e32 v42, 0x1000, v42
	s_waitcnt vmcnt(1)
	v_and_b32_e32 v30, 0xf0f0f0f, v37
	v_or3_b32 v30, v31, v30, v42
	v_lshlrev_b32_e32 v31, 18, v32
	v_lshlrev_b32_e32 v42, 25, v32
	v_and_b32_e32 v31, 0x100000, v31
	v_and_b32_e32 v42, 0x10000000, v42
	v_or3_b32 v31, v30, v31, v42
	v_dot4_i32_i8 v30, v31, v33, 0
	v_lshrrev_b32_e32 v33, 4, v37
	v_lshrrev_b32_e32 v37, 12, v32
	v_lshrrev_b32_e32 v42, 5, v32
	v_lshlrev_b32_e32 v43, 2, v32
	v_and_b32_e32 v37, 16, v37
	v_and_b32_e32 v42, 0x1000, v42
	;; [unrolled: 1-line block ×3, first 2 shown]
	v_lshlrev_b32_e32 v32, 9, v32
	v_and_b32_e32 v33, 0xf0f0f0f, v33
	v_and_b32_e32 v32, 0x10000000, v32
	v_or3_b32 v37, v42, v37, v43
	v_ashrrev_i32_e32 v41, v20, v41
	v_or3_b32 v32, v37, v32, v33
	v_dot4_i32_i8 v30, v32, v35, v30
	v_lshlrev_b32_e32 v35, 4, v41
	v_lshlrev_b32_e32 v37, 11, v41
	;; [unrolled: 1-line block ×3, first 2 shown]
	v_and_b32_e32 v35, 16, v35
	v_and_b32_e32 v37, 0x1000, v37
	;; [unrolled: 1-line block ×3, first 2 shown]
	v_lshlrev_b32_e32 v43, 25, v41
	v_and_b32_e32 v33, 0xf0f0f0f, v38
	v_and_b32_e32 v43, 0x10000000, v43
	v_or3_b32 v35, v37, v35, v42
	v_or3_b32 v33, v35, v43, v33
	v_dot4_i32_i8 v34, v33, v34, v30
	v_lshrrev_b32_e32 v30, 4, v38
	v_lshrrev_b32_e32 v35, 12, v41
	;; [unrolled: 1-line block ×3, first 2 shown]
	v_lshlrev_b32_e32 v38, 2, v41
	v_and_b32_e32 v35, 16, v35
	v_and_b32_e32 v37, 0x1000, v37
	;; [unrolled: 1-line block ×3, first 2 shown]
	v_lshlrev_b32_e32 v41, 9, v41
	v_and_b32_e32 v30, 0xf0f0f0f, v30
	v_and_b32_e32 v41, 0x10000000, v41
	v_or3_b32 v35, v37, v35, v38
	v_or3_b32 v30, v35, v41, v30
	v_dot4_i32_i8 v34, v30, v36, v34
	v_cvt_f32_i32_e32 v34, v34
	v_fma_mix_f32 v34, v39, v34, -v40 op_sel_hi:[1,0,0]
	s_waitcnt vmcnt(0)
	v_fma_mix_f32 v16, v34, v29, v16 op_sel_hi:[0,1,0]
	v_add_u32_e32 v34, s1, v18
	v_mad_u64_u32 v[34:35], s[26:27], v34, 36, s[22:23]
	v_add_co_u32_e32 v36, vcc, v34, v23
	v_addc_co_u32_e32 v37, vcc, 0, v35, vcc
	global_load_dwordx2 v[38:39], v[36:37], off offset:4
	global_load_dwordx2 v[40:41], v[36:37], off offset:20
	global_load_dword v42, v[34:35], off
	s_waitcnt vmcnt(2)
	v_dot4_i32_i8 v35, v25, v38, 0
	s_waitcnt vmcnt(1)
	v_dot4_i32_i8 v35, v26, v40, v35
	v_dot4_i32_i8 v35, v27, v39, v35
	s_waitcnt vmcnt(0)
	v_cvt_f32_f16_sdwa v34, v42 dst_sel:DWORD dst_unused:UNUSED_PAD src0_sel:WORD_1
	v_dot4_i32_i8 v35, v28, v41, v35
	v_cvt_f32_i32_e32 v35, v35
	v_mul_f32_e32 v34, 0x41000000, v34
	v_fma_mix_f32 v35, v42, v35, -v34 op_sel_hi:[1,0,0]
	v_fma_mix_f32 v15, v35, v24, v15 op_sel_hi:[0,1,0]
	v_dot4_i32_i8 v35, v31, v38, 0
	v_dot4_i32_i8 v35, v32, v40, v35
	v_dot4_i32_i8 v35, v33, v39, v35
	v_dot4_i32_i8 v35, v30, v41, v35
	v_cvt_f32_i32_e32 v35, v35
	v_fma_mix_f32 v34, v42, v35, -v34 op_sel_hi:[1,0,0]
	v_fma_mix_f32 v14, v34, v29, v14 op_sel_hi:[0,1,0]
	v_add_u32_e32 v34, s15, v18
	v_mad_u64_u32 v[34:35], s[26:27], v34, 36, s[22:23]
	v_add_co_u32_e32 v36, vcc, v34, v23
	v_addc_co_u32_e32 v37, vcc, 0, v35, vcc
	global_load_dwordx2 v[38:39], v[36:37], off offset:4
	global_load_dwordx2 v[40:41], v[36:37], off offset:20
	global_load_dword v42, v[34:35], off
	s_waitcnt vmcnt(2)
	v_dot4_i32_i8 v35, v25, v38, 0
	s_waitcnt vmcnt(1)
	v_dot4_i32_i8 v35, v26, v40, v35
	v_dot4_i32_i8 v35, v27, v39, v35
	s_waitcnt vmcnt(0)
	v_cvt_f32_f16_sdwa v34, v42 dst_sel:DWORD dst_unused:UNUSED_PAD src0_sel:WORD_1
	v_dot4_i32_i8 v35, v28, v41, v35
	v_cvt_f32_i32_e32 v35, v35
	v_mul_f32_e32 v34, 0x41000000, v34
	v_fma_mix_f32 v35, v42, v35, -v34 op_sel_hi:[1,0,0]
	v_fma_mix_f32 v13, v35, v24, v13 op_sel_hi:[0,1,0]
	v_dot4_i32_i8 v35, v31, v38, 0
	v_dot4_i32_i8 v35, v32, v40, v35
	v_dot4_i32_i8 v35, v33, v39, v35
	v_dot4_i32_i8 v35, v30, v41, v35
	v_cvt_f32_i32_e32 v35, v35
	v_fma_mix_f32 v34, v42, v35, -v34 op_sel_hi:[1,0,0]
	;; [unrolled: 26-line block ×5, first 2 shown]
	v_fma_mix_f32 v6, v34, v29, v6 op_sel_hi:[0,1,0]
	v_add_u32_e32 v34, s24, v18
	v_mad_u64_u32 v[34:35], s[26:27], v34, 36, s[22:23]
	v_add_u32_e32 v18, 32, v18
	v_add_co_u32_e32 v36, vcc, v34, v23
	v_addc_co_u32_e32 v37, vcc, 0, v35, vcc
	global_load_dwordx2 v[38:39], v[36:37], off offset:4
	global_load_dwordx2 v[40:41], v[36:37], off offset:20
	global_load_dword v42, v[34:35], off
	v_add_co_u32_e32 v2, vcc, 0x480, v2
	v_addc_co_u32_e32 v3, vcc, 0, v3, vcc
	v_cmp_le_u32_e32 vcc, s9, v18
	s_or_b64 s[12:13], vcc, s[12:13]
	s_waitcnt vmcnt(2)
	v_dot4_i32_i8 v25, v25, v38, 0
	s_waitcnt vmcnt(1)
	v_dot4_i32_i8 v25, v26, v40, v25
	v_dot4_i32_i8 v25, v27, v39, v25
	s_waitcnt vmcnt(0)
	v_cvt_f32_f16_sdwa v34, v42 dst_sel:DWORD dst_unused:UNUSED_PAD src0_sel:WORD_1
	v_dot4_i32_i8 v25, v28, v41, v25
	v_cvt_f32_i32_e32 v25, v25
	v_mul_f32_e32 v34, 0x41000000, v34
	v_fma_mix_f32 v25, v42, v25, -v34 op_sel_hi:[1,0,0]
	v_fma_mix_f32 v5, v25, v24, v5 op_sel_hi:[0,1,0]
	v_dot4_i32_i8 v24, v31, v38, 0
	v_dot4_i32_i8 v24, v32, v40, v24
	;; [unrolled: 1-line block ×4, first 2 shown]
	v_cvt_f32_i32_e32 v24, v24
	v_fma_mix_f32 v24, v42, v24, -v34 op_sel_hi:[1,0,0]
	v_fma_mix_f32 v4, v24, v29, v4 op_sel_hi:[0,1,0]
	s_andn2_b64 exec, exec, s[12:13]
	s_cbranch_execnz .LBB46_2
; %bb.3:
	s_or_b64 exec, exec, s[12:13]
.LBB46_4:
	s_or_b64 exec, exec, s[10:11]
	s_mov_b32 s1, 0
	v_cmp_eq_u32_e32 vcc, 0, v1
	; wave barrier
	s_and_saveexec_b64 s[10:11], vcc
	s_cbranch_execz .LBB46_19
; %bb.5:
	v_mbcnt_lo_u32_b32 v1, -1, 0
	v_mbcnt_hi_u32_b32 v19, -1, v1
	v_and_b32_e32 v1, 64, v19
	v_add_u32_e32 v20, 64, v1
	v_xor_b32_e32 v1, 32, v19
	v_cmp_lt_i32_e32 vcc, v1, v20
	v_cndmask_b32_e32 v1, v19, v1, vcc
	v_lshlrev_b32_e32 v1, 2, v1
	ds_bpermute_b32 v21, v1, v17
	ds_bpermute_b32 v22, v1, v16
	v_xor_b32_e32 v2, 16, v19
	v_cmp_lt_i32_e32 vcc, v2, v20
	v_cndmask_b32_e32 v2, v19, v2, vcc
	v_lshlrev_b32_e32 v2, 2, v2
	s_waitcnt lgkmcnt(1)
	v_add_f32_e32 v17, v17, v21
	s_waitcnt lgkmcnt(0)
	v_add_f32_e32 v16, v16, v22
	ds_bpermute_b32 v21, v2, v17
	ds_bpermute_b32 v22, v2, v16
	v_xor_b32_e32 v3, 8, v19
	v_cmp_lt_i32_e32 vcc, v3, v20
	v_cndmask_b32_e32 v3, v19, v3, vcc
	v_lshlrev_b32_e32 v3, 2, v3
	s_waitcnt lgkmcnt(1)
	v_add_f32_e32 v17, v17, v21
	s_waitcnt lgkmcnt(0)
	v_add_f32_e32 v22, v16, v22
	ds_bpermute_b32 v21, v3, v17
	ds_bpermute_b32 v24, v3, v22
	v_xor_b32_e32 v18, 4, v19
	v_cmp_lt_i32_e32 vcc, v18, v20
	v_cndmask_b32_e32 v18, v19, v18, vcc
	v_lshlrev_b32_e32 v18, 2, v18
	s_waitcnt lgkmcnt(1)
	v_add_f32_e32 v17, v17, v21
	s_waitcnt lgkmcnt(0)
	v_add_f32_e32 v22, v22, v24
	ds_bpermute_b32 v21, v18, v17
	ds_bpermute_b32 v24, v18, v22
	v_xor_b32_e32 v23, 2, v19
	v_cmp_lt_i32_e32 vcc, v23, v20
	v_cndmask_b32_e32 v23, v19, v23, vcc
	v_lshlrev_b32_e32 v16, 2, v23
	v_xor_b32_e32 v23, 1, v19
	v_cmp_lt_i32_e32 vcc, v23, v20
	s_waitcnt lgkmcnt(1)
	v_add_f32_e32 v17, v17, v21
	s_waitcnt lgkmcnt(0)
	v_add_f32_e32 v22, v22, v24
	v_cndmask_b32_e32 v19, v19, v23, vcc
	ds_bpermute_b32 v21, v16, v17
	ds_bpermute_b32 v23, v16, v22
	s_load_dwordx2 s[4:5], s[4:5], 0x38
	s_mul_i32 s3, s14, s7
	v_lshlrev_b32_e32 v20, 2, v19
	s_waitcnt lgkmcnt(0)
	v_add_f32_e32 v17, v17, v21
	v_add_f32_e32 v21, v22, v23
	s_mul_i32 s0, s18, s8
	s_add_i32 s3, s3, s6
	ds_bpermute_b32 v19, v20, v17
	ds_bpermute_b32 v22, v20, v21
	s_add_i32 s0, s3, s0
	s_lshl_b64 s[0:1], s[0:1], 2
	s_add_u32 s4, s4, s0
	v_add_u32_e32 v23, s6, v0
	s_addc_u32 s5, s5, s1
	v_cmp_gt_u32_e32 vcc, 2, v0
	v_cmp_gt_u32_e64 s[0:1], s2, v23
	s_and_b64 s[0:1], vcc, s[0:1]
	s_waitcnt lgkmcnt(1)
	v_add_f32_e32 v17, v17, v19
	s_waitcnt lgkmcnt(0)
	v_add_f32_e32 v19, v21, v22
	s_and_saveexec_b64 s[6:7], s[0:1]
	s_cbranch_execz .LBB46_7
; %bb.6:
	v_cmp_eq_u32_e32 vcc, 1, v0
	v_cndmask_b32_e32 v21, v17, v19, vcc
	v_cmp_eq_u32_e32 vcc, 2, v0
	v_cndmask_b32_e32 v21, v21, v15, vcc
	;; [unrolled: 2-line block ×13, first 2 shown]
	v_lshlrev_b32_e32 v22, 2, v0
	global_store_dword v22, v21, s[4:5]
.LBB46_7:
	s_or_b64 exec, exec, s[6:7]
	ds_bpermute_b32 v21, v1, v15
	ds_bpermute_b32 v22, v1, v14
	s_waitcnt lgkmcnt(1)
	v_add_f32_e32 v15, v15, v21
	s_waitcnt lgkmcnt(0)
	v_add_f32_e32 v14, v14, v22
	ds_bpermute_b32 v21, v2, v15
	ds_bpermute_b32 v22, v2, v14
	s_waitcnt lgkmcnt(1)
	v_add_f32_e32 v15, v15, v21
	s_waitcnt lgkmcnt(0)
	v_add_f32_e32 v14, v14, v22
	;; [unrolled: 6-line block ×6, first 2 shown]
	s_and_saveexec_b64 s[6:7], s[0:1]
	s_cbranch_execz .LBB46_9
; %bb.8:
	v_add_u32_e32 v21, 2, v0
	v_cmp_eq_u32_e32 vcc, 1, v21
	v_cndmask_b32_e32 v22, v17, v19, vcc
	v_cmp_eq_u32_e32 vcc, 2, v21
	v_cndmask_b32_e32 v22, v22, v15, vcc
	;; [unrolled: 2-line block ×13, first 2 shown]
	v_add_u32_e32 v21, s2, v0
	v_mov_b32_e32 v22, 0
	v_lshlrev_b64 v[21:22], 2, v[21:22]
	v_mov_b32_e32 v24, s5
	v_add_co_u32_e32 v21, vcc, s4, v21
	v_addc_co_u32_e32 v22, vcc, v24, v22, vcc
	global_store_dword v[21:22], v23, off
.LBB46_9:
	s_or_b64 exec, exec, s[6:7]
	ds_bpermute_b32 v21, v1, v13
	ds_bpermute_b32 v22, v1, v12
	s_waitcnt lgkmcnt(1)
	v_add_f32_e32 v13, v13, v21
	s_waitcnt lgkmcnt(0)
	v_add_f32_e32 v12, v12, v22
	ds_bpermute_b32 v21, v2, v13
	ds_bpermute_b32 v22, v2, v12
	s_waitcnt lgkmcnt(1)
	v_add_f32_e32 v13, v13, v21
	s_waitcnt lgkmcnt(0)
	v_add_f32_e32 v12, v12, v22
	;; [unrolled: 6-line block ×6, first 2 shown]
	s_and_saveexec_b64 s[6:7], s[0:1]
	s_cbranch_execz .LBB46_11
; %bb.10:
	v_add_u32_e32 v21, 4, v0
	v_cmp_eq_u32_e32 vcc, 1, v21
	v_cndmask_b32_e32 v22, v17, v19, vcc
	v_cmp_eq_u32_e32 vcc, 2, v21
	v_cndmask_b32_e32 v22, v22, v15, vcc
	;; [unrolled: 2-line block ×13, first 2 shown]
	v_lshl_or_b32 v21, s2, 1, v0
	v_mov_b32_e32 v22, 0
	v_lshlrev_b64 v[21:22], 2, v[21:22]
	v_mov_b32_e32 v24, s5
	v_add_co_u32_e32 v21, vcc, s4, v21
	v_addc_co_u32_e32 v22, vcc, v24, v22, vcc
	global_store_dword v[21:22], v23, off
.LBB46_11:
	s_or_b64 exec, exec, s[6:7]
	ds_bpermute_b32 v21, v1, v11
	ds_bpermute_b32 v22, v1, v10
	s_waitcnt lgkmcnt(1)
	v_add_f32_e32 v11, v11, v21
	s_waitcnt lgkmcnt(0)
	v_add_f32_e32 v10, v10, v22
	ds_bpermute_b32 v21, v2, v11
	ds_bpermute_b32 v22, v2, v10
	s_waitcnt lgkmcnt(1)
	v_add_f32_e32 v11, v11, v21
	s_waitcnt lgkmcnt(0)
	v_add_f32_e32 v10, v10, v22
	;; [unrolled: 6-line block ×6, first 2 shown]
	s_and_saveexec_b64 s[6:7], s[0:1]
	s_cbranch_execz .LBB46_13
; %bb.12:
	v_add_u32_e32 v23, 6, v0
	v_cmp_eq_u32_e32 vcc, 1, v23
	v_cndmask_b32_e32 v21, v17, v19, vcc
	v_cmp_eq_u32_e32 vcc, 2, v23
	v_cndmask_b32_e32 v21, v21, v15, vcc
	;; [unrolled: 2-line block ×12, first 2 shown]
	v_mad_u64_u32 v[21:22], s[8:9], s2, 3, v[0:1]
	v_mov_b32_e32 v22, 0
	v_cmp_eq_u32_e32 vcc, 13, v23
	v_lshlrev_b64 v[21:22], 2, v[21:22]
	v_cndmask_b32_e32 v23, v24, v4, vcc
	v_mov_b32_e32 v24, s5
	v_add_co_u32_e32 v21, vcc, s4, v21
	v_addc_co_u32_e32 v22, vcc, v24, v22, vcc
	global_store_dword v[21:22], v23, off
.LBB46_13:
	s_or_b64 exec, exec, s[6:7]
	ds_bpermute_b32 v21, v1, v9
	ds_bpermute_b32 v22, v1, v8
	s_waitcnt lgkmcnt(1)
	v_add_f32_e32 v9, v9, v21
	s_waitcnt lgkmcnt(0)
	v_add_f32_e32 v8, v8, v22
	ds_bpermute_b32 v21, v2, v9
	ds_bpermute_b32 v22, v2, v8
	s_waitcnt lgkmcnt(1)
	v_add_f32_e32 v9, v9, v21
	s_waitcnt lgkmcnt(0)
	v_add_f32_e32 v8, v8, v22
	;; [unrolled: 6-line block ×6, first 2 shown]
	s_and_saveexec_b64 s[6:7], s[0:1]
	s_cbranch_execz .LBB46_15
; %bb.14:
	v_add_u32_e32 v21, 8, v0
	v_cmp_eq_u32_e32 vcc, 1, v21
	v_cndmask_b32_e32 v22, v17, v19, vcc
	v_cmp_eq_u32_e32 vcc, 2, v21
	v_cndmask_b32_e32 v22, v22, v15, vcc
	;; [unrolled: 2-line block ×13, first 2 shown]
	v_lshl_or_b32 v21, s2, 2, v0
	v_mov_b32_e32 v22, 0
	v_lshlrev_b64 v[21:22], 2, v[21:22]
	v_mov_b32_e32 v24, s5
	v_add_co_u32_e32 v21, vcc, s4, v21
	v_addc_co_u32_e32 v22, vcc, v24, v22, vcc
	global_store_dword v[21:22], v23, off
.LBB46_15:
	s_or_b64 exec, exec, s[6:7]
	ds_bpermute_b32 v21, v1, v7
	ds_bpermute_b32 v22, v1, v6
	s_waitcnt lgkmcnt(1)
	v_add_f32_e32 v7, v7, v21
	s_waitcnt lgkmcnt(0)
	v_add_f32_e32 v6, v6, v22
	ds_bpermute_b32 v21, v2, v7
	ds_bpermute_b32 v22, v2, v6
	s_waitcnt lgkmcnt(1)
	v_add_f32_e32 v7, v7, v21
	s_waitcnt lgkmcnt(0)
	v_add_f32_e32 v6, v6, v22
	;; [unrolled: 6-line block ×6, first 2 shown]
	s_and_saveexec_b64 s[6:7], s[0:1]
	s_cbranch_execz .LBB46_17
; %bb.16:
	v_add_u32_e32 v23, 10, v0
	v_cmp_eq_u32_e32 vcc, 1, v23
	v_cndmask_b32_e32 v21, v17, v19, vcc
	v_cmp_eq_u32_e32 vcc, 2, v23
	v_cndmask_b32_e32 v21, v21, v15, vcc
	;; [unrolled: 2-line block ×12, first 2 shown]
	v_mad_u64_u32 v[21:22], s[8:9], s2, 5, v[0:1]
	v_mov_b32_e32 v22, 0
	v_cmp_eq_u32_e32 vcc, 13, v23
	v_lshlrev_b64 v[21:22], 2, v[21:22]
	v_cndmask_b32_e32 v23, v24, v4, vcc
	v_mov_b32_e32 v24, s5
	v_add_co_u32_e32 v21, vcc, s4, v21
	v_addc_co_u32_e32 v22, vcc, v24, v22, vcc
	global_store_dword v[21:22], v23, off
.LBB46_17:
	s_or_b64 exec, exec, s[6:7]
	ds_bpermute_b32 v21, v1, v5
	ds_bpermute_b32 v1, v1, v4
	s_waitcnt lgkmcnt(1)
	v_add_f32_e32 v5, v5, v21
	s_waitcnt lgkmcnt(0)
	v_add_f32_e32 v1, v4, v1
	ds_bpermute_b32 v4, v2, v5
	ds_bpermute_b32 v2, v2, v1
	s_waitcnt lgkmcnt(1)
	v_add_f32_e32 v4, v5, v4
	s_waitcnt lgkmcnt(0)
	v_add_f32_e32 v1, v1, v2
	;; [unrolled: 6-line block ×5, first 2 shown]
	ds_bpermute_b32 v3, v20, v1
	ds_bpermute_b32 v4, v20, v2
	s_and_b64 exec, exec, s[0:1]
	s_cbranch_execz .LBB46_19
; %bb.18:
	s_waitcnt lgkmcnt(1)
	v_add_f32_e32 v1, v1, v3
	v_add_u32_e32 v3, 12, v0
	v_cmp_eq_u32_e32 vcc, 1, v3
	s_waitcnt lgkmcnt(0)
	v_add_f32_e32 v2, v2, v4
	v_cndmask_b32_e32 v4, v17, v19, vcc
	v_cmp_eq_u32_e32 vcc, 2, v3
	v_cndmask_b32_e32 v4, v4, v15, vcc
	v_cmp_eq_u32_e32 vcc, 3, v3
	;; [unrolled: 2-line block ×12, first 2 shown]
	s_mul_i32 s0, s2, 6
	v_cndmask_b32_e32 v2, v1, v2, vcc
	v_or_b32_e32 v0, s0, v0
	v_mov_b32_e32 v1, 0
	v_lshlrev_b64 v[0:1], 2, v[0:1]
	v_mov_b32_e32 v3, s5
	v_add_co_u32_e32 v0, vcc, s4, v0
	v_addc_co_u32_e32 v1, vcc, v3, v1, vcc
	global_store_dword v[0:1], v2, off
.LBB46_19:
	s_endpgm
	.section	.rodata,"a",@progbits
	.p2align	6, 0x0
	.amdhsa_kernel _ZL13mul_mat_vec_qIL9ggml_type6ELi7ELb0ELb0EEvPKvS2_PKi31ggml_cuda_mm_fusion_args_devicePfj15HIP_vector_typeIjLj3EEjjjS8_jjjS8_jjjj
		.amdhsa_group_segment_fixed_size 0
		.amdhsa_private_segment_fixed_size 0
		.amdhsa_kernarg_size 144
		.amdhsa_user_sgpr_count 6
		.amdhsa_user_sgpr_private_segment_buffer 1
		.amdhsa_user_sgpr_dispatch_ptr 0
		.amdhsa_user_sgpr_queue_ptr 0
		.amdhsa_user_sgpr_kernarg_segment_ptr 1
		.amdhsa_user_sgpr_dispatch_id 0
		.amdhsa_user_sgpr_flat_scratch_init 0
		.amdhsa_user_sgpr_private_segment_size 0
		.amdhsa_uses_dynamic_stack 0
		.amdhsa_system_sgpr_private_segment_wavefront_offset 0
		.amdhsa_system_sgpr_workgroup_id_x 1
		.amdhsa_system_sgpr_workgroup_id_y 1
		.amdhsa_system_sgpr_workgroup_id_z 1
		.amdhsa_system_sgpr_workgroup_info 0
		.amdhsa_system_vgpr_workitem_id 1
		.amdhsa_next_free_vgpr 44
		.amdhsa_next_free_sgpr 28
		.amdhsa_reserve_vcc 1
		.amdhsa_reserve_flat_scratch 0
		.amdhsa_float_round_mode_32 0
		.amdhsa_float_round_mode_16_64 0
		.amdhsa_float_denorm_mode_32 3
		.amdhsa_float_denorm_mode_16_64 3
		.amdhsa_dx10_clamp 1
		.amdhsa_ieee_mode 1
		.amdhsa_fp16_overflow 0
		.amdhsa_exception_fp_ieee_invalid_op 0
		.amdhsa_exception_fp_denorm_src 0
		.amdhsa_exception_fp_ieee_div_zero 0
		.amdhsa_exception_fp_ieee_overflow 0
		.amdhsa_exception_fp_ieee_underflow 0
		.amdhsa_exception_fp_ieee_inexact 0
		.amdhsa_exception_int_div_zero 0
	.end_amdhsa_kernel
	.section	.text._ZL13mul_mat_vec_qIL9ggml_type6ELi7ELb0ELb0EEvPKvS2_PKi31ggml_cuda_mm_fusion_args_devicePfj15HIP_vector_typeIjLj3EEjjjS8_jjjS8_jjjj,"axG",@progbits,_ZL13mul_mat_vec_qIL9ggml_type6ELi7ELb0ELb0EEvPKvS2_PKi31ggml_cuda_mm_fusion_args_devicePfj15HIP_vector_typeIjLj3EEjjjS8_jjjS8_jjjj,comdat
.Lfunc_end46:
	.size	_ZL13mul_mat_vec_qIL9ggml_type6ELi7ELb0ELb0EEvPKvS2_PKi31ggml_cuda_mm_fusion_args_devicePfj15HIP_vector_typeIjLj3EEjjjS8_jjjS8_jjjj, .Lfunc_end46-_ZL13mul_mat_vec_qIL9ggml_type6ELi7ELb0ELb0EEvPKvS2_PKi31ggml_cuda_mm_fusion_args_devicePfj15HIP_vector_typeIjLj3EEjjjS8_jjjS8_jjjj
                                        ; -- End function
	.set _ZL13mul_mat_vec_qIL9ggml_type6ELi7ELb0ELb0EEvPKvS2_PKi31ggml_cuda_mm_fusion_args_devicePfj15HIP_vector_typeIjLj3EEjjjS8_jjjS8_jjjj.num_vgpr, 44
	.set _ZL13mul_mat_vec_qIL9ggml_type6ELi7ELb0ELb0EEvPKvS2_PKi31ggml_cuda_mm_fusion_args_devicePfj15HIP_vector_typeIjLj3EEjjjS8_jjjS8_jjjj.num_agpr, 0
	.set _ZL13mul_mat_vec_qIL9ggml_type6ELi7ELb0ELb0EEvPKvS2_PKi31ggml_cuda_mm_fusion_args_devicePfj15HIP_vector_typeIjLj3EEjjjS8_jjjS8_jjjj.numbered_sgpr, 28
	.set _ZL13mul_mat_vec_qIL9ggml_type6ELi7ELb0ELb0EEvPKvS2_PKi31ggml_cuda_mm_fusion_args_devicePfj15HIP_vector_typeIjLj3EEjjjS8_jjjS8_jjjj.num_named_barrier, 0
	.set _ZL13mul_mat_vec_qIL9ggml_type6ELi7ELb0ELb0EEvPKvS2_PKi31ggml_cuda_mm_fusion_args_devicePfj15HIP_vector_typeIjLj3EEjjjS8_jjjS8_jjjj.private_seg_size, 0
	.set _ZL13mul_mat_vec_qIL9ggml_type6ELi7ELb0ELb0EEvPKvS2_PKi31ggml_cuda_mm_fusion_args_devicePfj15HIP_vector_typeIjLj3EEjjjS8_jjjS8_jjjj.uses_vcc, 1
	.set _ZL13mul_mat_vec_qIL9ggml_type6ELi7ELb0ELb0EEvPKvS2_PKi31ggml_cuda_mm_fusion_args_devicePfj15HIP_vector_typeIjLj3EEjjjS8_jjjS8_jjjj.uses_flat_scratch, 0
	.set _ZL13mul_mat_vec_qIL9ggml_type6ELi7ELb0ELb0EEvPKvS2_PKi31ggml_cuda_mm_fusion_args_devicePfj15HIP_vector_typeIjLj3EEjjjS8_jjjS8_jjjj.has_dyn_sized_stack, 0
	.set _ZL13mul_mat_vec_qIL9ggml_type6ELi7ELb0ELb0EEvPKvS2_PKi31ggml_cuda_mm_fusion_args_devicePfj15HIP_vector_typeIjLj3EEjjjS8_jjjS8_jjjj.has_recursion, 0
	.set _ZL13mul_mat_vec_qIL9ggml_type6ELi7ELb0ELb0EEvPKvS2_PKi31ggml_cuda_mm_fusion_args_devicePfj15HIP_vector_typeIjLj3EEjjjS8_jjjS8_jjjj.has_indirect_call, 0
	.section	.AMDGPU.csdata,"",@progbits
; Kernel info:
; codeLenInByte = 4940
; TotalNumSgprs: 32
; NumVgprs: 44
; ScratchSize: 0
; MemoryBound: 0
; FloatMode: 240
; IeeeMode: 1
; LDSByteSize: 0 bytes/workgroup (compile time only)
; SGPRBlocks: 3
; VGPRBlocks: 10
; NumSGPRsForWavesPerEU: 32
; NumVGPRsForWavesPerEU: 44
; Occupancy: 5
; WaveLimiterHint : 0
; COMPUTE_PGM_RSRC2:SCRATCH_EN: 0
; COMPUTE_PGM_RSRC2:USER_SGPR: 6
; COMPUTE_PGM_RSRC2:TRAP_HANDLER: 0
; COMPUTE_PGM_RSRC2:TGID_X_EN: 1
; COMPUTE_PGM_RSRC2:TGID_Y_EN: 1
; COMPUTE_PGM_RSRC2:TGID_Z_EN: 1
; COMPUTE_PGM_RSRC2:TIDIG_COMP_CNT: 1
	.section	.text._ZL13mul_mat_vec_qIL9ggml_type6ELi8ELb0ELb0EEvPKvS2_PKi31ggml_cuda_mm_fusion_args_devicePfj15HIP_vector_typeIjLj3EEjjjS8_jjjS8_jjjj,"axG",@progbits,_ZL13mul_mat_vec_qIL9ggml_type6ELi8ELb0ELb0EEvPKvS2_PKi31ggml_cuda_mm_fusion_args_devicePfj15HIP_vector_typeIjLj3EEjjjS8_jjjS8_jjjj,comdat
	.globl	_ZL13mul_mat_vec_qIL9ggml_type6ELi8ELb0ELb0EEvPKvS2_PKi31ggml_cuda_mm_fusion_args_devicePfj15HIP_vector_typeIjLj3EEjjjS8_jjjS8_jjjj ; -- Begin function _ZL13mul_mat_vec_qIL9ggml_type6ELi8ELb0ELb0EEvPKvS2_PKi31ggml_cuda_mm_fusion_args_devicePfj15HIP_vector_typeIjLj3EEjjjS8_jjjS8_jjjj
	.p2align	8
	.type	_ZL13mul_mat_vec_qIL9ggml_type6ELi8ELb0ELb0EEvPKvS2_PKi31ggml_cuda_mm_fusion_args_devicePfj15HIP_vector_typeIjLj3EEjjjS8_jjjS8_jjjj,@function
_ZL13mul_mat_vec_qIL9ggml_type6ELi8ELb0ELb0EEvPKvS2_PKi31ggml_cuda_mm_fusion_args_devicePfj15HIP_vector_typeIjLj3EEjjjS8_jjjS8_jjjj: ; @_ZL13mul_mat_vec_qIL9ggml_type6ELi8ELb0ELb0EEvPKvS2_PKi31ggml_cuda_mm_fusion_args_devicePfj15HIP_vector_typeIjLj3EEjjjS8_jjjS8_jjjj
; %bb.0:
	s_load_dword s9, s[4:5], 0x40
	s_load_dwordx4 s[0:3], s[4:5], 0x50
	s_load_dword s25, s[4:5], 0x60
	s_load_dwordx4 s[12:15], s[4:5], 0x68
	;; [unrolled: 2-line block ×3, first 2 shown]
	v_lshl_or_b32 v2, v1, 6, v0
	s_waitcnt lgkmcnt(0)
	s_lshr_b32 s9, s9, 5
	v_lshrrev_b16_e32 v24, 1, v2
	v_mov_b32_e32 v8, 0
	s_lshl_b32 s6, s6, 1
	v_cmp_gt_u32_e32 vcc, s9, v24
	v_mov_b32_e32 v9, v8
	v_mov_b32_e32 v10, v8
	;; [unrolled: 1-line block ×15, first 2 shown]
	s_and_saveexec_b64 s[10:11], vcc
	s_cbranch_execz .LBB47_4
; %bb.1:
	s_load_dwordx4 s[20:23], s[4:5], 0x0
	s_mul_i32 s17, s17, s8
	s_mul_hi_u32 s19, s17, 36
	s_mul_i32 s17, s17, 36
	s_mul_i32 s13, s13, s7
	s_waitcnt lgkmcnt(0)
	s_add_u32 s17, s22, s17
	s_addc_u32 s19, s23, s19
	s_mul_hi_u32 s23, s13, 36
	s_mul_i32 s13, s13, 36
	s_add_u32 s22, s17, s13
	s_mul_hi_u32 s3, s3, s7
	s_addc_u32 s23, s19, s23
	s_add_i32 s3, s7, s3
	s_lshr_b32 s3, s3, s25
	s_mul_i32 s3, s3, s12
	s_mul_hi_u32 s12, s15, s8
	s_add_i32 s12, s8, s12
	s_lshr_b32 s12, s12, s24
	s_mul_i32 s12, s12, s16
	v_lshlrev_b32_e32 v3, 1, v0
	s_add_i32 s13, s6, 1
	v_and_b32_e32 v4, 2, v3
	s_add_i32 s12, s12, s3
	s_mul_i32 s3, s6, s0
	s_mul_i32 s0, s0, s13
	v_and_b32_e32 v3, 1, v0
	v_lshrrev_b32_e32 v2, 1, v2
	s_add_i32 s3, s12, s3
	s_add_i32 s0, s12, s0
	v_lshlrev_b32_e32 v27, 3, v3
	v_mad_u64_u32 v[2:3], s[12:13], v2, 36, s[22:23]
	v_lshlrev_b32_e32 v5, 1, v4
	v_mov_b32_e32 v8, 0
	v_lshlrev_b32_e32 v25, 2, v4
	v_or_b32_e32 v26, 4, v25
	s_lshl_b32 s15, s1, 1
	s_mul_i32 s16, s1, 3
	s_lshl_b32 s17, s1, 2
	s_mul_i32 s19, s1, 5
	s_mul_i32 s24, s1, 6
	;; [unrolled: 1-line block ×3, first 2 shown]
	s_mov_b64 s[12:13], 0
	v_lshlrev_b32_e32 v28, 1, v5
	v_lshlrev_b32_e32 v29, 2, v4
	v_mov_b32_e32 v9, v8
	v_mov_b32_e32 v10, v8
	;; [unrolled: 1-line block ×15, first 2 shown]
.LBB47_2:                               ; =>This Inner Loop Header: Depth=1
	v_add_co_u32_e32 v30, vcc, v2, v27
	v_addc_co_u32_e32 v31, vcc, 0, v3, vcc
	global_load_dwordx2 v[6:7], v[30:31], off offset:4
	global_load_dwordx2 v[4:5], v[30:31], off offset:20
	global_load_dword v38, v[2:3], off
	v_add_u32_e32 v32, s3, v24
	s_waitcnt vmcnt(0)
	v_cvt_f32_f16_sdwa v30, v38 dst_sel:DWORD dst_unused:UNUSED_PAD src0_sel:WORD_1
	v_mul_f32_e32 v39, 0x41000000, v30
	v_mad_i64_i32 v[30:31], s[26:27], v32, 22, s[20:21]
	global_load_dword v35, v[30:31], off offset:2
	v_add_co_u32_e32 v32, vcc, v30, v28
	v_addc_co_u32_e32 v33, vcc, 0, v31, vcc
	global_load_dwordx2 v[33:34], v[32:33], off offset:6
	s_nop 0
	global_load_ushort v30, v[30:31], off
	s_waitcnt vmcnt(2)
	v_ashrrev_i32_e32 v32, v25, v35
	v_lshlrev_b32_e32 v36, 4, v32
	v_lshlrev_b32_e32 v37, 11, v32
	v_and_b32_e32 v36, 16, v36
	v_and_b32_e32 v37, 0x1000, v37
	s_waitcnt vmcnt(1)
	v_and_b32_e32 v31, 0xf0f0f0f, v33
	v_or3_b32 v31, v36, v31, v37
	v_lshlrev_b32_e32 v36, 18, v32
	v_lshlrev_b32_e32 v37, 25, v32
	v_and_b32_e32 v36, 0x100000, v36
	v_and_b32_e32 v37, 0x10000000, v37
	v_or3_b32 v31, v31, v36, v37
	v_lshrrev_b32_e32 v37, 12, v32
	v_lshrrev_b32_e32 v40, 5, v32
	v_lshlrev_b32_e32 v41, 2, v32
	v_lshrrev_b32_e32 v33, 4, v33
	v_and_b32_e32 v37, 16, v37
	v_and_b32_e32 v40, 0x1000, v40
	;; [unrolled: 1-line block ×3, first 2 shown]
	v_lshlrev_b32_e32 v32, 9, v32
	v_ashrrev_i32_e32 v35, v26, v35
	v_and_b32_e32 v33, 0xf0f0f0f, v33
	v_and_b32_e32 v32, 0x10000000, v32
	v_or3_b32 v37, v40, v37, v41
	v_or3_b32 v32, v37, v32, v33
	v_lshlrev_b32_e32 v37, 4, v35
	v_lshlrev_b32_e32 v40, 11, v35
	;; [unrolled: 1-line block ×3, first 2 shown]
	v_and_b32_e32 v37, 16, v37
	v_and_b32_e32 v40, 0x1000, v40
	;; [unrolled: 1-line block ×3, first 2 shown]
	v_lshlrev_b32_e32 v42, 25, v35
	v_and_b32_e32 v33, 0xf0f0f0f, v34
	v_and_b32_e32 v42, 0x10000000, v42
	v_or3_b32 v37, v40, v37, v41
	v_or3_b32 v33, v37, v42, v33
	v_lshrrev_b32_e32 v37, 12, v35
	v_lshrrev_b32_e32 v40, 5, v35
	v_lshlrev_b32_e32 v41, 2, v35
	v_dot4_i32_i8 v36, v31, v6, 0
	v_lshrrev_b32_e32 v34, 4, v34
	v_and_b32_e32 v37, 16, v37
	v_and_b32_e32 v40, 0x1000, v40
	;; [unrolled: 1-line block ×3, first 2 shown]
	v_lshlrev_b32_e32 v35, 9, v35
	v_dot4_i32_i8 v36, v32, v4, v36
	v_and_b32_e32 v34, 0xf0f0f0f, v34
	v_and_b32_e32 v35, 0x10000000, v35
	v_or3_b32 v37, v40, v37, v41
	v_dot4_i32_i8 v36, v33, v7, v36
	v_or3_b32 v34, v37, v35, v34
	v_dot4_i32_i8 v35, v34, v5, v36
	v_cvt_f32_i32_e32 v35, v35
	v_fma_mix_f32 v35, v38, v35, -v39 op_sel_hi:[1,0,0]
	s_waitcnt vmcnt(0)
	v_fma_mix_f32 v23, v35, v30, v23 op_sel_hi:[0,1,0]
	v_add_u32_e32 v35, s0, v24
	v_mad_i64_i32 v[35:36], s[26:27], v35, 22, s[20:21]
	global_load_dword v37, v[35:36], off offset:2
	v_add_co_u32_e32 v40, vcc, v35, v28
	v_addc_co_u32_e32 v41, vcc, 0, v36, vcc
	global_load_dwordx2 v[40:41], v[40:41], off offset:6
	s_waitcnt vmcnt(1)
	v_ashrrev_i32_e32 v42, v25, v37
	global_load_ushort v35, v[35:36], off
	v_ashrrev_i32_e32 v43, v26, v37
	v_lshlrev_b32_e32 v37, 4, v42
	v_lshlrev_b32_e32 v44, 11, v42
	s_waitcnt vmcnt(1)
	v_and_b32_e32 v36, 0xf0f0f0f, v40
	v_and_b32_e32 v37, 16, v37
	;; [unrolled: 1-line block ×3, first 2 shown]
	v_or3_b32 v36, v37, v36, v44
	v_lshlrev_b32_e32 v37, 18, v42
	v_lshlrev_b32_e32 v44, 25, v42
	v_and_b32_e32 v37, 0x100000, v37
	v_and_b32_e32 v44, 0x10000000, v44
	v_or3_b32 v36, v36, v37, v44
	v_dot4_i32_i8 v37, v36, v6, 0
	v_lshrrev_b32_e32 v6, 4, v40
	v_lshrrev_b32_e32 v40, 12, v42
	;; [unrolled: 1-line block ×3, first 2 shown]
	v_lshlrev_b32_e32 v45, 2, v42
	v_and_b32_e32 v40, 16, v40
	v_and_b32_e32 v44, 0x1000, v44
	;; [unrolled: 1-line block ×3, first 2 shown]
	v_lshlrev_b32_e32 v42, 9, v42
	v_and_b32_e32 v6, 0xf0f0f0f, v6
	v_and_b32_e32 v42, 0x10000000, v42
	v_or3_b32 v40, v44, v40, v45
	v_or3_b32 v6, v40, v42, v6
	v_lshlrev_b32_e32 v40, 4, v43
	v_lshlrev_b32_e32 v42, 11, v43
	;; [unrolled: 1-line block ×3, first 2 shown]
	v_and_b32_e32 v40, 16, v40
	v_and_b32_e32 v42, 0x1000, v42
	;; [unrolled: 1-line block ×3, first 2 shown]
	v_lshlrev_b32_e32 v45, 25, v43
	v_dot4_i32_i8 v4, v6, v4, v37
	v_and_b32_e32 v37, 0xf0f0f0f, v41
	v_and_b32_e32 v45, 0x10000000, v45
	v_or3_b32 v40, v42, v40, v44
	v_or3_b32 v37, v40, v45, v37
	v_dot4_i32_i8 v7, v37, v7, v4
	v_lshrrev_b32_e32 v4, 4, v41
	v_lshrrev_b32_e32 v40, 12, v43
	;; [unrolled: 1-line block ×3, first 2 shown]
	v_lshlrev_b32_e32 v42, 2, v43
	v_and_b32_e32 v40, 16, v40
	v_and_b32_e32 v41, 0x1000, v41
	;; [unrolled: 1-line block ×3, first 2 shown]
	v_lshlrev_b32_e32 v43, 9, v43
	v_and_b32_e32 v4, 0xf0f0f0f, v4
	v_and_b32_e32 v43, 0x10000000, v43
	v_or3_b32 v40, v41, v40, v42
	v_or3_b32 v4, v40, v43, v4
	v_dot4_i32_i8 v5, v4, v5, v7
	v_cvt_f32_i32_e32 v5, v5
	v_fma_mix_f32 v5, v38, v5, -v39 op_sel_hi:[1,0,0]
	s_waitcnt vmcnt(0)
	v_fma_mix_f32 v22, v5, v35, v22 op_sel_hi:[0,1,0]
	v_add_u32_e32 v5, s1, v24
	v_mad_u64_u32 v[38:39], s[26:27], v5, 36, s[22:23]
	v_add_co_u32_e32 v40, vcc, v38, v29
	v_addc_co_u32_e32 v41, vcc, 0, v39, vcc
	global_load_dwordx2 v[42:43], v[40:41], off offset:4
	global_load_dwordx2 v[44:45], v[40:41], off offset:20
	global_load_dword v5, v[38:39], off
	s_waitcnt vmcnt(2)
	v_dot4_i32_i8 v38, v31, v42, 0
	s_waitcnt vmcnt(1)
	v_dot4_i32_i8 v38, v32, v44, v38
	v_dot4_i32_i8 v38, v33, v43, v38
	s_waitcnt vmcnt(0)
	v_cvt_f32_f16_sdwa v7, v5 dst_sel:DWORD dst_unused:UNUSED_PAD src0_sel:WORD_1
	v_dot4_i32_i8 v38, v34, v45, v38
	v_cvt_f32_i32_e32 v38, v38
	v_mul_f32_e32 v7, 0x41000000, v7
	v_fma_mix_f32 v38, v5, v38, -v7 op_sel_hi:[1,0,0]
	v_fma_mix_f32 v21, v38, v30, v21 op_sel_hi:[0,1,0]
	v_dot4_i32_i8 v38, v36, v42, 0
	v_dot4_i32_i8 v38, v6, v44, v38
	v_dot4_i32_i8 v38, v37, v43, v38
	v_dot4_i32_i8 v38, v4, v45, v38
	v_cvt_f32_i32_e32 v38, v38
	v_fma_mix_f32 v5, v5, v38, -v7 op_sel_hi:[1,0,0]
	v_fma_mix_f32 v20, v5, v35, v20 op_sel_hi:[0,1,0]
	v_add_u32_e32 v5, s15, v24
	v_mad_u64_u32 v[38:39], s[26:27], v5, 36, s[22:23]
	v_add_co_u32_e32 v40, vcc, v38, v29
	v_addc_co_u32_e32 v41, vcc, 0, v39, vcc
	global_load_dwordx2 v[42:43], v[40:41], off offset:4
	global_load_dwordx2 v[44:45], v[40:41], off offset:20
	global_load_dword v5, v[38:39], off
	s_waitcnt vmcnt(2)
	v_dot4_i32_i8 v38, v31, v42, 0
	s_waitcnt vmcnt(1)
	v_dot4_i32_i8 v38, v32, v44, v38
	v_dot4_i32_i8 v38, v33, v43, v38
	s_waitcnt vmcnt(0)
	v_cvt_f32_f16_sdwa v7, v5 dst_sel:DWORD dst_unused:UNUSED_PAD src0_sel:WORD_1
	v_dot4_i32_i8 v38, v34, v45, v38
	v_cvt_f32_i32_e32 v38, v38
	v_mul_f32_e32 v7, 0x41000000, v7
	v_fma_mix_f32 v38, v5, v38, -v7 op_sel_hi:[1,0,0]
	v_fma_mix_f32 v19, v38, v30, v19 op_sel_hi:[0,1,0]
	v_dot4_i32_i8 v38, v36, v42, 0
	v_dot4_i32_i8 v38, v6, v44, v38
	v_dot4_i32_i8 v38, v37, v43, v38
	v_dot4_i32_i8 v38, v4, v45, v38
	v_cvt_f32_i32_e32 v38, v38
	v_fma_mix_f32 v5, v5, v38, -v7 op_sel_hi:[1,0,0]
	;; [unrolled: 26-line block ×6, first 2 shown]
	v_fma_mix_f32 v10, v5, v35, v10 op_sel_hi:[0,1,0]
	v_add_u32_e32 v5, s25, v24
	v_mad_u64_u32 v[38:39], s[26:27], v5, 36, s[22:23]
	v_add_u32_e32 v24, 32, v24
	v_add_co_u32_e32 v40, vcc, v38, v29
	v_addc_co_u32_e32 v41, vcc, 0, v39, vcc
	global_load_dwordx2 v[42:43], v[40:41], off offset:4
	global_load_dwordx2 v[44:45], v[40:41], off offset:20
	global_load_dword v5, v[38:39], off
	v_add_co_u32_e32 v2, vcc, 0x480, v2
	v_addc_co_u32_e32 v3, vcc, 0, v3, vcc
	v_cmp_le_u32_e32 vcc, s9, v24
	s_or_b64 s[12:13], vcc, s[12:13]
	s_waitcnt vmcnt(2)
	v_dot4_i32_i8 v31, v31, v42, 0
	s_waitcnt vmcnt(1)
	v_dot4_i32_i8 v31, v32, v44, v31
	v_dot4_i32_i8 v31, v33, v43, v31
	s_waitcnt vmcnt(0)
	v_cvt_f32_f16_sdwa v7, v5 dst_sel:DWORD dst_unused:UNUSED_PAD src0_sel:WORD_1
	v_dot4_i32_i8 v31, v34, v45, v31
	v_cvt_f32_i32_e32 v31, v31
	v_mul_f32_e32 v7, 0x41000000, v7
	v_fma_mix_f32 v31, v5, v31, -v7 op_sel_hi:[1,0,0]
	v_fma_mix_f32 v9, v31, v30, v9 op_sel_hi:[0,1,0]
	v_dot4_i32_i8 v30, v36, v42, 0
	v_dot4_i32_i8 v6, v6, v44, v30
	;; [unrolled: 1-line block ×4, first 2 shown]
	v_cvt_f32_i32_e32 v4, v4
	v_fma_mix_f32 v4, v5, v4, -v7 op_sel_hi:[1,0,0]
	v_fma_mix_f32 v8, v4, v35, v8 op_sel_hi:[0,1,0]
	s_andn2_b64 exec, exec, s[12:13]
	s_cbranch_execnz .LBB47_2
; %bb.3:
	s_or_b64 exec, exec, s[12:13]
.LBB47_4:
	s_or_b64 exec, exec, s[10:11]
	s_mov_b32 s1, 0
	v_cmp_eq_u32_e32 vcc, 0, v1
	; wave barrier
	s_and_saveexec_b64 s[10:11], vcc
	s_cbranch_execz .LBB47_21
; %bb.5:
	v_mbcnt_lo_u32_b32 v1, -1, 0
	v_mbcnt_hi_u32_b32 v6, -1, v1
	v_and_b32_e32 v1, 64, v6
	v_add_u32_e32 v7, 64, v1
	v_xor_b32_e32 v1, 32, v6
	v_cmp_lt_i32_e32 vcc, v1, v7
	v_cndmask_b32_e32 v1, v6, v1, vcc
	v_lshlrev_b32_e32 v1, 2, v1
	ds_bpermute_b32 v5, v1, v23
	ds_bpermute_b32 v24, v1, v22
	v_xor_b32_e32 v2, 16, v6
	v_cmp_lt_i32_e32 vcc, v2, v7
	v_cndmask_b32_e32 v2, v6, v2, vcc
	v_lshlrev_b32_e32 v2, 2, v2
	s_waitcnt lgkmcnt(1)
	v_add_f32_e32 v5, v23, v5
	s_waitcnt lgkmcnt(0)
	v_add_f32_e32 v22, v22, v24
	ds_bpermute_b32 v23, v2, v5
	ds_bpermute_b32 v24, v2, v22
	v_xor_b32_e32 v3, 8, v6
	v_cmp_lt_i32_e32 vcc, v3, v7
	v_cndmask_b32_e32 v3, v6, v3, vcc
	v_lshlrev_b32_e32 v3, 2, v3
	s_waitcnt lgkmcnt(1)
	v_add_f32_e32 v23, v5, v23
	s_waitcnt lgkmcnt(0)
	v_add_f32_e32 v22, v22, v24
	;; [unrolled: 10-line block ×3, first 2 shown]
	ds_bpermute_b32 v26, v4, v23
	ds_bpermute_b32 v24, v4, v22
	v_xor_b32_e32 v25, 2, v6
	v_cmp_lt_i32_e32 vcc, v25, v7
	v_cndmask_b32_e32 v25, v6, v25, vcc
	v_lshlrev_b32_e32 v5, 2, v25
	v_xor_b32_e32 v25, 1, v6
	v_cmp_lt_i32_e32 vcc, v25, v7
	s_waitcnt lgkmcnt(1)
	v_add_f32_e32 v7, v23, v26
	s_waitcnt lgkmcnt(0)
	v_add_f32_e32 v24, v22, v24
	v_cndmask_b32_e32 v6, v6, v25, vcc
	ds_bpermute_b32 v23, v5, v7
	ds_bpermute_b32 v25, v5, v24
	s_load_dwordx2 s[4:5], s[4:5], 0x38
	s_mul_i32 s3, s14, s7
	v_lshlrev_b32_e32 v22, 2, v6
	s_waitcnt lgkmcnt(0)
	v_add_f32_e32 v6, v7, v23
	v_add_f32_e32 v23, v24, v25
	s_mul_i32 s0, s18, s8
	s_add_i32 s3, s3, s6
	ds_bpermute_b32 v7, v22, v6
	ds_bpermute_b32 v24, v22, v23
	s_add_i32 s0, s3, s0
	s_lshl_b64 s[0:1], s[0:1], 2
	s_add_u32 s4, s4, s0
	v_add_u32_e32 v25, s6, v0
	s_addc_u32 s5, s5, s1
	v_cmp_gt_u32_e32 vcc, 2, v0
	v_cmp_gt_u32_e64 s[0:1], s2, v25
	s_and_b64 s[0:1], vcc, s[0:1]
	s_waitcnt lgkmcnt(1)
	v_add_f32_e32 v6, v6, v7
	s_waitcnt lgkmcnt(0)
	v_add_f32_e32 v7, v23, v24
	s_and_saveexec_b64 s[6:7], s[0:1]
	s_cbranch_execz .LBB47_7
; %bb.6:
	v_cmp_eq_u32_e32 vcc, 1, v0
	v_cndmask_b32_e32 v23, v6, v7, vcc
	v_cmp_eq_u32_e32 vcc, 2, v0
	v_cndmask_b32_e32 v23, v23, v21, vcc
	;; [unrolled: 2-line block ×15, first 2 shown]
	v_lshlrev_b32_e32 v24, 2, v0
	global_store_dword v24, v23, s[4:5]
.LBB47_7:
	s_or_b64 exec, exec, s[6:7]
	ds_bpermute_b32 v23, v1, v21
	ds_bpermute_b32 v24, v1, v20
	s_waitcnt lgkmcnt(1)
	v_add_f32_e32 v21, v21, v23
	s_waitcnt lgkmcnt(0)
	v_add_f32_e32 v20, v20, v24
	ds_bpermute_b32 v23, v2, v21
	ds_bpermute_b32 v24, v2, v20
	s_waitcnt lgkmcnt(1)
	v_add_f32_e32 v21, v21, v23
	s_waitcnt lgkmcnt(0)
	v_add_f32_e32 v20, v20, v24
	;; [unrolled: 6-line block ×6, first 2 shown]
	s_and_saveexec_b64 s[6:7], s[0:1]
	s_cbranch_execz .LBB47_9
; %bb.8:
	v_add_u32_e32 v23, 2, v0
	v_cmp_eq_u32_e32 vcc, 1, v23
	v_cndmask_b32_e32 v24, v6, v7, vcc
	v_cmp_eq_u32_e32 vcc, 2, v23
	v_cndmask_b32_e32 v24, v24, v21, vcc
	;; [unrolled: 2-line block ×15, first 2 shown]
	v_add_u32_e32 v23, s2, v0
	v_mov_b32_e32 v24, 0
	v_lshlrev_b64 v[23:24], 2, v[23:24]
	v_mov_b32_e32 v26, s5
	v_add_co_u32_e32 v23, vcc, s4, v23
	v_addc_co_u32_e32 v24, vcc, v26, v24, vcc
	global_store_dword v[23:24], v25, off
.LBB47_9:
	s_or_b64 exec, exec, s[6:7]
	ds_bpermute_b32 v23, v1, v19
	ds_bpermute_b32 v24, v1, v18
	s_waitcnt lgkmcnt(1)
	v_add_f32_e32 v19, v19, v23
	s_waitcnt lgkmcnt(0)
	v_add_f32_e32 v18, v18, v24
	ds_bpermute_b32 v23, v2, v19
	ds_bpermute_b32 v24, v2, v18
	s_waitcnt lgkmcnt(1)
	v_add_f32_e32 v19, v19, v23
	s_waitcnt lgkmcnt(0)
	v_add_f32_e32 v18, v18, v24
	;; [unrolled: 6-line block ×6, first 2 shown]
	s_and_saveexec_b64 s[6:7], s[0:1]
	s_cbranch_execz .LBB47_11
; %bb.10:
	v_add_u32_e32 v23, 4, v0
	v_cmp_eq_u32_e32 vcc, 1, v23
	v_cndmask_b32_e32 v24, v6, v7, vcc
	v_cmp_eq_u32_e32 vcc, 2, v23
	v_cndmask_b32_e32 v24, v24, v21, vcc
	;; [unrolled: 2-line block ×15, first 2 shown]
	v_lshl_or_b32 v23, s2, 1, v0
	v_mov_b32_e32 v24, 0
	v_lshlrev_b64 v[23:24], 2, v[23:24]
	v_mov_b32_e32 v26, s5
	v_add_co_u32_e32 v23, vcc, s4, v23
	v_addc_co_u32_e32 v24, vcc, v26, v24, vcc
	global_store_dword v[23:24], v25, off
.LBB47_11:
	s_or_b64 exec, exec, s[6:7]
	ds_bpermute_b32 v23, v1, v17
	ds_bpermute_b32 v24, v1, v16
	s_waitcnt lgkmcnt(1)
	v_add_f32_e32 v17, v17, v23
	s_waitcnt lgkmcnt(0)
	v_add_f32_e32 v16, v16, v24
	ds_bpermute_b32 v23, v2, v17
	ds_bpermute_b32 v24, v2, v16
	s_waitcnt lgkmcnt(1)
	v_add_f32_e32 v17, v17, v23
	s_waitcnt lgkmcnt(0)
	v_add_f32_e32 v16, v16, v24
	;; [unrolled: 6-line block ×6, first 2 shown]
	s_and_saveexec_b64 s[6:7], s[0:1]
	s_cbranch_execz .LBB47_13
; %bb.12:
	v_add_u32_e32 v25, 6, v0
	v_cmp_eq_u32_e32 vcc, 1, v25
	v_cndmask_b32_e32 v23, v6, v7, vcc
	v_cmp_eq_u32_e32 vcc, 2, v25
	v_cndmask_b32_e32 v23, v23, v21, vcc
	;; [unrolled: 2-line block ×14, first 2 shown]
	v_mad_u64_u32 v[23:24], s[8:9], s2, 3, v[0:1]
	v_mov_b32_e32 v24, 0
	v_cmp_eq_u32_e32 vcc, 15, v25
	v_lshlrev_b64 v[23:24], 2, v[23:24]
	v_cndmask_b32_e32 v25, v26, v8, vcc
	v_mov_b32_e32 v26, s5
	v_add_co_u32_e32 v23, vcc, s4, v23
	v_addc_co_u32_e32 v24, vcc, v26, v24, vcc
	global_store_dword v[23:24], v25, off
.LBB47_13:
	s_or_b64 exec, exec, s[6:7]
	ds_bpermute_b32 v23, v1, v15
	ds_bpermute_b32 v24, v1, v14
	s_waitcnt lgkmcnt(1)
	v_add_f32_e32 v15, v15, v23
	s_waitcnt lgkmcnt(0)
	v_add_f32_e32 v14, v14, v24
	ds_bpermute_b32 v23, v2, v15
	ds_bpermute_b32 v24, v2, v14
	s_waitcnt lgkmcnt(1)
	v_add_f32_e32 v15, v15, v23
	s_waitcnt lgkmcnt(0)
	v_add_f32_e32 v14, v14, v24
	;; [unrolled: 6-line block ×6, first 2 shown]
	s_and_saveexec_b64 s[6:7], s[0:1]
	s_cbranch_execz .LBB47_15
; %bb.14:
	v_add_u32_e32 v23, 8, v0
	v_cmp_eq_u32_e32 vcc, 1, v23
	v_cndmask_b32_e32 v24, v6, v7, vcc
	v_cmp_eq_u32_e32 vcc, 2, v23
	v_cndmask_b32_e32 v24, v24, v21, vcc
	;; [unrolled: 2-line block ×15, first 2 shown]
	v_lshl_or_b32 v23, s2, 2, v0
	v_mov_b32_e32 v24, 0
	v_lshlrev_b64 v[23:24], 2, v[23:24]
	v_mov_b32_e32 v26, s5
	v_add_co_u32_e32 v23, vcc, s4, v23
	v_addc_co_u32_e32 v24, vcc, v26, v24, vcc
	global_store_dword v[23:24], v25, off
.LBB47_15:
	s_or_b64 exec, exec, s[6:7]
	ds_bpermute_b32 v23, v1, v13
	ds_bpermute_b32 v24, v1, v12
	s_waitcnt lgkmcnt(1)
	v_add_f32_e32 v13, v13, v23
	s_waitcnt lgkmcnt(0)
	v_add_f32_e32 v12, v12, v24
	ds_bpermute_b32 v23, v2, v13
	ds_bpermute_b32 v24, v2, v12
	s_waitcnt lgkmcnt(1)
	v_add_f32_e32 v13, v13, v23
	s_waitcnt lgkmcnt(0)
	v_add_f32_e32 v12, v12, v24
	;; [unrolled: 6-line block ×6, first 2 shown]
	s_and_saveexec_b64 s[6:7], s[0:1]
	s_cbranch_execz .LBB47_17
; %bb.16:
	v_add_u32_e32 v25, 10, v0
	v_cmp_eq_u32_e32 vcc, 1, v25
	v_cndmask_b32_e32 v23, v6, v7, vcc
	v_cmp_eq_u32_e32 vcc, 2, v25
	v_cndmask_b32_e32 v23, v23, v21, vcc
	;; [unrolled: 2-line block ×14, first 2 shown]
	v_mad_u64_u32 v[23:24], s[8:9], s2, 5, v[0:1]
	v_mov_b32_e32 v24, 0
	v_cmp_eq_u32_e32 vcc, 15, v25
	v_lshlrev_b64 v[23:24], 2, v[23:24]
	v_cndmask_b32_e32 v25, v26, v8, vcc
	v_mov_b32_e32 v26, s5
	v_add_co_u32_e32 v23, vcc, s4, v23
	v_addc_co_u32_e32 v24, vcc, v26, v24, vcc
	global_store_dword v[23:24], v25, off
.LBB47_17:
	s_or_b64 exec, exec, s[6:7]
	ds_bpermute_b32 v23, v1, v11
	ds_bpermute_b32 v24, v1, v10
	s_waitcnt lgkmcnt(1)
	v_add_f32_e32 v11, v11, v23
	s_waitcnt lgkmcnt(0)
	v_add_f32_e32 v10, v10, v24
	ds_bpermute_b32 v23, v2, v11
	ds_bpermute_b32 v24, v2, v10
	s_waitcnt lgkmcnt(1)
	v_add_f32_e32 v11, v11, v23
	s_waitcnt lgkmcnt(0)
	v_add_f32_e32 v10, v10, v24
	;; [unrolled: 6-line block ×6, first 2 shown]
	s_and_saveexec_b64 s[6:7], s[0:1]
	s_cbranch_execz .LBB47_19
; %bb.18:
	v_add_u32_e32 v23, 12, v0
	v_cmp_eq_u32_e32 vcc, 1, v23
	v_cndmask_b32_e32 v24, v6, v7, vcc
	v_cmp_eq_u32_e32 vcc, 2, v23
	v_cndmask_b32_e32 v24, v24, v21, vcc
	;; [unrolled: 2-line block ×14, first 2 shown]
	v_cmp_eq_u32_e32 vcc, 15, v23
	s_mul_i32 s3, s2, 6
	v_cndmask_b32_e32 v25, v24, v8, vcc
	v_or_b32_e32 v23, s3, v0
	v_mov_b32_e32 v24, 0
	v_lshlrev_b64 v[23:24], 2, v[23:24]
	v_mov_b32_e32 v26, s5
	v_add_co_u32_e32 v23, vcc, s4, v23
	v_addc_co_u32_e32 v24, vcc, v26, v24, vcc
	global_store_dword v[23:24], v25, off
.LBB47_19:
	s_or_b64 exec, exec, s[6:7]
	ds_bpermute_b32 v23, v1, v9
	ds_bpermute_b32 v1, v1, v8
	s_waitcnt lgkmcnt(1)
	v_add_f32_e32 v9, v9, v23
	s_waitcnt lgkmcnt(0)
	v_add_f32_e32 v1, v8, v1
	ds_bpermute_b32 v8, v2, v9
	ds_bpermute_b32 v2, v2, v1
	s_waitcnt lgkmcnt(1)
	v_add_f32_e32 v8, v9, v8
	s_waitcnt lgkmcnt(0)
	v_add_f32_e32 v1, v1, v2
	ds_bpermute_b32 v2, v3, v8
	ds_bpermute_b32 v3, v3, v1
	s_waitcnt lgkmcnt(1)
	v_add_f32_e32 v2, v8, v2
	s_waitcnt lgkmcnt(0)
	v_add_f32_e32 v1, v1, v3
	ds_bpermute_b32 v3, v4, v2
	ds_bpermute_b32 v4, v4, v1
	s_waitcnt lgkmcnt(1)
	v_add_f32_e32 v2, v2, v3
	s_waitcnt lgkmcnt(0)
	v_add_f32_e32 v3, v1, v4
	ds_bpermute_b32 v1, v5, v2
	ds_bpermute_b32 v4, v5, v3
	s_waitcnt lgkmcnt(1)
	v_add_f32_e32 v1, v2, v1
	s_waitcnt lgkmcnt(0)
	v_add_f32_e32 v2, v3, v4
	ds_bpermute_b32 v3, v22, v1
	ds_bpermute_b32 v4, v22, v2
	s_and_b64 exec, exec, s[0:1]
	s_cbranch_execz .LBB47_21
; %bb.20:
	s_waitcnt lgkmcnt(1)
	v_add_f32_e32 v1, v1, v3
	v_add_u32_e32 v3, 14, v0
	v_cmp_eq_u32_e32 vcc, 1, v3
	s_waitcnt lgkmcnt(0)
	v_add_f32_e32 v2, v2, v4
	v_cndmask_b32_e32 v4, v6, v7, vcc
	v_cmp_eq_u32_e32 vcc, 2, v3
	v_cndmask_b32_e32 v4, v4, v21, vcc
	v_cmp_eq_u32_e32 vcc, 3, v3
	;; [unrolled: 2-line block ×13, first 2 shown]
	v_cndmask_b32_e32 v4, v4, v1, vcc
	v_mad_u64_u32 v[0:1], s[0:1], s2, 7, v[0:1]
	v_mov_b32_e32 v1, 0
	v_cmp_eq_u32_e32 vcc, 15, v3
	v_lshlrev_b64 v[0:1], 2, v[0:1]
	v_cndmask_b32_e32 v2, v4, v2, vcc
	v_mov_b32_e32 v3, s5
	v_add_co_u32_e32 v0, vcc, s4, v0
	v_addc_co_u32_e32 v1, vcc, v3, v1, vcc
	global_store_dword v[0:1], v2, off
.LBB47_21:
	s_endpgm
	.section	.rodata,"a",@progbits
	.p2align	6, 0x0
	.amdhsa_kernel _ZL13mul_mat_vec_qIL9ggml_type6ELi8ELb0ELb0EEvPKvS2_PKi31ggml_cuda_mm_fusion_args_devicePfj15HIP_vector_typeIjLj3EEjjjS8_jjjS8_jjjj
		.amdhsa_group_segment_fixed_size 0
		.amdhsa_private_segment_fixed_size 0
		.amdhsa_kernarg_size 144
		.amdhsa_user_sgpr_count 6
		.amdhsa_user_sgpr_private_segment_buffer 1
		.amdhsa_user_sgpr_dispatch_ptr 0
		.amdhsa_user_sgpr_queue_ptr 0
		.amdhsa_user_sgpr_kernarg_segment_ptr 1
		.amdhsa_user_sgpr_dispatch_id 0
		.amdhsa_user_sgpr_flat_scratch_init 0
		.amdhsa_user_sgpr_private_segment_size 0
		.amdhsa_uses_dynamic_stack 0
		.amdhsa_system_sgpr_private_segment_wavefront_offset 0
		.amdhsa_system_sgpr_workgroup_id_x 1
		.amdhsa_system_sgpr_workgroup_id_y 1
		.amdhsa_system_sgpr_workgroup_id_z 1
		.amdhsa_system_sgpr_workgroup_info 0
		.amdhsa_system_vgpr_workitem_id 1
		.amdhsa_next_free_vgpr 46
		.amdhsa_next_free_sgpr 28
		.amdhsa_reserve_vcc 1
		.amdhsa_reserve_flat_scratch 0
		.amdhsa_float_round_mode_32 0
		.amdhsa_float_round_mode_16_64 0
		.amdhsa_float_denorm_mode_32 3
		.amdhsa_float_denorm_mode_16_64 3
		.amdhsa_dx10_clamp 1
		.amdhsa_ieee_mode 1
		.amdhsa_fp16_overflow 0
		.amdhsa_exception_fp_ieee_invalid_op 0
		.amdhsa_exception_fp_denorm_src 0
		.amdhsa_exception_fp_ieee_div_zero 0
		.amdhsa_exception_fp_ieee_overflow 0
		.amdhsa_exception_fp_ieee_underflow 0
		.amdhsa_exception_fp_ieee_inexact 0
		.amdhsa_exception_int_div_zero 0
	.end_amdhsa_kernel
	.section	.text._ZL13mul_mat_vec_qIL9ggml_type6ELi8ELb0ELb0EEvPKvS2_PKi31ggml_cuda_mm_fusion_args_devicePfj15HIP_vector_typeIjLj3EEjjjS8_jjjS8_jjjj,"axG",@progbits,_ZL13mul_mat_vec_qIL9ggml_type6ELi8ELb0ELb0EEvPKvS2_PKi31ggml_cuda_mm_fusion_args_devicePfj15HIP_vector_typeIjLj3EEjjjS8_jjjS8_jjjj,comdat
.Lfunc_end47:
	.size	_ZL13mul_mat_vec_qIL9ggml_type6ELi8ELb0ELb0EEvPKvS2_PKi31ggml_cuda_mm_fusion_args_devicePfj15HIP_vector_typeIjLj3EEjjjS8_jjjS8_jjjj, .Lfunc_end47-_ZL13mul_mat_vec_qIL9ggml_type6ELi8ELb0ELb0EEvPKvS2_PKi31ggml_cuda_mm_fusion_args_devicePfj15HIP_vector_typeIjLj3EEjjjS8_jjjS8_jjjj
                                        ; -- End function
	.set _ZL13mul_mat_vec_qIL9ggml_type6ELi8ELb0ELb0EEvPKvS2_PKi31ggml_cuda_mm_fusion_args_devicePfj15HIP_vector_typeIjLj3EEjjjS8_jjjS8_jjjj.num_vgpr, 46
	.set _ZL13mul_mat_vec_qIL9ggml_type6ELi8ELb0ELb0EEvPKvS2_PKi31ggml_cuda_mm_fusion_args_devicePfj15HIP_vector_typeIjLj3EEjjjS8_jjjS8_jjjj.num_agpr, 0
	.set _ZL13mul_mat_vec_qIL9ggml_type6ELi8ELb0ELb0EEvPKvS2_PKi31ggml_cuda_mm_fusion_args_devicePfj15HIP_vector_typeIjLj3EEjjjS8_jjjS8_jjjj.numbered_sgpr, 28
	.set _ZL13mul_mat_vec_qIL9ggml_type6ELi8ELb0ELb0EEvPKvS2_PKi31ggml_cuda_mm_fusion_args_devicePfj15HIP_vector_typeIjLj3EEjjjS8_jjjS8_jjjj.num_named_barrier, 0
	.set _ZL13mul_mat_vec_qIL9ggml_type6ELi8ELb0ELb0EEvPKvS2_PKi31ggml_cuda_mm_fusion_args_devicePfj15HIP_vector_typeIjLj3EEjjjS8_jjjS8_jjjj.private_seg_size, 0
	.set _ZL13mul_mat_vec_qIL9ggml_type6ELi8ELb0ELb0EEvPKvS2_PKi31ggml_cuda_mm_fusion_args_devicePfj15HIP_vector_typeIjLj3EEjjjS8_jjjS8_jjjj.uses_vcc, 1
	.set _ZL13mul_mat_vec_qIL9ggml_type6ELi8ELb0ELb0EEvPKvS2_PKi31ggml_cuda_mm_fusion_args_devicePfj15HIP_vector_typeIjLj3EEjjjS8_jjjS8_jjjj.uses_flat_scratch, 0
	.set _ZL13mul_mat_vec_qIL9ggml_type6ELi8ELb0ELb0EEvPKvS2_PKi31ggml_cuda_mm_fusion_args_devicePfj15HIP_vector_typeIjLj3EEjjjS8_jjjS8_jjjj.has_dyn_sized_stack, 0
	.set _ZL13mul_mat_vec_qIL9ggml_type6ELi8ELb0ELb0EEvPKvS2_PKi31ggml_cuda_mm_fusion_args_devicePfj15HIP_vector_typeIjLj3EEjjjS8_jjjS8_jjjj.has_recursion, 0
	.set _ZL13mul_mat_vec_qIL9ggml_type6ELi8ELb0ELb0EEvPKvS2_PKi31ggml_cuda_mm_fusion_args_devicePfj15HIP_vector_typeIjLj3EEjjjS8_jjjS8_jjjj.has_indirect_call, 0
	.section	.AMDGPU.csdata,"",@progbits
; Kernel info:
; codeLenInByte = 5612
; TotalNumSgprs: 32
; NumVgprs: 46
; ScratchSize: 0
; MemoryBound: 0
; FloatMode: 240
; IeeeMode: 1
; LDSByteSize: 0 bytes/workgroup (compile time only)
; SGPRBlocks: 3
; VGPRBlocks: 11
; NumSGPRsForWavesPerEU: 32
; NumVGPRsForWavesPerEU: 46
; Occupancy: 5
; WaveLimiterHint : 0
; COMPUTE_PGM_RSRC2:SCRATCH_EN: 0
; COMPUTE_PGM_RSRC2:USER_SGPR: 6
; COMPUTE_PGM_RSRC2:TRAP_HANDLER: 0
; COMPUTE_PGM_RSRC2:TGID_X_EN: 1
; COMPUTE_PGM_RSRC2:TGID_Y_EN: 1
; COMPUTE_PGM_RSRC2:TGID_Z_EN: 1
; COMPUTE_PGM_RSRC2:TIDIG_COMP_CNT: 1
	.section	.text._ZL17mul_mat_vec_q_moeIL9ggml_type7ELi2EEvPKvS2_PKiPfj15HIP_vector_typeIjLj3EEjjjjjjjjj,"axG",@progbits,_ZL17mul_mat_vec_q_moeIL9ggml_type7ELi2EEvPKvS2_PKiPfj15HIP_vector_typeIjLj3EEjjjjjjjjj,comdat
	.globl	_ZL17mul_mat_vec_q_moeIL9ggml_type7ELi2EEvPKvS2_PKiPfj15HIP_vector_typeIjLj3EEjjjjjjjjj ; -- Begin function _ZL17mul_mat_vec_q_moeIL9ggml_type7ELi2EEvPKvS2_PKiPfj15HIP_vector_typeIjLj3EEjjjjjjjjj
	.p2align	8
	.type	_ZL17mul_mat_vec_q_moeIL9ggml_type7ELi2EEvPKvS2_PKiPfj15HIP_vector_typeIjLj3EEjjjjjjjjj,@function
_ZL17mul_mat_vec_q_moeIL9ggml_type7ELi2EEvPKvS2_PKiPfj15HIP_vector_typeIjLj3EEjjjjjjjjj: ; @_ZL17mul_mat_vec_q_moeIL9ggml_type7ELi2EEvPKvS2_PKiPfj15HIP_vector_typeIjLj3EEjjjjjjjjj
; %bb.0:
	s_load_dwordx8 s[8:15], s[4:5], 0x30
	s_waitcnt lgkmcnt(0)
	v_cmp_gt_u32_e32 vcc, s15, v1
	s_and_saveexec_b64 s[0:1], vcc
	s_cbranch_execz .LBB48_7
; %bb.1:
	s_load_dword s1, s[4:5], 0x20
	s_load_dword s0, s[4:5], 0x50
	s_load_dwordx8 s[16:23], s[4:5], 0x0
	v_lshrrev_b32_e32 v6, 1, v0
	s_lshl_b32 s6, s6, 1
	s_waitcnt lgkmcnt(0)
	s_lshr_b32 s15, s1, 5
	v_cmp_gt_u32_e32 vcc, s15, v6
	v_mov_b32_e32 v2, 0
	v_mov_b32_e32 v3, 0
	s_and_saveexec_b64 s[24:25], vcc
	s_cbranch_execz .LBB48_5
; %bb.2:
	v_mul_lo_u32 v2, s0, v1
	v_mov_b32_e32 v3, 0
	v_mov_b32_e32 v7, s21
	s_load_dwordx4 s[0:3], s[4:5], 0x24
	v_add_u32_e32 v2, s7, v2
	v_lshlrev_b64 v[4:5], 2, v[2:3]
	v_lshrrev_b32_e32 v11, 1, v0
	v_add_co_u32_e32 v4, vcc, s20, v4
	v_addc_co_u32_e32 v5, vcc, v7, v5, vcc
	global_load_dword v2, v[4:5], off
	v_mul_lo_u32 v4, s10, v1
	v_lshlrev_b32_e32 v5, 1, v0
	v_and_b32_e32 v5, 2, v5
	v_lshlrev_b32_e32 v8, 2, v5
	v_lshlrev_b32_e32 v9, 2, v5
	v_mad_u64_u32 v[4:5], s[20:21], v4, 36, 0
	s_waitcnt lgkmcnt(0)
	s_mul_hi_u32 s0, s0, s7
	s_add_i32 s0, s7, s0
	s_lshr_b32 s0, s0, s1
	s_mul_i32 s2, s0, s2
	v_mad_u64_u32 v[4:5], s[0:1], v11, 36, v[4:5]
	s_sub_i32 s0, s7, s2
	s_mul_i32 s0, s0, s13
	s_add_i32 s10, s6, 1
	s_mul_hi_u32 s1, s0, 36
	s_mul_i32 s0, s0, 36
	s_add_u32 s0, s18, s0
	s_addc_u32 s1, s19, s1
	s_mul_i32 s3, s6, s9
	v_and_b32_e32 v7, 1, v0
	s_mul_i32 s9, s9, s10
	v_mov_b32_e32 v11, s1
	v_add_co_u32_e32 v4, vcc, s0, v4
	s_mov_b64 s[4:5], 0
	v_lshlrev_b32_e32 v7, 3, v7
	v_or_b32_e32 v10, 4, v8
	v_addc_co_u32_e32 v5, vcc, v11, v5, vcc
	s_waitcnt vmcnt(0)
	v_mul_lo_u32 v2, v2, s12
	v_add_u32_e32 v11, s3, v2
	v_add_u32_e32 v12, s9, v2
	v_mov_b32_e32 v2, v3
.LBB48_3:                               ; =>This Inner Loop Header: Depth=1
	v_add_u32_e32 v13, v11, v6
	v_mad_i64_i32 v[13:14], s[0:1], v13, 24, s[16:17]
	v_add_u32_e32 v15, v12, v6
	v_mad_i64_i32 v[15:16], s[0:1], v15, 24, s[16:17]
	v_add_co_u32_e32 v17, vcc, v13, v9
	v_addc_co_u32_e32 v18, vcc, 0, v14, vcc
	global_load_dwordx2 v[13:14], v[13:14], off
	v_add_co_u32_e32 v19, vcc, v15, v9
	v_addc_co_u32_e32 v20, vcc, 0, v16, vcc
	global_load_dwordx2 v[21:22], v[17:18], off offset:8
	global_load_dwordx2 v[23:24], v[15:16], off
	global_load_dwordx2 v[25:26], v[19:20], off offset:8
	v_add_u32_e32 v6, 32, v6
	v_cmp_le_u32_e64 s[0:1], s15, v6
	s_or_b64 s[4:5], s[0:1], s[4:5]
	s_waitcnt vmcnt(3)
	v_ashrrev_i32_e32 v15, v8, v14
	v_lshlrev_b32_e32 v16, 4, v15
	v_lshlrev_b32_e32 v17, 11, v15
	v_lshrrev_b32_e32 v19, 12, v15
	v_lshrrev_b32_e32 v20, 5, v15
	v_lshlrev_b32_e32 v27, 2, v15
	v_ashrrev_i32_e32 v14, v10, v14
	s_waitcnt vmcnt(2)
	v_and_b32_e32 v18, 0xf0f0f0f, v21
	v_and_b32_e32 v16, 16, v16
	;; [unrolled: 1-line block ×6, first 2 shown]
	v_or3_b32 v16, v16, v18, v17
	v_lshlrev_b32_e32 v17, 4, v14
	v_lshlrev_b32_e32 v18, 11, v14
	v_or3_b32 v19, v20, v19, v27
	v_lshlrev_b32_e32 v20, 18, v14
	v_and_b32_e32 v17, 16, v17
	v_and_b32_e32 v18, 0x1000, v18
	;; [unrolled: 1-line block ×3, first 2 shown]
	v_lshrrev_b32_e32 v27, 12, v14
	v_or3_b32 v17, v18, v17, v20
	v_lshrrev_b32_e32 v18, 5, v14
	v_lshlrev_b32_e32 v20, 2, v14
	v_and_b32_e32 v27, 16, v27
	v_and_b32_e32 v18, 0x1000, v18
	;; [unrolled: 1-line block ×3, first 2 shown]
	v_or3_b32 v18, v18, v27, v20
	s_waitcnt vmcnt(1)
	v_ashrrev_i32_e32 v20, v8, v24
	v_lshlrev_b32_e32 v27, 4, v20
	v_lshlrev_b32_e32 v28, 11, v20
	v_and_b32_e32 v27, 16, v27
	v_and_b32_e32 v28, 0x1000, v28
	s_waitcnt vmcnt(0)
	v_and_b32_e32 v29, 0xf0f0f0f, v25
	v_or3_b32 v27, v27, v29, v28
	v_lshrrev_b32_e32 v28, 12, v20
	v_lshrrev_b32_e32 v29, 5, v20
	v_lshlrev_b32_e32 v30, 2, v20
	v_and_b32_e32 v28, 16, v28
	v_and_b32_e32 v29, 0x1000, v29
	;; [unrolled: 1-line block ×3, first 2 shown]
	v_or3_b32 v28, v29, v28, v30
	global_load_dword v29, v[4:5], off
	v_ashrrev_i32_e32 v24, v10, v24
	v_lshlrev_b32_e32 v31, 18, v24
	v_and_b32_e32 v31, 0x100000, v31
	s_waitcnt vmcnt(0)
	v_pk_mul_f16 v30, v13, v29
	v_pk_mul_f16 v23, v23, v29
	v_lshlrev_b32_e32 v13, 4, v24
	v_lshlrev_b32_e32 v29, 11, v24
	v_and_b32_e32 v13, 16, v13
	v_and_b32_e32 v29, 0x1000, v29
	v_or3_b32 v29, v29, v13, v31
	v_lshlrev_b32_e32 v13, 18, v15
	v_lshlrev_b32_e32 v31, 25, v15
	v_and_b32_e32 v13, 0x100000, v13
	v_and_b32_e32 v31, 0x10000000, v31
	v_or3_b32 v31, v16, v13, v31
	v_lshlrev_b32_e32 v13, 9, v15
	v_lshrrev_b32_e32 v15, 4, v21
	v_and_b32_e32 v13, 0x10000000, v13
	v_and_b32_e32 v15, 0xf0f0f0f, v15
	v_or3_b32 v19, v19, v13, v15
	v_lshlrev_b32_e32 v13, 25, v14
	v_and_b32_e32 v13, 0x10000000, v13
	v_and_b32_e32 v15, 0xf0f0f0f, v22
	v_or3_b32 v21, v17, v13, v15
	v_lshrrev_b32_e32 v13, 12, v24
	v_lshrrev_b32_e32 v15, 5, v24
	v_lshlrev_b32_e32 v16, 2, v24
	v_and_b32_e32 v13, 16, v13
	v_and_b32_e32 v15, 0x1000, v15
	;; [unrolled: 1-line block ×3, first 2 shown]
	v_or3_b32 v32, v15, v13, v16
	v_lshrrev_b32_e32 v13, 4, v22
	v_lshlrev_b32_e32 v14, 9, v14
	v_and_b32_e32 v14, 0x10000000, v14
	v_and_b32_e32 v13, 0xf0f0f0f, v13
	v_or3_b32 v22, v18, v14, v13
	v_lshlrev_b32_e32 v13, 18, v20
	v_lshlrev_b32_e32 v14, 25, v20
	v_and_b32_e32 v13, 0x100000, v13
	v_and_b32_e32 v14, 0x10000000, v14
	v_or3_b32 v27, v27, v13, v14
	v_lshrrev_b32_e32 v13, 4, v25
	v_lshlrev_b32_e32 v14, 9, v20
	v_and_b32_e32 v13, 0xf0f0f0f, v13
	v_and_b32_e32 v14, 0x10000000, v14
	v_or3_b32 v20, v28, v14, v13
	v_add_co_u32_e32 v13, vcc, v4, v7
	v_lshlrev_b32_e32 v16, 25, v24
	v_addc_co_u32_e32 v14, vcc, 0, v5, vcc
	v_and_b32_e32 v15, 0xf0f0f0f, v26
	v_and_b32_e32 v16, 0x10000000, v16
	v_lshrrev_b32_e32 v25, 4, v26
	v_or3_b32 v26, v29, v16, v15
	global_load_dwordx2 v[15:16], v[13:14], off offset:4
	global_load_dwordx2 v[17:18], v[13:14], off offset:20
	v_lshlrev_b32_e32 v13, 9, v24
	v_and_b32_e32 v14, 0xf0f0f0f, v25
	v_and_b32_e32 v13, 0x10000000, v13
	v_or3_b32 v13, v32, v13, v14
	v_cvt_f32_f16_sdwa v14, v30 dst_sel:DWORD dst_unused:UNUSED_PAD src0_sel:WORD_1
	v_cvt_f32_f16_sdwa v24, v23 dst_sel:DWORD dst_unused:UNUSED_PAD src0_sel:WORD_1
	v_add_co_u32_e32 v4, vcc, 0x480, v4
	v_mul_f32_e32 v14, 0.5, v14
	v_addc_co_u32_e32 v5, vcc, 0, v5, vcc
	s_waitcnt vmcnt(1)
	v_dot4_i32_i8 v25, v31, v15, 0
	v_dot4_i32_i8 v15, v27, v15, 0
	s_waitcnt vmcnt(0)
	v_dot4_i32_i8 v19, v19, v17, v25
	v_dot4_i32_i8 v15, v20, v17, v15
	;; [unrolled: 1-line block ×6, first 2 shown]
	v_cvt_f32_i32_e32 v15, v16
	v_cvt_f32_i32_e32 v13, v13
	v_mul_f32_e32 v16, 0.5, v24
	v_fma_mix_f32 v14, v15, v30, v14 op_sel_hi:[0,1,0]
	v_fma_mix_f32 v13, v13, v23, v16 op_sel_hi:[0,1,0]
	v_add_f32_e32 v3, v3, v14
	v_add_f32_e32 v2, v2, v13
	s_andn2_b64 exec, exec, s[4:5]
	s_cbranch_execnz .LBB48_3
; %bb.4:
	s_or_b64 exec, exec, s[4:5]
.LBB48_5:
	s_or_b64 exec, exec, s[24:25]
	v_mbcnt_lo_u32_b32 v4, -1, 0
	v_mbcnt_hi_u32_b32 v4, -1, v4
	v_and_b32_e32 v5, 64, v4
	v_add_u32_e32 v5, 64, v5
	v_xor_b32_e32 v6, 32, v4
	v_cmp_lt_i32_e32 vcc, v6, v5
	v_cndmask_b32_e32 v6, v4, v6, vcc
	v_lshlrev_b32_e32 v6, 2, v6
	ds_bpermute_b32 v9, v6, v3
	ds_bpermute_b32 v6, v6, v2
	v_xor_b32_e32 v7, 16, v4
	v_cmp_lt_i32_e32 vcc, v7, v5
	v_cndmask_b32_e32 v7, v4, v7, vcc
	v_lshlrev_b32_e32 v7, 2, v7
	s_waitcnt lgkmcnt(1)
	v_add_f32_e32 v3, v3, v9
	s_waitcnt lgkmcnt(0)
	v_add_f32_e32 v2, v2, v6
	ds_bpermute_b32 v9, v7, v3
	ds_bpermute_b32 v6, v7, v2
	v_xor_b32_e32 v8, 8, v4
	v_cmp_lt_i32_e32 vcc, v8, v5
	v_cndmask_b32_e32 v8, v4, v8, vcc
	v_lshlrev_b32_e32 v8, 2, v8
	s_waitcnt lgkmcnt(1)
	v_add_f32_e32 v3, v3, v9
	s_waitcnt lgkmcnt(0)
	v_add_f32_e32 v2, v2, v6
	;; [unrolled: 10-line block ×5, first 2 shown]
	ds_bpermute_b32 v3, v5, v2
	ds_bpermute_b32 v5, v5, v4
	v_add_u32_e32 v6, s6, v0
	v_cmp_gt_u32_e32 vcc, 2, v0
	v_cmp_gt_u32_e64 s[0:1], s8, v6
	s_and_b64 s[0:1], vcc, s[0:1]
	s_and_b64 exec, exec, s[0:1]
	s_cbranch_execz .LBB48_7
; %bb.6:
	v_mul_lo_u32 v1, s11, v1
	v_cmp_eq_u32_e32 vcc, 1, v0
	s_mul_i32 s0, s14, s7
	v_or_b32_e32 v0, s6, v0
	v_add3_u32 v0, v0, v1, s0
	v_mov_b32_e32 v1, 0
	v_lshlrev_b64 v[0:1], 2, v[0:1]
	s_waitcnt lgkmcnt(1)
	v_add_f32_e32 v2, v2, v3
	s_waitcnt lgkmcnt(0)
	v_add_f32_e32 v3, v4, v5
	v_cndmask_b32_e32 v2, v2, v3, vcc
	v_mov_b32_e32 v3, s23
	v_add_co_u32_e32 v0, vcc, s22, v0
	v_addc_co_u32_e32 v1, vcc, v3, v1, vcc
	global_store_dword v[0:1], v2, off
.LBB48_7:
	s_endpgm
	.section	.rodata,"a",@progbits
	.p2align	6, 0x0
	.amdhsa_kernel _ZL17mul_mat_vec_q_moeIL9ggml_type7ELi2EEvPKvS2_PKiPfj15HIP_vector_typeIjLj3EEjjjjjjjjj
		.amdhsa_group_segment_fixed_size 0
		.amdhsa_private_segment_fixed_size 0
		.amdhsa_kernarg_size 84
		.amdhsa_user_sgpr_count 6
		.amdhsa_user_sgpr_private_segment_buffer 1
		.amdhsa_user_sgpr_dispatch_ptr 0
		.amdhsa_user_sgpr_queue_ptr 0
		.amdhsa_user_sgpr_kernarg_segment_ptr 1
		.amdhsa_user_sgpr_dispatch_id 0
		.amdhsa_user_sgpr_flat_scratch_init 0
		.amdhsa_user_sgpr_private_segment_size 0
		.amdhsa_uses_dynamic_stack 0
		.amdhsa_system_sgpr_private_segment_wavefront_offset 0
		.amdhsa_system_sgpr_workgroup_id_x 1
		.amdhsa_system_sgpr_workgroup_id_y 1
		.amdhsa_system_sgpr_workgroup_id_z 0
		.amdhsa_system_sgpr_workgroup_info 0
		.amdhsa_system_vgpr_workitem_id 1
		.amdhsa_next_free_vgpr 33
		.amdhsa_next_free_sgpr 26
		.amdhsa_reserve_vcc 1
		.amdhsa_reserve_flat_scratch 0
		.amdhsa_float_round_mode_32 0
		.amdhsa_float_round_mode_16_64 0
		.amdhsa_float_denorm_mode_32 3
		.amdhsa_float_denorm_mode_16_64 3
		.amdhsa_dx10_clamp 1
		.amdhsa_ieee_mode 1
		.amdhsa_fp16_overflow 0
		.amdhsa_exception_fp_ieee_invalid_op 0
		.amdhsa_exception_fp_denorm_src 0
		.amdhsa_exception_fp_ieee_div_zero 0
		.amdhsa_exception_fp_ieee_overflow 0
		.amdhsa_exception_fp_ieee_underflow 0
		.amdhsa_exception_fp_ieee_inexact 0
		.amdhsa_exception_int_div_zero 0
	.end_amdhsa_kernel
	.section	.text._ZL17mul_mat_vec_q_moeIL9ggml_type7ELi2EEvPKvS2_PKiPfj15HIP_vector_typeIjLj3EEjjjjjjjjj,"axG",@progbits,_ZL17mul_mat_vec_q_moeIL9ggml_type7ELi2EEvPKvS2_PKiPfj15HIP_vector_typeIjLj3EEjjjjjjjjj,comdat
.Lfunc_end48:
	.size	_ZL17mul_mat_vec_q_moeIL9ggml_type7ELi2EEvPKvS2_PKiPfj15HIP_vector_typeIjLj3EEjjjjjjjjj, .Lfunc_end48-_ZL17mul_mat_vec_q_moeIL9ggml_type7ELi2EEvPKvS2_PKiPfj15HIP_vector_typeIjLj3EEjjjjjjjjj
                                        ; -- End function
	.set _ZL17mul_mat_vec_q_moeIL9ggml_type7ELi2EEvPKvS2_PKiPfj15HIP_vector_typeIjLj3EEjjjjjjjjj.num_vgpr, 33
	.set _ZL17mul_mat_vec_q_moeIL9ggml_type7ELi2EEvPKvS2_PKiPfj15HIP_vector_typeIjLj3EEjjjjjjjjj.num_agpr, 0
	.set _ZL17mul_mat_vec_q_moeIL9ggml_type7ELi2EEvPKvS2_PKiPfj15HIP_vector_typeIjLj3EEjjjjjjjjj.numbered_sgpr, 26
	.set _ZL17mul_mat_vec_q_moeIL9ggml_type7ELi2EEvPKvS2_PKiPfj15HIP_vector_typeIjLj3EEjjjjjjjjj.num_named_barrier, 0
	.set _ZL17mul_mat_vec_q_moeIL9ggml_type7ELi2EEvPKvS2_PKiPfj15HIP_vector_typeIjLj3EEjjjjjjjjj.private_seg_size, 0
	.set _ZL17mul_mat_vec_q_moeIL9ggml_type7ELi2EEvPKvS2_PKiPfj15HIP_vector_typeIjLj3EEjjjjjjjjj.uses_vcc, 1
	.set _ZL17mul_mat_vec_q_moeIL9ggml_type7ELi2EEvPKvS2_PKiPfj15HIP_vector_typeIjLj3EEjjjjjjjjj.uses_flat_scratch, 0
	.set _ZL17mul_mat_vec_q_moeIL9ggml_type7ELi2EEvPKvS2_PKiPfj15HIP_vector_typeIjLj3EEjjjjjjjjj.has_dyn_sized_stack, 0
	.set _ZL17mul_mat_vec_q_moeIL9ggml_type7ELi2EEvPKvS2_PKiPfj15HIP_vector_typeIjLj3EEjjjjjjjjj.has_recursion, 0
	.set _ZL17mul_mat_vec_q_moeIL9ggml_type7ELi2EEvPKvS2_PKiPfj15HIP_vector_typeIjLj3EEjjjjjjjjj.has_indirect_call, 0
	.section	.AMDGPU.csdata,"",@progbits
; Kernel info:
; codeLenInByte = 1584
; TotalNumSgprs: 30
; NumVgprs: 33
; ScratchSize: 0
; MemoryBound: 0
; FloatMode: 240
; IeeeMode: 1
; LDSByteSize: 0 bytes/workgroup (compile time only)
; SGPRBlocks: 3
; VGPRBlocks: 8
; NumSGPRsForWavesPerEU: 30
; NumVGPRsForWavesPerEU: 33
; Occupancy: 7
; WaveLimiterHint : 1
; COMPUTE_PGM_RSRC2:SCRATCH_EN: 0
; COMPUTE_PGM_RSRC2:USER_SGPR: 6
; COMPUTE_PGM_RSRC2:TRAP_HANDLER: 0
; COMPUTE_PGM_RSRC2:TGID_X_EN: 1
; COMPUTE_PGM_RSRC2:TGID_Y_EN: 1
; COMPUTE_PGM_RSRC2:TGID_Z_EN: 0
; COMPUTE_PGM_RSRC2:TIDIG_COMP_CNT: 1
	.section	.text._ZL13mul_mat_vec_qIL9ggml_type7ELi1ELb1ELb1EEvPKvS2_PKi31ggml_cuda_mm_fusion_args_devicePfj15HIP_vector_typeIjLj3EEjjjS8_jjjS8_jjjj,"axG",@progbits,_ZL13mul_mat_vec_qIL9ggml_type7ELi1ELb1ELb1EEvPKvS2_PKi31ggml_cuda_mm_fusion_args_devicePfj15HIP_vector_typeIjLj3EEjjjS8_jjjS8_jjjj,comdat
	.globl	_ZL13mul_mat_vec_qIL9ggml_type7ELi1ELb1ELb1EEvPKvS2_PKi31ggml_cuda_mm_fusion_args_devicePfj15HIP_vector_typeIjLj3EEjjjS8_jjjS8_jjjj ; -- Begin function _ZL13mul_mat_vec_qIL9ggml_type7ELi1ELb1ELb1EEvPKvS2_PKi31ggml_cuda_mm_fusion_args_devicePfj15HIP_vector_typeIjLj3EEjjjS8_jjjS8_jjjj
	.p2align	8
	.type	_ZL13mul_mat_vec_qIL9ggml_type7ELi1ELb1ELb1EEvPKvS2_PKi31ggml_cuda_mm_fusion_args_devicePfj15HIP_vector_typeIjLj3EEjjjS8_jjjS8_jjjj,@function
_ZL13mul_mat_vec_qIL9ggml_type7ELi1ELb1ELb1EEvPKvS2_PKi31ggml_cuda_mm_fusion_args_devicePfj15HIP_vector_typeIjLj3EEjjjS8_jjjS8_jjjj: ; @_ZL13mul_mat_vec_qIL9ggml_type7ELi1ELb1ELb1EEvPKvS2_PKi31ggml_cuda_mm_fusion_args_devicePfj15HIP_vector_typeIjLj3EEjjjS8_jjjS8_jjjj
; %bb.0:
	s_load_dwordx8 s[12:19], s[4:5], 0x0
	s_load_dwordx4 s[28:31], s[4:5], 0x20
	s_load_dwordx4 s[36:39], s[4:5], 0x40
	;; [unrolled: 1-line block ×3, first 2 shown]
	s_mov_b32 s34, s7
	s_waitcnt lgkmcnt(0)
	s_cmp_lg_u64 s[16:17], 0
	s_cselect_b64 s[0:1], -1, 0
	s_cmp_eq_u64 s[16:17], 0
	s_mov_b64 s[2:3], 0
	s_cbranch_scc1 .LBB49_5
; %bb.1:
	s_mov_b32 s35, 0
	s_lshl_b64 s[10:11], s[34:35], 2
	s_add_u32 s10, s16, s10
	s_addc_u32 s11, s17, s11
	s_load_dword s35, s[10:11], 0x0
	s_load_dword s33, s[4:5], 0x50
	;; [unrolled: 1-line block ×3, first 2 shown]
	s_andn2_b64 vcc, exec, s[2:3]
	s_cbranch_vccnz .LBB49_3
.LBB49_2:
	s_load_dwordx2 s[2:3], s[4:5], 0x5c
	s_waitcnt lgkmcnt(0)
	s_mul_hi_u32 s2, s2, s34
	s_add_i32 s2, s34, s2
	s_lshr_b32 s35, s2, s3
.LBB49_3:
	s_andn2_b64 vcc, exec, s[0:1]
	s_cbranch_vccnz .LBB49_6
; %bb.4:
	s_mul_hi_u32 s0, s37, s34
	s_add_i32 s0, s34, s0
	s_lshr_b32 s0, s0, s38
	s_mul_i32 s0, s0, s39
	s_sub_i32 s37, s34, s0
	s_waitcnt lgkmcnt(0)
	s_mov_b32 s43, s35
	s_branch .LBB49_7
.LBB49_5:
                                        ; implicit-def: $sgpr35
	s_load_dword s33, s[4:5], 0x50
	s_load_dword s42, s[4:5], 0x78
	s_branch .LBB49_2
.LBB49_6:
	s_mov_b32 s43, s34
	s_mov_b32 s37, s34
.LBB49_7:
	s_load_dword s9, s[4:5], 0x58
	s_load_dwordx4 s[24:27], s[4:5], 0x80
	s_lshl_b32 s16, s6, 1
	s_cmp_eq_u64 s[18:19], 0
	s_cselect_b64 s[0:1], -1, 0
	v_mov_b32_e32 v20, 0
	s_and_b64 vcc, exec, s[0:1]
	v_cmp_gt_u32_e64 s[2:3], 2, v0
	v_cmp_eq_u32_e64 s[6:7], 0, v1
	v_add_u32_e32 v19, s16, v0
	v_mov_b32_e32 v21, 0
	s_cbranch_vccnz .LBB49_11
; %bb.8:
	s_waitcnt lgkmcnt(0)
	v_cmp_gt_u32_e32 vcc, s9, v19
	s_and_b64 s[2:3], s[2:3], vcc
	s_mov_b32 s11, 0
	s_and_b64 s[6:7], s[2:3], s[6:7]
	v_mov_b32_e32 v21, 0
	s_and_saveexec_b64 s[2:3], s[6:7]
	s_cbranch_execz .LBB49_10
; %bb.9:
	s_mul_i32 s10, s26, s8
	s_lshl_b64 s[6:7], s[10:11], 2
	s_add_u32 s17, s18, s6
	s_mul_i32 s10, s43, s22
	s_addc_u32 s18, s19, s7
	s_lshl_b64 s[6:7], s[10:11], 2
	s_add_u32 s10, s17, s6
	s_addc_u32 s11, s18, s7
	s_ashr_i32 s17, s16, 31
	s_lshl_b64 s[6:7], s[16:17], 2
	s_add_u32 s6, s10, s6
	s_addc_u32 s7, s11, s7
	v_lshlrev_b32_e32 v2, 2, v0
	global_load_dword v21, v2, s[6:7]
.LBB49_10:
	s_or_b64 exec, exec, s[2:3]
.LBB49_11:
	s_cmp_lg_u64 s[28:29], 0
	s_cselect_b64 s[18:19], -1, 0
	s_cmp_eq_u64 s[28:29], 0
	s_cselect_b64 s[38:39], -1, 0
	s_cmp_lg_u64 s[30:31], 0
	s_cselect_b64 s[2:3], -1, 0
	s_and_b64 s[6:7], s[2:3], s[18:19]
	s_andn2_b64 vcc, exec, s[6:7]
	s_waitcnt lgkmcnt(0)
	v_cmp_gt_u32_e64 s[6:7], s9, v19
	s_cbranch_vccnz .LBB49_15
; %bb.12:
	v_cmp_gt_u32_e32 vcc, 2, v0
	v_cmp_eq_u32_e64 s[10:11], 0, v1
	s_and_b64 s[6:7], vcc, s[6:7]
	s_mov_b32 s41, 0
	s_and_b64 s[10:11], s[6:7], s[10:11]
	v_mov_b32_e32 v20, 0
	s_and_saveexec_b64 s[6:7], s[10:11]
	s_cbranch_execz .LBB49_14
; %bb.13:
	s_mul_i32 s40, s26, s8
	s_lshl_b64 s[10:11], s[40:41], 2
	s_add_u32 s17, s30, s10
	s_mul_i32 s40, s43, s22
	s_addc_u32 s27, s31, s11
	s_lshl_b64 s[10:11], s[40:41], 2
	s_add_u32 s30, s17, s10
	s_addc_u32 s27, s27, s11
	s_ashr_i32 s17, s16, 31
	s_lshl_b64 s[10:11], s[16:17], 2
	s_add_u32 s10, s30, s10
	s_addc_u32 s11, s27, s11
	v_lshlrev_b32_e32 v2, 2, v0
	global_load_dword v20, v2, s[10:11]
.LBB49_14:
	s_or_b64 exec, exec, s[6:7]
.LBB49_15:
	v_lshlrev_b32_e32 v6, 6, v1
	v_add_u16_e32 v2, v6, v0
	v_mov_b32_e32 v4, 0
	s_lshr_b32 s17, s36, 5
	v_lshrrev_b16_e32 v24, 1, v2
	v_mov_b32_e32 v5, v4
	v_mov_b32_e32 v2, v4
	v_cmp_gt_u32_e32 vcc, s17, v24
	v_cndmask_b32_e64 v22, 0, 1, s[18:19]
	v_mov_b32_e32 v23, v4
	v_mov_b32_e32 v3, v5
	s_and_saveexec_b64 s[30:31], vcc
	s_cbranch_execz .LBB49_23
; %bb.16:
	s_mul_hi_u32 s10, s23, s8
	s_add_i32 s10, s8, s10
	s_lshr_b32 s10, s10, s42
	s_mul_i32 s11, s35, s20
	s_mul_i32 s10, s10, s24
	;; [unrolled: 1-line block ×3, first 2 shown]
	s_add_i32 s21, s11, s10
	s_mul_i32 s10, s16, s33
	s_add_i32 s20, s21, s10
	s_add_i32 s10, s16, 1
	s_mul_i32 s6, s25, s8
	s_mul_i32 s33, s33, s10
	s_add_i32 s21, s21, s33
	s_mul_hi_u32 s11, s6, 36
	s_mul_i32 s6, s6, 36
	s_add_u32 s6, s14, s6
	s_mul_hi_u32 s10, s7, 36
	s_mul_i32 s7, s7, 36
	s_addc_u32 s11, s15, s11
	v_add_u32_e32 v3, v6, v0
	s_add_u32 s6, s6, s7
	v_and_b32_e32 v5, 1, v0
	v_lshrrev_b32_e32 v3, 1, v3
	s_addc_u32 s7, s11, s10
	v_lshlrev_b32_e32 v2, 1, v0
	v_lshlrev_b32_e32 v27, 3, v5
	v_mad_u64_u32 v[5:6], s[6:7], v3, 36, s[6:7]
	v_and_b32_e32 v4, 2, v2
	v_mov_b32_e32 v2, 0
	v_lshlrev_b32_e32 v25, 2, v4
	v_or_b32_e32 v26, 4, v25
	v_mov_b32_e32 v3, v2
	s_mov_b64 s[14:15], 0
	v_lshlrev_b32_e32 v28, 2, v4
	v_cmp_ne_u32_e64 s[6:7], 1, v22
	v_mov_b32_e32 v23, v2
	v_mov_b32_e32 v4, v2
	s_branch .LBB49_18
.LBB49_17:                              ;   in Loop: Header=BB49_18 Depth=1
	s_waitcnt vmcnt(3)
	v_ashrrev_i32_e32 v30, v25, v12
	v_lshlrev_b32_e32 v32, 4, v30
	v_lshlrev_b32_e32 v33, 11, v30
	s_waitcnt vmcnt(2)
	v_and_b32_e32 v31, 0xf0f0f0f, v13
	v_and_b32_e32 v32, 16, v32
	;; [unrolled: 1-line block ×3, first 2 shown]
	v_or3_b32 v31, v32, v31, v33
	v_lshlrev_b32_e32 v32, 18, v30
	v_lshlrev_b32_e32 v33, 25, v30
	v_and_b32_e32 v32, 0x100000, v32
	v_and_b32_e32 v33, 0x10000000, v33
	v_or3_b32 v31, v31, v32, v33
	v_lshrrev_b32_e32 v32, 12, v30
	v_lshrrev_b32_e32 v33, 5, v30
	v_lshlrev_b32_e32 v34, 2, v30
	v_lshrrev_b32_e32 v13, 4, v13
	v_and_b32_e32 v32, 16, v32
	v_and_b32_e32 v33, 0x1000, v33
	;; [unrolled: 1-line block ×3, first 2 shown]
	v_lshlrev_b32_e32 v30, 9, v30
	v_and_b32_e32 v13, 0xf0f0f0f, v13
	v_and_b32_e32 v30, 0x10000000, v30
	v_or3_b32 v32, v33, v32, v34
	v_ashrrev_i32_e32 v12, v26, v12
	v_dot4_i32_i8 v31, v31, v9, 0
	v_or3_b32 v13, v32, v30, v13
	v_dot4_i32_i8 v13, v13, v7, v31
	v_lshlrev_b32_e32 v31, 4, v12
	v_lshlrev_b32_e32 v32, 11, v12
	;; [unrolled: 1-line block ×3, first 2 shown]
	v_and_b32_e32 v31, 16, v31
	v_and_b32_e32 v32, 0x1000, v32
	;; [unrolled: 1-line block ×3, first 2 shown]
	v_lshlrev_b32_e32 v34, 25, v12
	v_and_b32_e32 v30, 0xf0f0f0f, v14
	v_and_b32_e32 v34, 0x10000000, v34
	v_or3_b32 v31, v32, v31, v33
	v_or3_b32 v30, v31, v34, v30
	v_dot4_i32_i8 v13, v30, v10, v13
	v_lshrrev_b32_e32 v30, 12, v12
	v_lshrrev_b32_e32 v31, 5, v12
	v_lshlrev_b32_e32 v32, 2, v12
	v_and_b32_e32 v30, 16, v30
	v_and_b32_e32 v31, 0x1000, v31
	;; [unrolled: 1-line block ×3, first 2 shown]
	v_pk_mul_f16 v11, v11, v29
	v_or3_b32 v30, v31, v30, v32
	v_cvt_f32_f16_sdwa v31, v11 dst_sel:DWORD dst_unused:UNUSED_PAD src0_sel:WORD_1
	v_lshrrev_b32_e32 v14, 4, v14
	v_lshlrev_b32_e32 v12, 9, v12
	v_and_b32_e32 v14, 0xf0f0f0f, v14
	v_and_b32_e32 v12, 0x10000000, v12
	v_or3_b32 v12, v30, v12, v14
	s_waitcnt vmcnt(1)
	v_ashrrev_i32_e32 v14, v25, v16
	v_dot4_i32_i8 v12, v12, v8, v13
	v_mul_f32_e32 v13, 0.5, v31
	v_lshlrev_b32_e32 v31, 4, v14
	v_lshlrev_b32_e32 v32, 11, v14
	s_waitcnt vmcnt(0)
	v_and_b32_e32 v30, 0xf0f0f0f, v17
	v_and_b32_e32 v31, 16, v31
	;; [unrolled: 1-line block ×3, first 2 shown]
	v_or3_b32 v30, v31, v30, v32
	v_lshlrev_b32_e32 v31, 18, v14
	v_lshlrev_b32_e32 v32, 25, v14
	v_and_b32_e32 v31, 0x100000, v31
	v_and_b32_e32 v32, 0x10000000, v32
	v_or3_b32 v30, v30, v31, v32
	v_dot4_i32_i8 v9, v30, v9, 0
	v_lshrrev_b32_e32 v30, 12, v14
	v_lshrrev_b32_e32 v31, 5, v14
	v_lshlrev_b32_e32 v32, 2, v14
	v_lshrrev_b32_e32 v17, 4, v17
	v_and_b32_e32 v30, 16, v30
	v_and_b32_e32 v31, 0x1000, v31
	;; [unrolled: 1-line block ×3, first 2 shown]
	v_lshlrev_b32_e32 v14, 9, v14
	v_and_b32_e32 v17, 0xf0f0f0f, v17
	v_and_b32_e32 v14, 0x10000000, v14
	v_or3_b32 v30, v31, v30, v32
	v_ashrrev_i32_e32 v16, v26, v16
	v_or3_b32 v14, v30, v14, v17
	v_dot4_i32_i8 v7, v14, v7, v9
	v_lshlrev_b32_e32 v14, 4, v16
	v_lshlrev_b32_e32 v17, 11, v16
	;; [unrolled: 1-line block ×3, first 2 shown]
	v_and_b32_e32 v14, 16, v14
	v_and_b32_e32 v17, 0x1000, v17
	;; [unrolled: 1-line block ×3, first 2 shown]
	v_lshlrev_b32_e32 v31, 25, v16
	v_and_b32_e32 v9, 0xf0f0f0f, v18
	v_and_b32_e32 v31, 0x10000000, v31
	v_or3_b32 v14, v17, v14, v30
	v_or3_b32 v9, v14, v31, v9
	v_dot4_i32_i8 v7, v9, v10, v7
	v_lshrrev_b32_e32 v10, 12, v16
	v_lshrrev_b32_e32 v14, 5, v16
	v_lshlrev_b32_e32 v17, 2, v16
	v_lshrrev_b32_e32 v9, 4, v18
	v_and_b32_e32 v10, 16, v10
	v_and_b32_e32 v14, 0x1000, v14
	;; [unrolled: 1-line block ×3, first 2 shown]
	v_lshlrev_b32_e32 v16, 9, v16
	v_and_b32_e32 v9, 0xf0f0f0f, v9
	v_and_b32_e32 v16, 0x10000000, v16
	v_or3_b32 v10, v14, v10, v17
	v_or3_b32 v9, v10, v16, v9
	v_dot4_i32_i8 v7, v9, v8, v7
	v_pk_mul_f16 v8, v15, v29
	v_cvt_f32_f16_sdwa v9, v8 dst_sel:DWORD dst_unused:UNUSED_PAD src0_sel:WORD_1
	v_cvt_f32_i32_e32 v12, v12
	v_cvt_f32_i32_e32 v7, v7
	v_add_u32_e32 v24, 64, v24
	v_mul_f32_e32 v9, 0.5, v9
	v_fma_mix_f32 v10, v12, v11, v13 op_sel_hi:[0,1,0]
	v_fma_mix_f32 v7, v7, v8, v9 op_sel_hi:[0,1,0]
	v_add_co_u32_e32 v5, vcc, 0x900, v5
	v_cmp_le_u32_e64 s[10:11], s17, v24
	v_add_f32_e32 v23, v23, v10
	v_add_f32_e32 v4, v4, v7
	s_or_b64 s[14:15], s[10:11], s[14:15]
	v_addc_co_u32_e32 v6, vcc, 0, v6, vcc
	s_andn2_b64 exec, exec, s[14:15]
	s_cbranch_execz .LBB49_22
.LBB49_18:                              ; =>This Inner Loop Header: Depth=1
	v_add_u32_e32 v15, s20, v24
	v_mad_i64_i32 v[16:17], s[10:11], v15, 24, s[12:13]
	v_add_co_u32_e32 v11, vcc, v5, v27
	v_addc_co_u32_e32 v12, vcc, 0, v6, vcc
	global_load_dwordx2 v[9:10], v[11:12], off offset:4
	global_load_dwordx2 v[7:8], v[11:12], off offset:20
	global_load_dword v29, v[5:6], off
	v_add_co_u32_e32 v30, vcc, v16, v28
	v_addc_co_u32_e32 v31, vcc, 0, v17, vcc
	global_load_dwordx2 v[11:12], v[16:17], off
	global_load_dwordx2 v[13:14], v[30:31], off offset:8
	s_and_b64 vcc, exec, s[6:7]
	s_cbranch_vccnz .LBB49_20
; %bb.19:                               ;   in Loop: Header=BB49_18 Depth=1
	v_mad_i64_i32 v[15:16], s[10:11], v15, 24, s[28:29]
	global_load_dwordx2 v[17:18], v[15:16], off
	v_add_co_u32_e32 v15, vcc, v15, v28
	v_addc_co_u32_e32 v16, vcc, 0, v16, vcc
	global_load_dwordx2 v[15:16], v[15:16], off offset:8
	s_waitcnt vmcnt(1)
	v_ashrrev_i32_e32 v30, v25, v18
	v_lshlrev_b32_e32 v32, 4, v30
	v_lshlrev_b32_e32 v33, 11, v30
	v_and_b32_e32 v32, 16, v32
	v_and_b32_e32 v33, 0x1000, v33
	s_waitcnt vmcnt(0)
	v_and_b32_e32 v31, 0xf0f0f0f, v15
	v_or3_b32 v31, v32, v31, v33
	v_lshlrev_b32_e32 v32, 18, v30
	v_lshlrev_b32_e32 v33, 25, v30
	v_and_b32_e32 v32, 0x100000, v32
	v_and_b32_e32 v33, 0x10000000, v33
	v_or3_b32 v31, v31, v32, v33
	v_lshrrev_b32_e32 v32, 12, v30
	v_lshrrev_b32_e32 v33, 5, v30
	v_lshlrev_b32_e32 v34, 2, v30
	v_lshrrev_b32_e32 v15, 4, v15
	v_and_b32_e32 v32, 16, v32
	v_and_b32_e32 v33, 0x1000, v33
	;; [unrolled: 1-line block ×3, first 2 shown]
	v_lshlrev_b32_e32 v30, 9, v30
	v_and_b32_e32 v15, 0xf0f0f0f, v15
	v_and_b32_e32 v30, 0x10000000, v30
	v_or3_b32 v32, v33, v32, v34
	v_ashrrev_i32_e32 v18, v26, v18
	v_dot4_i32_i8 v31, v31, v9, 0
	v_or3_b32 v15, v32, v30, v15
	v_dot4_i32_i8 v15, v15, v7, v31
	v_lshlrev_b32_e32 v31, 4, v18
	v_lshlrev_b32_e32 v32, 11, v18
	v_and_b32_e32 v30, 0xf0f0f0f, v16
	v_and_b32_e32 v31, 16, v31
	;; [unrolled: 1-line block ×3, first 2 shown]
	v_or3_b32 v30, v31, v30, v32
	v_lshlrev_b32_e32 v31, 18, v18
	v_lshlrev_b32_e32 v32, 25, v18
	v_and_b32_e32 v31, 0x100000, v31
	v_and_b32_e32 v32, 0x10000000, v32
	v_or3_b32 v30, v30, v31, v32
	v_dot4_i32_i8 v15, v30, v10, v15
	v_lshrrev_b32_e32 v30, 12, v18
	v_lshrrev_b32_e32 v31, 5, v18
	v_lshlrev_b32_e32 v32, 2, v18
	v_lshrrev_b32_e32 v16, 4, v16
	v_and_b32_e32 v30, 16, v30
	v_and_b32_e32 v31, 0x1000, v31
	;; [unrolled: 1-line block ×3, first 2 shown]
	v_lshlrev_b32_e32 v18, 9, v18
	v_and_b32_e32 v16, 0xf0f0f0f, v16
	v_and_b32_e32 v18, 0x10000000, v18
	v_or3_b32 v30, v31, v30, v32
	v_or3_b32 v16, v30, v18, v16
	v_dot4_i32_i8 v15, v16, v8, v15
	v_pk_mul_f16 v16, v29, v17
	v_cvt_f32_f16_sdwa v17, v16 dst_sel:DWORD dst_unused:UNUSED_PAD src0_sel:WORD_1
	v_cvt_f32_i32_e32 v15, v15
	v_mul_f32_e32 v17, 0.5, v17
	v_fma_mix_f32 v15, v15, v16, v17 op_sel_hi:[0,1,0]
	v_add_f32_e32 v2, v2, v15
.LBB49_20:                              ;   in Loop: Header=BB49_18 Depth=1
	v_add_u32_e32 v30, s21, v24
	v_mad_i64_i32 v[31:32], s[10:11], v30, 24, s[12:13]
	v_add_co_u32_e32 v33, vcc, v31, v28
	v_addc_co_u32_e32 v34, vcc, 0, v32, vcc
	global_load_dwordx2 v[15:16], v[31:32], off
	global_load_dwordx2 v[17:18], v[33:34], off offset:8
	s_and_b64 vcc, exec, s[6:7]
	s_cbranch_vccnz .LBB49_17
; %bb.21:                               ;   in Loop: Header=BB49_18 Depth=1
	v_mad_i64_i32 v[30:31], s[10:11], v30, 24, s[28:29]
	global_load_dwordx2 v[32:33], v[30:31], off
	v_add_co_u32_e32 v30, vcc, v30, v28
	v_addc_co_u32_e32 v31, vcc, 0, v31, vcc
	global_load_dwordx2 v[30:31], v[30:31], off offset:8
	s_waitcnt vmcnt(1)
	v_ashrrev_i32_e32 v34, v25, v33
	v_lshlrev_b32_e32 v36, 4, v34
	v_lshlrev_b32_e32 v37, 11, v34
	v_and_b32_e32 v36, 16, v36
	v_and_b32_e32 v37, 0x1000, v37
	s_waitcnt vmcnt(0)
	v_and_b32_e32 v35, 0xf0f0f0f, v30
	v_or3_b32 v35, v36, v35, v37
	v_lshlrev_b32_e32 v36, 18, v34
	v_lshlrev_b32_e32 v37, 25, v34
	v_and_b32_e32 v36, 0x100000, v36
	v_and_b32_e32 v37, 0x10000000, v37
	v_or3_b32 v35, v35, v36, v37
	v_lshrrev_b32_e32 v36, 12, v34
	v_lshrrev_b32_e32 v37, 5, v34
	v_lshlrev_b32_e32 v38, 2, v34
	v_lshrrev_b32_e32 v30, 4, v30
	v_and_b32_e32 v36, 16, v36
	v_and_b32_e32 v37, 0x1000, v37
	;; [unrolled: 1-line block ×3, first 2 shown]
	v_lshlrev_b32_e32 v34, 9, v34
	v_and_b32_e32 v30, 0xf0f0f0f, v30
	v_and_b32_e32 v34, 0x10000000, v34
	v_or3_b32 v36, v37, v36, v38
	v_ashrrev_i32_e32 v33, v26, v33
	v_dot4_i32_i8 v35, v35, v9, 0
	v_or3_b32 v30, v36, v34, v30
	v_dot4_i32_i8 v30, v30, v7, v35
	v_lshlrev_b32_e32 v35, 4, v33
	v_lshlrev_b32_e32 v36, 11, v33
	v_and_b32_e32 v34, 0xf0f0f0f, v31
	v_and_b32_e32 v35, 16, v35
	;; [unrolled: 1-line block ×3, first 2 shown]
	v_or3_b32 v34, v35, v34, v36
	v_lshlrev_b32_e32 v35, 18, v33
	v_lshlrev_b32_e32 v36, 25, v33
	v_and_b32_e32 v35, 0x100000, v35
	v_and_b32_e32 v36, 0x10000000, v36
	v_or3_b32 v34, v34, v35, v36
	v_dot4_i32_i8 v30, v34, v10, v30
	v_lshrrev_b32_e32 v34, 12, v33
	v_lshrrev_b32_e32 v35, 5, v33
	v_lshlrev_b32_e32 v36, 2, v33
	v_lshrrev_b32_e32 v31, 4, v31
	v_and_b32_e32 v34, 16, v34
	v_and_b32_e32 v35, 0x1000, v35
	;; [unrolled: 1-line block ×3, first 2 shown]
	v_lshlrev_b32_e32 v33, 9, v33
	v_and_b32_e32 v31, 0xf0f0f0f, v31
	v_and_b32_e32 v33, 0x10000000, v33
	v_or3_b32 v34, v35, v34, v36
	v_or3_b32 v31, v34, v33, v31
	v_dot4_i32_i8 v30, v31, v8, v30
	v_pk_mul_f16 v31, v29, v32
	v_cvt_f32_f16_sdwa v32, v31 dst_sel:DWORD dst_unused:UNUSED_PAD src0_sel:WORD_1
	v_cvt_f32_i32_e32 v30, v30
	v_mul_f32_e32 v32, 0.5, v32
	v_fma_mix_f32 v30, v30, v31, v32 op_sel_hi:[0,1,0]
	v_add_f32_e32 v3, v3, v30
	s_branch .LBB49_17
.LBB49_22:
	s_or_b64 exec, exec, s[14:15]
.LBB49_23:
	s_or_b64 exec, exec, s[30:31]
	s_load_dword s14, s[4:5], 0x30
	v_cmp_eq_u32_e64 s[6:7], 0, v1
	v_cmp_ne_u32_e32 vcc, 0, v1
	v_lshlrev_b32_e32 v5, 2, v0
	s_and_saveexec_b64 s[10:11], vcc
	s_cbranch_execz .LBB49_28
; %bb.24:
	v_lshl_or_b32 v1, v1, 9, v5
	v_add_u32_e32 v6, 0xfffffe00, v1
	s_mov_b64 s[12:13], -1
	s_and_b64 vcc, exec, s[38:39]
	ds_write_b32 v6, v23
	s_cbranch_vccz .LBB49_26
; %bb.25:
	ds_write_b32 v6, v4 offset:256
	s_mov_b64 s[12:13], 0
.LBB49_26:
	s_andn2_b64 vcc, exec, s[12:13]
	s_cbranch_vccnz .LBB49_28
; %bb.27:
	ds_write_b32 v6, v4 offset:256
	ds_write2st64_b32 v1, v2, v3 offset1:1
.LBB49_28:
	s_or_b64 exec, exec, s[10:11]
	s_waitcnt vmcnt(0) lgkmcnt(0)
	s_barrier
	s_and_saveexec_b64 s[10:11], s[6:7]
	s_cbranch_execz .LBB49_61
; %bb.29:
	ds_read_b32 v7, v5
	v_cmp_ne_u32_e64 s[6:7], 1, v22
	s_andn2_b64 vcc, exec, s[18:19]
	v_or_b32_e32 v6, 0x200, v5
	s_cbranch_vccnz .LBB49_31
; %bb.30:
	ds_read_b32 v1, v6
	s_waitcnt lgkmcnt(0)
	v_add_f32_e32 v2, v2, v1
.LBB49_31:
	v_mbcnt_lo_u32_b32 v1, -1, 0
	v_mbcnt_hi_u32_b32 v8, -1, v1
	v_and_b32_e32 v1, 64, v8
	v_add_u32_e32 v13, 64, v1
	v_xor_b32_e32 v1, 32, v8
	v_cmp_lt_i32_e32 vcc, v1, v13
	v_cndmask_b32_e32 v1, v8, v1, vcc
	v_lshlrev_b32_e32 v1, 2, v1
	s_waitcnt lgkmcnt(0)
	v_add_f32_e32 v7, v23, v7
	ds_bpermute_b32 v10, v1, v7
	v_xor_b32_e32 v9, 16, v8
	v_cmp_lt_i32_e32 vcc, v9, v13
	v_cndmask_b32_e32 v9, v8, v9, vcc
	v_lshlrev_b32_e32 v9, 2, v9
	s_waitcnt lgkmcnt(0)
	v_add_f32_e32 v7, v7, v10
	ds_bpermute_b32 v11, v9, v7
	;; [unrolled: 7-line block ×6, first 2 shown]
	s_and_b64 vcc, exec, s[6:7]
	s_cbranch_vccnz .LBB49_33
; %bb.32:
	ds_bpermute_b32 v14, v1, v2
	s_waitcnt lgkmcnt(0)
	v_add_f32_e32 v2, v2, v14
	ds_bpermute_b32 v14, v9, v2
	s_waitcnt lgkmcnt(0)
	v_add_f32_e32 v2, v2, v14
	;; [unrolled: 3-line block ×6, first 2 shown]
.LBB49_33:
	ds_read_b32 v14, v5 offset:256
	s_and_b64 vcc, exec, s[6:7]
	s_cbranch_vccnz .LBB49_35
; %bb.34:
	ds_read_b32 v6, v6 offset:256
	s_waitcnt lgkmcnt(0)
	v_add_f32_e32 v3, v3, v6
.LBB49_35:
	s_waitcnt lgkmcnt(0)
	v_add_f32_e32 v4, v4, v14
	ds_bpermute_b32 v6, v1, v4
	s_and_b64 vcc, exec, s[6:7]
	s_waitcnt lgkmcnt(0)
	v_add_f32_e32 v4, v4, v6
	ds_bpermute_b32 v6, v9, v4
	s_waitcnt lgkmcnt(0)
	v_add_f32_e32 v4, v4, v6
	ds_bpermute_b32 v6, v10, v4
	;; [unrolled: 3-line block ×5, first 2 shown]
	s_cbranch_vccnz .LBB49_37
; %bb.36:
	ds_bpermute_b32 v1, v1, v3
	s_waitcnt lgkmcnt(0)
	v_add_f32_e32 v1, v3, v1
	ds_bpermute_b32 v3, v9, v1
	s_waitcnt lgkmcnt(0)
	v_add_f32_e32 v1, v1, v3
	;; [unrolled: 3-line block ×6, first 2 shown]
.LBB49_37:
	v_cmp_gt_u32_e32 vcc, s9, v19
	v_cmp_gt_u32_e64 s[10:11], 2, v0
	s_and_b64 s[10:11], s[10:11], vcc
	s_and_b64 exec, exec, s[10:11]
	s_cbranch_execz .LBB49_61
; %bb.38:
	v_add_f32_e32 v1, v7, v8
	s_waitcnt lgkmcnt(0)
	v_add_f32_e32 v4, v4, v6
	v_cmp_eq_u32_e64 s[10:11], 1, v0
	v_cndmask_b32_e64 v0, v1, v4, s[10:11]
	v_add_f32_e32 v1, v21, v0
	s_and_b64 vcc, exec, s[6:7]
	v_cndmask_b32_e64 v0, v1, v0, s[0:1]
	s_cbranch_vccnz .LBB49_60
; %bb.39:
	v_cndmask_b32_e64 v1, v2, v3, s[10:11]
	v_add_f32_e32 v2, v20, v1
	v_cndmask_b32_e64 v1, v1, v2, s[2:3]
	s_cmp_lt_i32 s14, 2
	s_mov_b64 s[0:1], 0
	s_cbranch_scc1 .LBB49_43
; %bb.40:
	s_cmp_gt_i32 s14, 2
	s_cbranch_scc0 .LBB49_44
; %bb.41:
	s_cmp_eq_u32 s14, 3
	s_cbranch_scc0 .LBB49_45
; %bb.42:
	v_max_f32_e32 v2, v1, v1
	v_min_f32_e32 v2, 0x40e00000, v2
	v_mul_f32_e32 v3, 0xbfd9db23, v2
	s_mov_b32 s2, 0x3fb8aa3b
	v_mul_f32_e32 v4, 0x3fb8aa3b, v3
	v_fma_f32 v6, v3, s2, -v4
	v_rndne_f32_e32 v7, v4
	v_fmac_f32_e32 v6, 0x32a5705f, v3
	v_sub_f32_e32 v4, v4, v7
	v_add_f32_e32 v4, v4, v6
	v_exp_f32_e32 v4, v4
	v_cvt_i32_f32_e32 v6, v7
	s_mov_b32 s2, 0xc2ce8ed0
	v_cmp_ngt_f32_e32 vcc, s2, v3
	s_mov_b32 s2, 0x42b17218
	v_ldexp_f32 v4, v4, v6
	v_cndmask_b32_e32 v4, 0, v4, vcc
	v_mov_b32_e32 v6, 0x7f800000
	v_cmp_nlt_f32_e32 vcc, s2, v3
	v_cndmask_b32_e32 v3, v6, v4, vcc
	v_add_f32_e32 v3, 1.0, v3
	v_div_scale_f32 v4, s[2:3], v3, v3, v2
	v_div_scale_f32 v6, vcc, v2, v3, v2
	s_mov_b64 s[2:3], 0
	v_rcp_f32_e32 v7, v4
	v_fma_f32 v8, -v4, v7, 1.0
	v_fmac_f32_e32 v7, v8, v7
	v_mul_f32_e32 v8, v6, v7
	v_fma_f32 v9, -v4, v8, v6
	v_fmac_f32_e32 v8, v9, v7
	v_fma_f32 v4, -v4, v8, v6
	v_div_fmas_f32 v4, v4, v7, v8
	v_max_f32_e32 v6, v0, v0
	v_min_f32_e32 v6, 0x40e00000, v6
	v_max_f32_e32 v6, 0xc0e00000, v6
	v_add_f32_e32 v6, 1.0, v6
	v_div_fixup_f32 v2, v4, v3, v2
	v_mul_f32_e32 v2, v6, v2
	s_branch .LBB49_46
.LBB49_43:
                                        ; implicit-def: $vgpr2
	s_mov_b64 s[2:3], 0
	s_cbranch_execnz .LBB49_50
	s_branch .LBB49_51
.LBB49_44:
	s_mov_b64 s[6:7], -1
	s_mov_b64 s[2:3], 0
                                        ; implicit-def: $vgpr2
	s_branch .LBB49_47
.LBB49_45:
	s_mov_b64 s[2:3], -1
                                        ; implicit-def: $vgpr2
.LBB49_46:
	s_mov_b64 s[6:7], 0
.LBB49_47:
	s_and_b64 vcc, exec, s[6:7]
	s_cbranch_vccz .LBB49_49
; %bb.48:
	v_mul_f32_e32 v2, 0xbfb8aa3b, v1
	s_mov_b32 s6, 0xbfb8aa3b
	v_rndne_f32_e32 v3, v2
	v_sub_f32_e32 v4, v2, v3
	v_fma_f32 v2, v1, s6, -v2
	v_fmac_f32_e32 v2, 0xb2a5705f, v1
	v_add_f32_e32 v2, v4, v2
	v_exp_f32_e32 v2, v2
	v_cvt_i32_f32_e32 v3, v3
	s_mov_b32 s6, 0x42ce8ed0
	v_cmp_nlt_f32_e32 vcc, s6, v1
	s_mov_b32 s6, 0xc2b17218
	v_ldexp_f32 v2, v2, v3
	v_cndmask_b32_e32 v2, 0, v2, vcc
	v_mov_b32_e32 v3, 0x7f800000
	v_cmp_ngt_f32_e32 vcc, s6, v1
	v_cndmask_b32_e32 v2, v3, v2, vcc
	v_add_f32_e32 v2, 1.0, v2
	v_div_scale_f32 v3, s[6:7], v2, v2, v1
	v_div_scale_f32 v4, vcc, v1, v2, v1
	v_rcp_f32_e32 v6, v3
	v_fma_f32 v7, -v3, v6, 1.0
	v_fmac_f32_e32 v6, v7, v6
	v_mul_f32_e32 v7, v4, v6
	v_fma_f32 v8, -v3, v7, v4
	v_fmac_f32_e32 v7, v8, v6
	v_fma_f32 v3, -v3, v7, v4
	v_div_fmas_f32 v3, v3, v6, v7
	v_div_fixup_f32 v2, v3, v2, v1
	v_mul_f32_e32 v2, v0, v2
.LBB49_49:
	s_branch .LBB49_51
.LBB49_50:
	s_cmp_lg_u32 s14, 1
	s_mov_b64 s[0:1], -1
	s_cselect_b64 s[2:3], -1, 0
.LBB49_51:
	s_andn2_b64 vcc, exec, s[2:3]
	s_cbranch_vccz .LBB49_53
; %bb.52:
	s_andn2_b64 vcc, exec, s[0:1]
	s_cbranch_vccz .LBB49_54
	s_branch .LBB49_59
.LBB49_53:
	v_mul_f32_e32 v2, v1, v0
	s_cbranch_execnz .LBB49_59
.LBB49_54:
	v_mul_f32_e32 v3, 0x3d372713, v1
	v_mul_f32_e32 v2, 0x3f4c422a, v1
	v_fma_f32 v3, v1, v3, 1.0
	v_mul_f32_e32 v2, v2, v3
	s_mov_b32 s0, 0x3f200000
	v_cmp_nlt_f32_e64 s[0:1], |v2|, s0
                                        ; implicit-def: $vgpr3
	s_and_saveexec_b64 s[2:3], s[0:1]
	s_xor_b64 s[0:1], exec, s[2:3]
	s_cbranch_execz .LBB49_56
; %bb.55:
	v_add_f32_e64 v3, |v2|, |v2|
	v_mul_f32_e32 v4, 0x3fb8aa3b, v3
	s_mov_b32 s2, 0x3fb8aa3b
	v_rndne_f32_e32 v6, v4
	v_sub_f32_e32 v7, v4, v6
	v_fma_f32 v4, v3, s2, -v4
	v_fmac_f32_e32 v4, 0x32a5705f, v3
	v_add_f32_e32 v4, v7, v4
	v_exp_f32_e32 v4, v4
	v_cvt_i32_f32_e32 v6, v6
	s_mov_b32 s2, 0xc2ce8ed0
	v_cmp_ngt_f32_e32 vcc, s2, v3
	s_mov_b32 s2, 0x42b17218
	v_ldexp_f32 v4, v4, v6
	v_cndmask_b32_e32 v4, 0, v4, vcc
	v_mov_b32_e32 v6, 0x7f800000
	v_cmp_nlt_f32_e32 vcc, s2, v3
	v_cndmask_b32_e32 v3, v6, v4, vcc
	v_add_f32_e32 v3, 1.0, v3
	v_rcp_f32_e32 v3, v3
	v_fma_f32 v3, v3, -2.0, 1.0
.LBB49_56:
	s_andn2_saveexec_b64 s[0:1], s[0:1]
	s_cbranch_execz .LBB49_58
; %bb.57:
	v_mul_f32_e32 v3, v2, v2
	v_mov_b32_e32 v4, 0x3ca908c9
	v_fmac_f32_e32 v4, 0xbbbac73d, v3
	v_mov_b32_e32 v6, 0xbd5c1c4e
	v_fmac_f32_e32 v6, v3, v4
	;; [unrolled: 2-line block ×4, first 2 shown]
	v_mul_f32_e64 v4, |v2|, v6
	v_fma_f32 v3, v3, v4, |v2|
.LBB49_58:
	s_or_b64 exec, exec, s[0:1]
	s_brev_b32 s0, -2
	v_bfi_b32 v2, s0, v3, v2
	v_mul_f32_e32 v1, 0.5, v1
	v_add_f32_e32 v2, 1.0, v2
	v_mul_f32_e32 v1, v1, v2
	v_mul_f32_e32 v2, v0, v1
.LBB49_59:
	v_mov_b32_e32 v0, v2
.LBB49_60:
	s_load_dwordx2 s[0:1], s[4:5], 0x38
	s_mul_i32 s3, s22, s34
	s_mul_i32 s2, s26, s8
	s_add_i32 s3, s3, s16
	s_add_i32 s2, s3, s2
	s_mov_b32 s3, 0
	s_lshl_b64 s[2:3], s[2:3], 2
	s_waitcnt lgkmcnt(0)
	s_add_u32 s0, s0, s2
	s_addc_u32 s1, s1, s3
	global_store_dword v5, v0, s[0:1]
.LBB49_61:
	s_endpgm
	.section	.rodata,"a",@progbits
	.p2align	6, 0x0
	.amdhsa_kernel _ZL13mul_mat_vec_qIL9ggml_type7ELi1ELb1ELb1EEvPKvS2_PKi31ggml_cuda_mm_fusion_args_devicePfj15HIP_vector_typeIjLj3EEjjjS8_jjjS8_jjjj
		.amdhsa_group_segment_fixed_size 1024
		.amdhsa_private_segment_fixed_size 0
		.amdhsa_kernarg_size 144
		.amdhsa_user_sgpr_count 6
		.amdhsa_user_sgpr_private_segment_buffer 1
		.amdhsa_user_sgpr_dispatch_ptr 0
		.amdhsa_user_sgpr_queue_ptr 0
		.amdhsa_user_sgpr_kernarg_segment_ptr 1
		.amdhsa_user_sgpr_dispatch_id 0
		.amdhsa_user_sgpr_flat_scratch_init 0
		.amdhsa_user_sgpr_private_segment_size 0
		.amdhsa_uses_dynamic_stack 0
		.amdhsa_system_sgpr_private_segment_wavefront_offset 0
		.amdhsa_system_sgpr_workgroup_id_x 1
		.amdhsa_system_sgpr_workgroup_id_y 1
		.amdhsa_system_sgpr_workgroup_id_z 1
		.amdhsa_system_sgpr_workgroup_info 0
		.amdhsa_system_vgpr_workitem_id 1
		.amdhsa_next_free_vgpr 39
		.amdhsa_next_free_sgpr 44
		.amdhsa_reserve_vcc 1
		.amdhsa_reserve_flat_scratch 0
		.amdhsa_float_round_mode_32 0
		.amdhsa_float_round_mode_16_64 0
		.amdhsa_float_denorm_mode_32 3
		.amdhsa_float_denorm_mode_16_64 3
		.amdhsa_dx10_clamp 1
		.amdhsa_ieee_mode 1
		.amdhsa_fp16_overflow 0
		.amdhsa_exception_fp_ieee_invalid_op 0
		.amdhsa_exception_fp_denorm_src 0
		.amdhsa_exception_fp_ieee_div_zero 0
		.amdhsa_exception_fp_ieee_overflow 0
		.amdhsa_exception_fp_ieee_underflow 0
		.amdhsa_exception_fp_ieee_inexact 0
		.amdhsa_exception_int_div_zero 0
	.end_amdhsa_kernel
	.section	.text._ZL13mul_mat_vec_qIL9ggml_type7ELi1ELb1ELb1EEvPKvS2_PKi31ggml_cuda_mm_fusion_args_devicePfj15HIP_vector_typeIjLj3EEjjjS8_jjjS8_jjjj,"axG",@progbits,_ZL13mul_mat_vec_qIL9ggml_type7ELi1ELb1ELb1EEvPKvS2_PKi31ggml_cuda_mm_fusion_args_devicePfj15HIP_vector_typeIjLj3EEjjjS8_jjjS8_jjjj,comdat
.Lfunc_end49:
	.size	_ZL13mul_mat_vec_qIL9ggml_type7ELi1ELb1ELb1EEvPKvS2_PKi31ggml_cuda_mm_fusion_args_devicePfj15HIP_vector_typeIjLj3EEjjjS8_jjjS8_jjjj, .Lfunc_end49-_ZL13mul_mat_vec_qIL9ggml_type7ELi1ELb1ELb1EEvPKvS2_PKi31ggml_cuda_mm_fusion_args_devicePfj15HIP_vector_typeIjLj3EEjjjS8_jjjS8_jjjj
                                        ; -- End function
	.set _ZL13mul_mat_vec_qIL9ggml_type7ELi1ELb1ELb1EEvPKvS2_PKi31ggml_cuda_mm_fusion_args_devicePfj15HIP_vector_typeIjLj3EEjjjS8_jjjS8_jjjj.num_vgpr, 39
	.set _ZL13mul_mat_vec_qIL9ggml_type7ELi1ELb1ELb1EEvPKvS2_PKi31ggml_cuda_mm_fusion_args_devicePfj15HIP_vector_typeIjLj3EEjjjS8_jjjS8_jjjj.num_agpr, 0
	.set _ZL13mul_mat_vec_qIL9ggml_type7ELi1ELb1ELb1EEvPKvS2_PKi31ggml_cuda_mm_fusion_args_devicePfj15HIP_vector_typeIjLj3EEjjjS8_jjjS8_jjjj.numbered_sgpr, 44
	.set _ZL13mul_mat_vec_qIL9ggml_type7ELi1ELb1ELb1EEvPKvS2_PKi31ggml_cuda_mm_fusion_args_devicePfj15HIP_vector_typeIjLj3EEjjjS8_jjjS8_jjjj.num_named_barrier, 0
	.set _ZL13mul_mat_vec_qIL9ggml_type7ELi1ELb1ELb1EEvPKvS2_PKi31ggml_cuda_mm_fusion_args_devicePfj15HIP_vector_typeIjLj3EEjjjS8_jjjS8_jjjj.private_seg_size, 0
	.set _ZL13mul_mat_vec_qIL9ggml_type7ELi1ELb1ELb1EEvPKvS2_PKi31ggml_cuda_mm_fusion_args_devicePfj15HIP_vector_typeIjLj3EEjjjS8_jjjS8_jjjj.uses_vcc, 1
	.set _ZL13mul_mat_vec_qIL9ggml_type7ELi1ELb1ELb1EEvPKvS2_PKi31ggml_cuda_mm_fusion_args_devicePfj15HIP_vector_typeIjLj3EEjjjS8_jjjS8_jjjj.uses_flat_scratch, 0
	.set _ZL13mul_mat_vec_qIL9ggml_type7ELi1ELb1ELb1EEvPKvS2_PKi31ggml_cuda_mm_fusion_args_devicePfj15HIP_vector_typeIjLj3EEjjjS8_jjjS8_jjjj.has_dyn_sized_stack, 0
	.set _ZL13mul_mat_vec_qIL9ggml_type7ELi1ELb1ELb1EEvPKvS2_PKi31ggml_cuda_mm_fusion_args_devicePfj15HIP_vector_typeIjLj3EEjjjS8_jjjS8_jjjj.has_recursion, 0
	.set _ZL13mul_mat_vec_qIL9ggml_type7ELi1ELb1ELb1EEvPKvS2_PKi31ggml_cuda_mm_fusion_args_devicePfj15HIP_vector_typeIjLj3EEjjjS8_jjjS8_jjjj.has_indirect_call, 0
	.section	.AMDGPU.csdata,"",@progbits
; Kernel info:
; codeLenInByte = 4104
; TotalNumSgprs: 48
; NumVgprs: 39
; ScratchSize: 0
; MemoryBound: 0
; FloatMode: 240
; IeeeMode: 1
; LDSByteSize: 1024 bytes/workgroup (compile time only)
; SGPRBlocks: 5
; VGPRBlocks: 9
; NumSGPRsForWavesPerEU: 48
; NumVGPRsForWavesPerEU: 39
; Occupancy: 6
; WaveLimiterHint : 0
; COMPUTE_PGM_RSRC2:SCRATCH_EN: 0
; COMPUTE_PGM_RSRC2:USER_SGPR: 6
; COMPUTE_PGM_RSRC2:TRAP_HANDLER: 0
; COMPUTE_PGM_RSRC2:TGID_X_EN: 1
; COMPUTE_PGM_RSRC2:TGID_Y_EN: 1
; COMPUTE_PGM_RSRC2:TGID_Z_EN: 1
; COMPUTE_PGM_RSRC2:TIDIG_COMP_CNT: 1
	.section	.text._ZL13mul_mat_vec_qIL9ggml_type7ELi1ELb0ELb1EEvPKvS2_PKi31ggml_cuda_mm_fusion_args_devicePfj15HIP_vector_typeIjLj3EEjjjS8_jjjS8_jjjj,"axG",@progbits,_ZL13mul_mat_vec_qIL9ggml_type7ELi1ELb0ELb1EEvPKvS2_PKi31ggml_cuda_mm_fusion_args_devicePfj15HIP_vector_typeIjLj3EEjjjS8_jjjS8_jjjj,comdat
	.globl	_ZL13mul_mat_vec_qIL9ggml_type7ELi1ELb0ELb1EEvPKvS2_PKi31ggml_cuda_mm_fusion_args_devicePfj15HIP_vector_typeIjLj3EEjjjS8_jjjS8_jjjj ; -- Begin function _ZL13mul_mat_vec_qIL9ggml_type7ELi1ELb0ELb1EEvPKvS2_PKi31ggml_cuda_mm_fusion_args_devicePfj15HIP_vector_typeIjLj3EEjjjS8_jjjS8_jjjj
	.p2align	8
	.type	_ZL13mul_mat_vec_qIL9ggml_type7ELi1ELb0ELb1EEvPKvS2_PKi31ggml_cuda_mm_fusion_args_devicePfj15HIP_vector_typeIjLj3EEjjjS8_jjjS8_jjjj,@function
_ZL13mul_mat_vec_qIL9ggml_type7ELi1ELb0ELb1EEvPKvS2_PKi31ggml_cuda_mm_fusion_args_devicePfj15HIP_vector_typeIjLj3EEjjjS8_jjjS8_jjjj: ; @_ZL13mul_mat_vec_qIL9ggml_type7ELi1ELb0ELb1EEvPKvS2_PKi31ggml_cuda_mm_fusion_args_devicePfj15HIP_vector_typeIjLj3EEjjjS8_jjjS8_jjjj
; %bb.0:
	s_load_dwordx2 s[0:1], s[4:5], 0x10
	s_load_dwordx4 s[16:19], s[4:5], 0x40
	s_mov_b32 s10, s7
	s_mov_b64 s[14:15], 0
	s_waitcnt lgkmcnt(0)
	s_cmp_lg_u64 s[0:1], 0
	s_cselect_b64 s[12:13], -1, 0
	s_cmp_eq_u64 s[0:1], 0
	s_cbranch_scc1 .LBB50_5
; %bb.1:
	s_mov_b32 s11, 0
	s_lshl_b64 s[2:3], s[10:11], 2
	s_add_u32 s0, s0, s2
	s_addc_u32 s1, s1, s3
	s_load_dword s21, s[0:1], 0x0
	s_nop 0
	s_load_dwordx4 s[0:3], s[4:5], 0x68
	s_load_dword s20, s[4:5], 0x50
	s_andn2_b64 vcc, exec, s[14:15]
	s_cbranch_vccnz .LBB50_3
.LBB50_2:
	s_load_dwordx2 s[14:15], s[4:5], 0x5c
	s_waitcnt lgkmcnt(0)
	s_mul_hi_u32 s7, s14, s10
	s_add_i32 s7, s10, s7
	s_lshr_b32 s21, s7, s15
.LBB50_3:
	s_load_dword s22, s[4:5], 0x78
	s_andn2_b64 vcc, exec, s[12:13]
	s_cbranch_vccnz .LBB50_6
; %bb.4:
	s_mul_hi_u32 s7, s17, s10
	s_add_i32 s7, s10, s7
	s_lshr_b32 s7, s7, s18
	s_mul_i32 s7, s7, s19
	s_sub_i32 s23, s10, s7
	s_branch .LBB50_7
.LBB50_5:
                                        ; implicit-def: $sgpr21
	s_load_dwordx4 s[0:3], s[4:5], 0x68
	s_load_dword s20, s[4:5], 0x50
	s_branch .LBB50_2
.LBB50_6:
	s_mov_b32 s23, s10
.LBB50_7:
	s_load_dwordx4 s[12:15], s[4:5], 0x80
	v_lshlrev_b32_e32 v2, 6, v1
	v_add_u16_e32 v3, v2, v0
	s_lshr_b32 s11, s16, 5
	v_lshrrev_b16_e32 v6, 1, v3
	s_lshl_b32 s9, s6, 1
	v_cmp_gt_u32_e32 vcc, s11, v6
	v_mov_b32_e32 v5, 0
	v_mov_b32_e32 v4, 0
	s_and_saveexec_b64 s[6:7], vcc
	s_cbranch_execz .LBB50_11
; %bb.8:
	s_waitcnt lgkmcnt(0)
	s_mul_hi_u32 s3, s3, s8
	s_add_i32 s3, s8, s3
	s_lshr_b32 s3, s3, s22
	s_load_dwordx4 s[16:19], s[4:5], 0x0
	s_mul_i32 s0, s21, s0
	s_mul_i32 s3, s3, s12
	s_add_i32 s12, s0, s3
	s_mul_i32 s0, s9, s20
	s_add_i32 s3, s12, s0
	s_add_i32 s0, s9, 1
	s_mul_i32 s13, s13, s8
	s_mul_i32 s20, s20, s0
	s_add_i32 s12, s12, s20
	s_mul_hi_u32 s0, s13, 36
	s_mul_i32 s13, s13, 36
	s_mul_i32 s1, s23, s1
	s_waitcnt lgkmcnt(0)
	s_add_u32 s13, s18, s13
	s_mul_hi_u32 s15, s1, 36
	s_mul_i32 s1, s1, 36
	s_addc_u32 s18, s19, s0
	v_add_u32_e32 v2, v2, v0
	v_lshlrev_b32_e32 v3, 1, v0
	s_add_u32 s0, s13, s1
	v_and_b32_e32 v5, 2, v3
	v_and_b32_e32 v3, 1, v0
	v_lshrrev_b32_e32 v2, 1, v2
	s_addc_u32 s1, s18, s15
	v_lshlrev_b32_e32 v9, 3, v3
	v_mad_u64_u32 v[2:3], s[0:1], v2, 36, s[0:1]
	v_lshlrev_b32_e32 v7, 2, v5
	v_mov_b32_e32 v4, 0
	v_or_b32_e32 v8, 4, v7
	s_mov_b64 s[0:1], 0
	v_lshlrev_b32_e32 v10, 2, v5
	v_mov_b32_e32 v5, 0
.LBB50_9:                               ; =>This Inner Loop Header: Depth=1
	v_add_u32_e32 v11, s3, v6
	v_mad_i64_i32 v[11:12], s[18:19], v11, 24, s[16:17]
	v_add_u32_e32 v13, s12, v6
	v_mad_i64_i32 v[13:14], s[18:19], v13, 24, s[16:17]
	global_load_dwordx2 v[15:16], v[11:12], off
	v_add_co_u32_e32 v11, vcc, v11, v10
	v_addc_co_u32_e32 v12, vcc, 0, v12, vcc
	v_add_co_u32_e32 v17, vcc, v13, v10
	v_addc_co_u32_e32 v18, vcc, 0, v14, vcc
	global_load_dwordx2 v[19:20], v[11:12], off offset:8
	global_load_dwordx2 v[21:22], v[13:14], off
	global_load_dwordx2 v[23:24], v[17:18], off offset:8
	v_add_u32_e32 v6, 64, v6
	s_waitcnt vmcnt(3)
	v_ashrrev_i32_e32 v11, v7, v16
	v_ashrrev_i32_e32 v12, v8, v16
	v_lshlrev_b32_e32 v14, 4, v11
	v_lshlrev_b32_e32 v16, 11, v11
	v_and_b32_e32 v14, 16, v14
	v_and_b32_e32 v16, 0x1000, v16
	v_lshrrev_b32_e32 v17, 12, v11
	s_waitcnt vmcnt(2)
	v_and_b32_e32 v13, 0xf0f0f0f, v19
	v_lshrrev_b32_e32 v18, 5, v11
	v_or3_b32 v13, v14, v13, v16
	v_lshlrev_b32_e32 v14, 2, v11
	v_and_b32_e32 v17, 16, v17
	v_and_b32_e32 v18, 0x1000, v18
	;; [unrolled: 1-line block ×3, first 2 shown]
	v_lshlrev_b32_e32 v16, 4, v12
	v_or3_b32 v14, v18, v17, v14
	v_lshlrev_b32_e32 v17, 11, v12
	v_lshlrev_b32_e32 v18, 18, v12
	v_and_b32_e32 v16, 16, v16
	v_and_b32_e32 v17, 0x1000, v17
	;; [unrolled: 1-line block ×3, first 2 shown]
	v_or3_b32 v16, v17, v16, v18
	v_lshrrev_b32_e32 v17, 12, v12
	v_lshrrev_b32_e32 v18, 5, v12
	v_lshlrev_b32_e32 v25, 2, v12
	v_and_b32_e32 v17, 16, v17
	v_and_b32_e32 v18, 0x1000, v18
	;; [unrolled: 1-line block ×3, first 2 shown]
	v_or3_b32 v17, v18, v17, v25
	v_lshlrev_b32_e32 v18, 18, v11
	v_lshlrev_b32_e32 v25, 25, v11
	v_and_b32_e32 v18, 0x100000, v18
	v_and_b32_e32 v25, 0x10000000, v25
	v_or3_b32 v18, v13, v18, v25
	global_load_dword v13, v[2:3], off
	v_lshlrev_b32_e32 v11, 9, v11
	v_and_b32_e32 v11, 0x10000000, v11
	s_waitcnt vmcnt(0)
	v_pk_mul_f16 v25, v15, v13
	v_lshrrev_b32_e32 v15, 4, v19
	v_and_b32_e32 v15, 0xf0f0f0f, v15
	v_or3_b32 v19, v14, v11, v15
	v_lshlrev_b32_e32 v14, 25, v12
	v_and_b32_e32 v11, 0xf0f0f0f, v20
	v_lshrrev_b32_e32 v15, 4, v20
	v_ashrrev_i32_e32 v20, v7, v22
	v_and_b32_e32 v14, 0x10000000, v14
	v_lshlrev_b32_e32 v12, 9, v12
	v_or3_b32 v26, v16, v14, v11
	v_lshlrev_b32_e32 v11, 4, v20
	v_lshlrev_b32_e32 v14, 11, v20
	v_pk_mul_f16 v21, v21, v13
	v_ashrrev_i32_e32 v13, v8, v22
	v_and_b32_e32 v22, 0xf0f0f0f, v23
	v_and_b32_e32 v15, 0xf0f0f0f, v15
	;; [unrolled: 1-line block ×5, first 2 shown]
	v_or3_b32 v17, v17, v12, v15
	v_lshrrev_b32_e32 v12, 12, v20
	v_lshrrev_b32_e32 v15, 5, v20
	v_or3_b32 v11, v11, v22, v14
	v_lshlrev_b32_e32 v14, 2, v20
	v_and_b32_e32 v12, 16, v12
	v_and_b32_e32 v15, 0x1000, v15
	;; [unrolled: 1-line block ×3, first 2 shown]
	v_lshlrev_b32_e32 v16, 4, v13
	v_or3_b32 v12, v15, v12, v14
	v_lshlrev_b32_e32 v14, 11, v13
	v_lshlrev_b32_e32 v15, 18, v13
	v_and_b32_e32 v16, 16, v16
	v_and_b32_e32 v14, 0x1000, v14
	;; [unrolled: 1-line block ×3, first 2 shown]
	v_or3_b32 v14, v14, v16, v15
	v_lshrrev_b32_e32 v15, 12, v13
	v_lshrrev_b32_e32 v16, 5, v13
	v_lshlrev_b32_e32 v22, 2, v13
	v_and_b32_e32 v15, 16, v15
	v_and_b32_e32 v16, 0x1000, v16
	;; [unrolled: 1-line block ×3, first 2 shown]
	v_or3_b32 v15, v16, v15, v22
	v_lshlrev_b32_e32 v16, 18, v20
	v_lshlrev_b32_e32 v22, 25, v20
	v_and_b32_e32 v16, 0x100000, v16
	v_and_b32_e32 v22, 0x10000000, v22
	v_or3_b32 v22, v11, v16, v22
	v_lshrrev_b32_e32 v11, 4, v23
	v_lshlrev_b32_e32 v16, 9, v20
	v_and_b32_e32 v11, 0xf0f0f0f, v11
	v_and_b32_e32 v16, 0x10000000, v16
	v_or3_b32 v20, v12, v16, v11
	v_lshlrev_b32_e32 v12, 25, v13
	v_and_b32_e32 v11, 0xf0f0f0f, v24
	v_and_b32_e32 v12, 0x10000000, v12
	v_or3_b32 v23, v14, v12, v11
	v_add_co_u32_e32 v11, vcc, v2, v9
	v_lshrrev_b32_e32 v14, 4, v24
	v_lshlrev_b32_e32 v13, 9, v13
	v_addc_co_u32_e32 v12, vcc, 0, v3, vcc
	v_and_b32_e32 v14, 0xf0f0f0f, v14
	v_and_b32_e32 v13, 0x10000000, v13
	v_or3_b32 v24, v15, v13, v14
	global_load_dwordx2 v[13:14], v[11:12], off offset:4
	global_load_dwordx2 v[15:16], v[11:12], off offset:20
	v_cvt_f32_f16_sdwa v11, v25 dst_sel:DWORD dst_unused:UNUSED_PAD src0_sel:WORD_1
	v_add_co_u32_e32 v2, vcc, 0x900, v2
	v_addc_co_u32_e32 v3, vcc, 0, v3, vcc
	v_mul_f32_e32 v11, 0.5, v11
	v_cmp_le_u32_e32 vcc, s11, v6
	s_or_b64 s[0:1], vcc, s[0:1]
	s_waitcnt vmcnt(1)
	v_dot4_i32_i8 v12, v18, v13, 0
	s_waitcnt vmcnt(0)
	v_dot4_i32_i8 v12, v19, v15, v12
	v_dot4_i32_i8 v13, v22, v13, 0
	;; [unrolled: 1-line block ×6, first 2 shown]
	v_cvt_f32_f16_sdwa v18, v21 dst_sel:DWORD dst_unused:UNUSED_PAD src0_sel:WORD_1
	v_cvt_f32_i32_e32 v12, v12
	v_dot4_i32_i8 v13, v24, v16, v13
	v_cvt_f32_i32_e32 v13, v13
	v_mul_f32_e32 v14, 0.5, v18
	v_fma_mix_f32 v11, v12, v25, v11 op_sel_hi:[0,1,0]
	v_add_f32_e32 v4, v4, v11
	v_fma_mix_f32 v11, v13, v21, v14 op_sel_hi:[0,1,0]
	v_add_f32_e32 v5, v5, v11
	s_andn2_b64 exec, exec, s[0:1]
	s_cbranch_execnz .LBB50_9
; %bb.10:
	s_or_b64 exec, exec, s[0:1]
.LBB50_11:
	s_or_b64 exec, exec, s[6:7]
	v_cmp_eq_u32_e32 vcc, 0, v1
	s_waitcnt lgkmcnt(0)
	v_cmp_ne_u32_e64 s[0:1], 0, v1
	v_lshlrev_b32_e32 v2, 2, v0
	s_and_saveexec_b64 s[6:7], s[0:1]
; %bb.12:
	v_lshl_or_b32 v1, v1, 9, v2
	v_add_u32_e32 v1, 0xfffffe00, v1
	ds_write2st64_b32 v1, v4, v5 offset1:1
; %bb.13:
	s_or_b64 exec, exec, s[6:7]
	s_waitcnt lgkmcnt(0)
	s_barrier
	s_and_saveexec_b64 s[0:1], vcc
	s_cbranch_execz .LBB50_16
; %bb.14:
	v_mbcnt_lo_u32_b32 v1, -1, 0
	v_mbcnt_hi_u32_b32 v1, -1, v1
	v_and_b32_e32 v3, 64, v1
	v_add_u32_e32 v3, 64, v3
	v_xor_b32_e32 v6, 32, v1
	v_cmp_lt_i32_e32 vcc, v6, v3
	v_cndmask_b32_e32 v6, v1, v6, vcc
	v_lshlrev_b32_e32 v8, 2, v6
	v_xor_b32_e32 v6, 16, v1
	v_cmp_lt_i32_e32 vcc, v6, v3
	v_cndmask_b32_e32 v6, v1, v6, vcc
	v_lshlrev_b32_e32 v9, 2, v6
	ds_read2st64_b32 v[6:7], v2 offset1:1
	v_xor_b32_e32 v10, 8, v1
	v_cmp_lt_i32_e32 vcc, v10, v3
	v_cndmask_b32_e32 v10, v1, v10, vcc
	v_lshlrev_b32_e32 v10, 2, v10
	s_waitcnt lgkmcnt(0)
	v_add_f32_e32 v4, v4, v6
	v_add_f32_e32 v5, v5, v7
	ds_bpermute_b32 v6, v8, v4
	ds_bpermute_b32 v7, v8, v5
	v_xor_b32_e32 v11, 4, v1
	v_cmp_lt_i32_e32 vcc, v11, v3
	v_cndmask_b32_e32 v8, v1, v11, vcc
	s_waitcnt lgkmcnt(1)
	v_add_f32_e32 v4, v4, v6
	s_waitcnt lgkmcnt(0)
	v_add_f32_e32 v5, v5, v7
	ds_bpermute_b32 v6, v9, v4
	ds_bpermute_b32 v7, v9, v5
	v_lshlrev_b32_e32 v8, 2, v8
	v_xor_b32_e32 v9, 2, v1
	v_cmp_lt_i32_e32 vcc, v9, v3
	s_waitcnt lgkmcnt(1)
	v_add_f32_e32 v4, v4, v6
	s_waitcnt lgkmcnt(0)
	v_add_f32_e32 v5, v5, v7
	ds_bpermute_b32 v6, v10, v4
	ds_bpermute_b32 v7, v10, v5
	v_cndmask_b32_e32 v9, v1, v9, vcc
	s_load_dword s0, s[4:5], 0x58
	s_mov_b32 s3, 0
	s_waitcnt lgkmcnt(0)
	v_add_f32_e32 v4, v4, v6
	v_add_f32_e32 v5, v5, v7
	ds_bpermute_b32 v6, v8, v4
	ds_bpermute_b32 v7, v8, v5
	v_lshlrev_b32_e32 v8, 2, v9
	v_xor_b32_e32 v9, 1, v1
	v_cmp_lt_i32_e32 vcc, v9, v3
	s_waitcnt lgkmcnt(1)
	v_add_f32_e32 v4, v4, v6
	s_waitcnt lgkmcnt(0)
	v_add_f32_e32 v5, v5, v7
	ds_bpermute_b32 v6, v8, v4
	ds_bpermute_b32 v7, v8, v5
	v_cndmask_b32_e32 v1, v1, v9, vcc
	v_lshlrev_b32_e32 v8, 2, v1
	s_waitcnt lgkmcnt(1)
	v_add_f32_e32 v1, v4, v6
	s_waitcnt lgkmcnt(0)
	v_add_f32_e32 v4, v5, v7
	ds_bpermute_b32 v3, v8, v1
	ds_bpermute_b32 v5, v8, v4
	v_or_b32_e32 v6, s9, v0
	v_cmp_gt_u32_e32 vcc, s0, v6
	v_cmp_gt_u32_e64 s[0:1], 2, v0
	s_and_b64 s[0:1], s[0:1], vcc
	s_and_b64 exec, exec, s[0:1]
	s_cbranch_execz .LBB50_16
; %bb.15:
	s_load_dwordx2 s[0:1], s[4:5], 0x38
	s_mul_i32 s2, s2, s10
	s_add_i32 s2, s2, s9
	s_mul_i32 s4, s14, s8
	s_add_i32 s2, s2, s4
	s_lshl_b64 s[2:3], s[2:3], 2
	s_waitcnt lgkmcnt(0)
	s_add_u32 s0, s0, s2
	v_add_f32_e32 v4, v4, v5
	v_add_f32_e32 v1, v1, v3
	v_cmp_eq_u32_e32 vcc, 1, v0
	s_addc_u32 s1, s1, s3
	v_cndmask_b32_e32 v0, v1, v4, vcc
	global_store_dword v2, v0, s[0:1]
.LBB50_16:
	s_endpgm
	.section	.rodata,"a",@progbits
	.p2align	6, 0x0
	.amdhsa_kernel _ZL13mul_mat_vec_qIL9ggml_type7ELi1ELb0ELb1EEvPKvS2_PKi31ggml_cuda_mm_fusion_args_devicePfj15HIP_vector_typeIjLj3EEjjjS8_jjjS8_jjjj
		.amdhsa_group_segment_fixed_size 512
		.amdhsa_private_segment_fixed_size 0
		.amdhsa_kernarg_size 144
		.amdhsa_user_sgpr_count 6
		.amdhsa_user_sgpr_private_segment_buffer 1
		.amdhsa_user_sgpr_dispatch_ptr 0
		.amdhsa_user_sgpr_queue_ptr 0
		.amdhsa_user_sgpr_kernarg_segment_ptr 1
		.amdhsa_user_sgpr_dispatch_id 0
		.amdhsa_user_sgpr_flat_scratch_init 0
		.amdhsa_user_sgpr_private_segment_size 0
		.amdhsa_uses_dynamic_stack 0
		.amdhsa_system_sgpr_private_segment_wavefront_offset 0
		.amdhsa_system_sgpr_workgroup_id_x 1
		.amdhsa_system_sgpr_workgroup_id_y 1
		.amdhsa_system_sgpr_workgroup_id_z 1
		.amdhsa_system_sgpr_workgroup_info 0
		.amdhsa_system_vgpr_workitem_id 1
		.amdhsa_next_free_vgpr 27
		.amdhsa_next_free_sgpr 24
		.amdhsa_reserve_vcc 1
		.amdhsa_reserve_flat_scratch 0
		.amdhsa_float_round_mode_32 0
		.amdhsa_float_round_mode_16_64 0
		.amdhsa_float_denorm_mode_32 3
		.amdhsa_float_denorm_mode_16_64 3
		.amdhsa_dx10_clamp 1
		.amdhsa_ieee_mode 1
		.amdhsa_fp16_overflow 0
		.amdhsa_exception_fp_ieee_invalid_op 0
		.amdhsa_exception_fp_denorm_src 0
		.amdhsa_exception_fp_ieee_div_zero 0
		.amdhsa_exception_fp_ieee_overflow 0
		.amdhsa_exception_fp_ieee_underflow 0
		.amdhsa_exception_fp_ieee_inexact 0
		.amdhsa_exception_int_div_zero 0
	.end_amdhsa_kernel
	.section	.text._ZL13mul_mat_vec_qIL9ggml_type7ELi1ELb0ELb1EEvPKvS2_PKi31ggml_cuda_mm_fusion_args_devicePfj15HIP_vector_typeIjLj3EEjjjS8_jjjS8_jjjj,"axG",@progbits,_ZL13mul_mat_vec_qIL9ggml_type7ELi1ELb0ELb1EEvPKvS2_PKi31ggml_cuda_mm_fusion_args_devicePfj15HIP_vector_typeIjLj3EEjjjS8_jjjS8_jjjj,comdat
.Lfunc_end50:
	.size	_ZL13mul_mat_vec_qIL9ggml_type7ELi1ELb0ELb1EEvPKvS2_PKi31ggml_cuda_mm_fusion_args_devicePfj15HIP_vector_typeIjLj3EEjjjS8_jjjS8_jjjj, .Lfunc_end50-_ZL13mul_mat_vec_qIL9ggml_type7ELi1ELb0ELb1EEvPKvS2_PKi31ggml_cuda_mm_fusion_args_devicePfj15HIP_vector_typeIjLj3EEjjjS8_jjjS8_jjjj
                                        ; -- End function
	.set _ZL13mul_mat_vec_qIL9ggml_type7ELi1ELb0ELb1EEvPKvS2_PKi31ggml_cuda_mm_fusion_args_devicePfj15HIP_vector_typeIjLj3EEjjjS8_jjjS8_jjjj.num_vgpr, 27
	.set _ZL13mul_mat_vec_qIL9ggml_type7ELi1ELb0ELb1EEvPKvS2_PKi31ggml_cuda_mm_fusion_args_devicePfj15HIP_vector_typeIjLj3EEjjjS8_jjjS8_jjjj.num_agpr, 0
	.set _ZL13mul_mat_vec_qIL9ggml_type7ELi1ELb0ELb1EEvPKvS2_PKi31ggml_cuda_mm_fusion_args_devicePfj15HIP_vector_typeIjLj3EEjjjS8_jjjS8_jjjj.numbered_sgpr, 24
	.set _ZL13mul_mat_vec_qIL9ggml_type7ELi1ELb0ELb1EEvPKvS2_PKi31ggml_cuda_mm_fusion_args_devicePfj15HIP_vector_typeIjLj3EEjjjS8_jjjS8_jjjj.num_named_barrier, 0
	.set _ZL13mul_mat_vec_qIL9ggml_type7ELi1ELb0ELb1EEvPKvS2_PKi31ggml_cuda_mm_fusion_args_devicePfj15HIP_vector_typeIjLj3EEjjjS8_jjjS8_jjjj.private_seg_size, 0
	.set _ZL13mul_mat_vec_qIL9ggml_type7ELi1ELb0ELb1EEvPKvS2_PKi31ggml_cuda_mm_fusion_args_devicePfj15HIP_vector_typeIjLj3EEjjjS8_jjjS8_jjjj.uses_vcc, 1
	.set _ZL13mul_mat_vec_qIL9ggml_type7ELi1ELb0ELb1EEvPKvS2_PKi31ggml_cuda_mm_fusion_args_devicePfj15HIP_vector_typeIjLj3EEjjjS8_jjjS8_jjjj.uses_flat_scratch, 0
	.set _ZL13mul_mat_vec_qIL9ggml_type7ELi1ELb0ELb1EEvPKvS2_PKi31ggml_cuda_mm_fusion_args_devicePfj15HIP_vector_typeIjLj3EEjjjS8_jjjS8_jjjj.has_dyn_sized_stack, 0
	.set _ZL13mul_mat_vec_qIL9ggml_type7ELi1ELb0ELb1EEvPKvS2_PKi31ggml_cuda_mm_fusion_args_devicePfj15HIP_vector_typeIjLj3EEjjjS8_jjjS8_jjjj.has_recursion, 0
	.set _ZL13mul_mat_vec_qIL9ggml_type7ELi1ELb0ELb1EEvPKvS2_PKi31ggml_cuda_mm_fusion_args_devicePfj15HIP_vector_typeIjLj3EEjjjS8_jjjS8_jjjj.has_indirect_call, 0
	.section	.AMDGPU.csdata,"",@progbits
; Kernel info:
; codeLenInByte = 1752
; TotalNumSgprs: 28
; NumVgprs: 27
; ScratchSize: 0
; MemoryBound: 0
; FloatMode: 240
; IeeeMode: 1
; LDSByteSize: 512 bytes/workgroup (compile time only)
; SGPRBlocks: 3
; VGPRBlocks: 6
; NumSGPRsForWavesPerEU: 28
; NumVGPRsForWavesPerEU: 27
; Occupancy: 9
; WaveLimiterHint : 0
; COMPUTE_PGM_RSRC2:SCRATCH_EN: 0
; COMPUTE_PGM_RSRC2:USER_SGPR: 6
; COMPUTE_PGM_RSRC2:TRAP_HANDLER: 0
; COMPUTE_PGM_RSRC2:TGID_X_EN: 1
; COMPUTE_PGM_RSRC2:TGID_Y_EN: 1
; COMPUTE_PGM_RSRC2:TGID_Z_EN: 1
; COMPUTE_PGM_RSRC2:TIDIG_COMP_CNT: 1
	.section	.text._ZL13mul_mat_vec_qIL9ggml_type7ELi1ELb1ELb0EEvPKvS2_PKi31ggml_cuda_mm_fusion_args_devicePfj15HIP_vector_typeIjLj3EEjjjS8_jjjS8_jjjj,"axG",@progbits,_ZL13mul_mat_vec_qIL9ggml_type7ELi1ELb1ELb0EEvPKvS2_PKi31ggml_cuda_mm_fusion_args_devicePfj15HIP_vector_typeIjLj3EEjjjS8_jjjS8_jjjj,comdat
	.globl	_ZL13mul_mat_vec_qIL9ggml_type7ELi1ELb1ELb0EEvPKvS2_PKi31ggml_cuda_mm_fusion_args_devicePfj15HIP_vector_typeIjLj3EEjjjS8_jjjS8_jjjj ; -- Begin function _ZL13mul_mat_vec_qIL9ggml_type7ELi1ELb1ELb0EEvPKvS2_PKi31ggml_cuda_mm_fusion_args_devicePfj15HIP_vector_typeIjLj3EEjjjS8_jjjS8_jjjj
	.p2align	8
	.type	_ZL13mul_mat_vec_qIL9ggml_type7ELi1ELb1ELb0EEvPKvS2_PKi31ggml_cuda_mm_fusion_args_devicePfj15HIP_vector_typeIjLj3EEjjjS8_jjjS8_jjjj,@function
_ZL13mul_mat_vec_qIL9ggml_type7ELi1ELb1ELb0EEvPKvS2_PKi31ggml_cuda_mm_fusion_args_devicePfj15HIP_vector_typeIjLj3EEjjjS8_jjjS8_jjjj: ; @_ZL13mul_mat_vec_qIL9ggml_type7ELi1ELb1ELb0EEvPKvS2_PKi31ggml_cuda_mm_fusion_args_devicePfj15HIP_vector_typeIjLj3EEjjjS8_jjjS8_jjjj
; %bb.0:
	s_load_dwordx8 s[16:23], s[4:5], 0x0
	s_load_dwordx4 s[36:39], s[4:5], 0x20
	s_load_dwordx4 s[12:15], s[4:5], 0x40
	;; [unrolled: 1-line block ×3, first 2 shown]
	s_mov_b32 s34, s7
	s_waitcnt lgkmcnt(0)
	s_cmp_lg_u64 s[20:21], 0
	s_cselect_b64 s[0:1], -1, 0
	s_cmp_eq_u64 s[20:21], 0
	s_mov_b64 s[2:3], 0
	s_cbranch_scc1 .LBB51_5
; %bb.1:
	s_mov_b32 s35, 0
	s_lshl_b64 s[10:11], s[34:35], 2
	s_add_u32 s10, s20, s10
	s_addc_u32 s11, s21, s11
	s_load_dword s9, s[10:11], 0x0
	s_load_dword s33, s[4:5], 0x50
	;; [unrolled: 1-line block ×3, first 2 shown]
	s_andn2_b64 vcc, exec, s[2:3]
	s_cbranch_vccnz .LBB51_3
.LBB51_2:
	s_load_dwordx2 s[2:3], s[4:5], 0x5c
	s_waitcnt lgkmcnt(0)
	s_mul_hi_u32 s2, s2, s34
	s_add_i32 s2, s34, s2
	s_lshr_b32 s9, s2, s3
.LBB51_3:
	s_andn2_b64 vcc, exec, s[0:1]
	s_cbranch_vccnz .LBB51_6
; %bb.4:
	s_mul_hi_u32 s0, s13, s34
	s_add_i32 s0, s34, s0
	s_lshr_b32 s0, s0, s14
	s_mul_i32 s0, s0, s15
	s_sub_i32 s40, s34, s0
	s_waitcnt lgkmcnt(0)
	s_mov_b32 s2, s9
	s_branch .LBB51_7
.LBB51_5:
                                        ; implicit-def: $sgpr9
	s_load_dword s33, s[4:5], 0x50
	s_load_dword s35, s[4:5], 0x78
	s_branch .LBB51_2
.LBB51_6:
	s_mov_b32 s2, s34
	s_mov_b32 s40, s34
.LBB51_7:
	s_load_dwordx4 s[28:31], s[4:5], 0x80
	s_cmp_lg_u64 s[22:23], 0
	v_or_b32_e32 v2, v0, v1
	s_cselect_b64 s[0:1], -1, 0
	v_cmp_eq_u32_e32 vcc, 0, v2
	s_mov_b32 s15, 0
	s_and_b64 s[20:21], s[0:1], vcc
	v_mov_b32_e32 v13, 0
	s_mul_i32 s10, s2, s26
	v_lshlrev_b32_e32 v12, 2, v0
	v_mov_b32_e32 v14, 0
	s_and_saveexec_b64 s[2:3], s[20:21]
	s_cbranch_execz .LBB51_9
; %bb.8:
	s_waitcnt lgkmcnt(0)
	s_mul_i32 s14, s30, s8
	s_lshl_b64 s[20:21], s[14:15], 2
	s_add_u32 s7, s22, s20
	s_mov_b32 s11, s15
	s_addc_u32 s13, s23, s21
	s_lshl_b64 s[14:15], s[10:11], 2
	s_add_u32 s11, s7, s14
	s_addc_u32 s13, s13, s15
	s_ashr_i32 s7, s6, 31
	s_lshl_b64 s[14:15], s[6:7], 2
	s_add_u32 s14, s11, s14
	s_addc_u32 s15, s13, s15
	global_load_dword v14, v12, s[14:15]
.LBB51_9:
	s_or_b64 exec, exec, s[2:3]
	s_cmp_lg_u64 s[36:37], 0
	s_cselect_b64 s[14:15], -1, 0
	s_cmp_lg_u64 s[38:39], 0
	s_cselect_b64 s[2:3], -1, 0
	s_and_b64 s[20:21], s[2:3], s[14:15]
	s_and_b64 s[22:23], s[20:21], vcc
	s_and_saveexec_b64 s[20:21], s[22:23]
	s_cbranch_execz .LBB51_11
; %bb.10:
	s_waitcnt lgkmcnt(0)
	s_mul_i32 s22, s30, s8
	s_mov_b32 s23, 0
	s_lshl_b64 s[42:43], s[22:23], 2
	s_add_u32 s7, s38, s42
	s_mov_b32 s11, s23
	s_addc_u32 s13, s39, s43
	s_lshl_b64 s[10:11], s[10:11], 2
	s_add_u32 s22, s7, s10
	s_addc_u32 s13, s13, s11
	s_ashr_i32 s7, s6, 31
	s_lshl_b64 s[10:11], s[6:7], 2
	s_add_u32 s10, s22, s10
	s_addc_u32 s11, s13, s11
	global_load_dword v13, v12, s[10:11]
.LBB51_11:
	s_or_b64 exec, exec, s[20:21]
	v_lshlrev_b32_e32 v2, 6, v1
	v_add_u16_e32 v3, v2, v0
	s_lshr_b32 s7, s12, 5
	v_lshrrev_b16_e32 v17, 1, v3
	v_cndmask_b32_e64 v3, 0, 1, s[14:15]
	v_cmp_gt_u32_e32 vcc, s7, v17
	v_mov_b32_e32 v16, 0
	v_cmp_ne_u32_e64 s[12:13], 1, v3
	v_mov_b32_e32 v15, 0
	s_and_saveexec_b64 s[20:21], vcc
	s_cbranch_execz .LBB51_17
; %bb.12:
	s_mul_hi_u32 s22, s27, s8
	s_add_i32 s22, s8, s22
	s_waitcnt lgkmcnt(0)
	s_lshr_b32 s22, s22, s35
	s_mul_i32 s33, s33, s6
	s_mul_i32 s22, s22, s28
	;; [unrolled: 1-line block ×4, first 2 shown]
	s_add_i32 s22, s22, s33
	s_add_i32 s9, s9, s22
	s_mul_hi_u32 s23, s10, 36
	s_mul_i32 s10, s10, 36
	s_mul_i32 s11, s40, s25
	s_add_u32 s10, s18, s10
	s_mul_hi_u32 s22, s11, 36
	s_mul_i32 s11, s11, 36
	s_addc_u32 s18, s19, s23
	v_add_u32_e32 v2, v2, v0
	v_lshlrev_b32_e32 v3, 1, v0
	s_add_u32 s10, s10, s11
	v_and_b32_e32 v4, 2, v3
	v_and_b32_e32 v3, 1, v0
	v_lshrrev_b32_e32 v2, 1, v2
	s_addc_u32 s11, s18, s22
	v_lshlrev_b32_e32 v20, 3, v3
	v_mad_u64_u32 v[2:3], s[10:11], v2, 36, s[10:11]
	v_lshlrev_b32_e32 v18, 2, v4
	v_mov_b32_e32 v16, 0
	v_or_b32_e32 v19, 4, v18
	s_mov_b64 s[18:19], 0
	v_lshlrev_b32_e32 v21, 2, v4
	v_mov_b32_e32 v15, 0
	s_branch .LBB51_14
.LBB51_13:                              ;   in Loop: Header=BB51_14 Depth=1
	s_waitcnt vmcnt(4)
	v_ashrrev_i32_e32 v23, v18, v5
	v_lshlrev_b32_e32 v25, 4, v23
	v_lshlrev_b32_e32 v26, 11, v23
	s_waitcnt vmcnt(3)
	v_and_b32_e32 v24, 0xf0f0f0f, v8
	v_and_b32_e32 v25, 16, v25
	;; [unrolled: 1-line block ×3, first 2 shown]
	v_or3_b32 v24, v25, v24, v26
	v_lshlrev_b32_e32 v25, 18, v23
	v_lshlrev_b32_e32 v26, 25, v23
	v_and_b32_e32 v25, 0x100000, v25
	v_and_b32_e32 v26, 0x10000000, v26
	v_or3_b32 v24, v24, v25, v26
	s_waitcnt vmcnt(2)
	v_dot4_i32_i8 v10, v24, v10, 0
	v_lshrrev_b32_e32 v24, 12, v23
	v_lshrrev_b32_e32 v25, 5, v23
	v_lshlrev_b32_e32 v26, 2, v23
	v_lshrrev_b32_e32 v8, 4, v8
	v_and_b32_e32 v24, 16, v24
	v_and_b32_e32 v25, 0x1000, v25
	v_and_b32_e32 v26, 0x100000, v26
	v_lshlrev_b32_e32 v23, 9, v23
	v_and_b32_e32 v8, 0xf0f0f0f, v8
	v_and_b32_e32 v23, 0x10000000, v23
	v_or3_b32 v24, v25, v24, v26
	v_ashrrev_i32_e32 v5, v19, v5
	v_or3_b32 v8, v24, v23, v8
	s_waitcnt vmcnt(1)
	v_dot4_i32_i8 v6, v8, v6, v10
	v_lshlrev_b32_e32 v10, 4, v5
	v_lshlrev_b32_e32 v23, 11, v5
	;; [unrolled: 1-line block ×3, first 2 shown]
	v_and_b32_e32 v10, 16, v10
	v_and_b32_e32 v23, 0x1000, v23
	;; [unrolled: 1-line block ×3, first 2 shown]
	v_lshlrev_b32_e32 v25, 25, v5
	v_and_b32_e32 v8, 0xf0f0f0f, v9
	v_and_b32_e32 v25, 0x10000000, v25
	v_or3_b32 v10, v23, v10, v24
	v_or3_b32 v8, v10, v25, v8
	v_dot4_i32_i8 v6, v8, v11, v6
	v_lshrrev_b32_e32 v8, 4, v9
	v_lshrrev_b32_e32 v9, 12, v5
	;; [unrolled: 1-line block ×3, first 2 shown]
	v_lshlrev_b32_e32 v11, 2, v5
	v_and_b32_e32 v9, 16, v9
	v_and_b32_e32 v10, 0x1000, v10
	;; [unrolled: 1-line block ×3, first 2 shown]
	v_lshlrev_b32_e32 v5, 9, v5
	v_and_b32_e32 v8, 0xf0f0f0f, v8
	v_and_b32_e32 v5, 0x10000000, v5
	v_or3_b32 v9, v10, v9, v11
	v_or3_b32 v5, v9, v5, v8
	s_waitcnt vmcnt(0)
	v_pk_mul_f16 v4, v4, v22
	v_dot4_i32_i8 v5, v5, v7, v6
	v_cvt_f32_f16_sdwa v6, v4 dst_sel:DWORD dst_unused:UNUSED_PAD src0_sel:WORD_1
	v_cvt_f32_i32_e32 v5, v5
	v_add_u32_e32 v17, 64, v17
	v_add_co_u32_e32 v2, vcc, 0x900, v2
	v_mul_f32_e32 v6, 0.5, v6
	v_fma_mix_f32 v4, v5, v4, v6 op_sel_hi:[0,1,0]
	v_cmp_le_u32_e64 s[10:11], s7, v17
	v_add_f32_e32 v16, v16, v4
	s_or_b64 s[18:19], s[10:11], s[18:19]
	v_addc_co_u32_e32 v3, vcc, 0, v3, vcc
	s_andn2_b64 exec, exec, s[18:19]
	s_cbranch_execz .LBB51_16
.LBB51_14:                              ; =>This Inner Loop Header: Depth=1
	v_add_u32_e32 v23, s9, v17
	v_mad_i64_i32 v[6:7], s[10:11], v23, 24, s[16:17]
	v_add_co_u32_e32 v10, vcc, v6, v21
	v_addc_co_u32_e32 v11, vcc, 0, v7, vcc
	v_add_co_u32_e32 v24, vcc, v2, v20
	v_addc_co_u32_e32 v25, vcc, 0, v3, vcc
	global_load_dwordx2 v[4:5], v[6:7], off
	global_load_dwordx2 v[8:9], v[10:11], off offset:8
	s_nop 0
	global_load_dwordx2 v[10:11], v[24:25], off offset:4
	global_load_dwordx2 v[6:7], v[24:25], off offset:20
	global_load_dword v22, v[2:3], off
	s_and_b64 vcc, exec, s[12:13]
	s_cbranch_vccnz .LBB51_13
; %bb.15:                               ;   in Loop: Header=BB51_14 Depth=1
	v_mad_i64_i32 v[23:24], s[10:11], v23, 24, s[36:37]
	global_load_dwordx2 v[25:26], v[23:24], off
	v_add_co_u32_e32 v23, vcc, v23, v21
	v_addc_co_u32_e32 v24, vcc, 0, v24, vcc
	global_load_dwordx2 v[23:24], v[23:24], off offset:8
	s_waitcnt vmcnt(1)
	v_ashrrev_i32_e32 v27, v18, v26
	v_lshlrev_b32_e32 v28, 4, v27
	v_lshlrev_b32_e32 v29, 11, v27
	v_ashrrev_i32_e32 v26, v19, v26
	v_lshrrev_b32_e32 v31, 12, v27
	v_lshrrev_b32_e32 v32, 5, v27
	v_lshlrev_b32_e32 v33, 2, v27
	s_waitcnt vmcnt(0)
	v_and_b32_e32 v34, 0xf0f0f0f, v23
	v_and_b32_e32 v28, 16, v28
	;; [unrolled: 1-line block ×3, first 2 shown]
	v_or3_b32 v28, v28, v34, v29
	v_lshlrev_b32_e32 v29, 4, v26
	v_lshlrev_b32_e32 v34, 11, v26
	v_and_b32_e32 v31, 16, v31
	v_and_b32_e32 v32, 0x1000, v32
	;; [unrolled: 1-line block ×3, first 2 shown]
	v_or3_b32 v31, v32, v31, v33
	v_and_b32_e32 v33, 0xf0f0f0f, v24
	v_and_b32_e32 v29, 16, v29
	;; [unrolled: 1-line block ×3, first 2 shown]
	v_lshrrev_b32_e32 v32, 12, v26
	v_or3_b32 v29, v29, v33, v34
	v_lshrrev_b32_e32 v33, 5, v26
	v_lshlrev_b32_e32 v34, 2, v26
	v_and_b32_e32 v32, 16, v32
	v_and_b32_e32 v33, 0x1000, v33
	;; [unrolled: 1-line block ×3, first 2 shown]
	v_lshlrev_b32_e32 v30, 18, v27
	v_or3_b32 v32, v33, v32, v34
	v_lshlrev_b32_e32 v33, 25, v27
	v_and_b32_e32 v30, 0x100000, v30
	v_and_b32_e32 v33, 0x10000000, v33
	v_lshlrev_b32_e32 v27, 9, v27
	v_lshlrev_b32_e32 v34, 18, v26
	v_or3_b32 v28, v28, v30, v33
	v_lshlrev_b32_e32 v30, 25, v26
	v_lshlrev_b32_e32 v26, 9, v26
	v_lshrrev_b32_e32 v23, 4, v23
	v_lshrrev_b32_e32 v24, 4, v24
	v_and_b32_e32 v27, 0x10000000, v27
	v_and_b32_e32 v26, 0x10000000, v26
	;; [unrolled: 1-line block ×6, first 2 shown]
	v_or3_b32 v23, v31, v27, v23
	v_or3_b32 v24, v32, v26, v24
	v_dot4_i32_i8 v26, v28, v10, 0
	v_or3_b32 v27, v29, v33, v30
	v_dot4_i32_i8 v23, v23, v6, v26
	v_pk_mul_f16 v25, v22, v25
	v_dot4_i32_i8 v23, v27, v11, v23
	v_dot4_i32_i8 v23, v24, v7, v23
	v_cvt_f32_f16_sdwa v24, v25 dst_sel:DWORD dst_unused:UNUSED_PAD src0_sel:WORD_1
	v_cvt_f32_i32_e32 v23, v23
	v_mul_f32_e32 v24, 0.5, v24
	v_fma_mix_f32 v23, v23, v25, v24 op_sel_hi:[0,1,0]
	v_add_f32_e32 v15, v15, v23
	s_branch .LBB51_13
.LBB51_16:
	s_or_b64 exec, exec, s[18:19]
.LBB51_17:
	s_or_b64 exec, exec, s[20:21]
	s_load_dword s7, s[4:5], 0x30
	v_cmp_eq_u32_e64 s[10:11], 0, v1
	v_cmp_ne_u32_e32 vcc, 0, v1
	s_and_saveexec_b64 s[16:17], vcc
	s_cbranch_execz .LBB51_21
; %bb.18:
	s_and_b64 vcc, exec, s[14:15]
	s_cbranch_vccz .LBB51_20
; %bb.19:
	v_lshl_add_u32 v2, v1, 8, v12
	ds_write_b32 v2, v15
.LBB51_20:
	v_lshlrev_b32_e32 v1, 8, v1
	s_waitcnt lgkmcnt(0)
	s_movk_i32 s9, 0xff00
	v_add3_u32 v1, v1, v12, s9
	ds_write_b32 v1, v16
.LBB51_21:
	s_or_b64 exec, exec, s[16:17]
	s_waitcnt vmcnt(0) lgkmcnt(0)
	s_barrier
	s_and_saveexec_b64 s[14:15], s[10:11]
	s_cbranch_execz .LBB51_50
; %bb.22:
	ds_read_b32 v2, v12
	s_and_b64 vcc, exec, s[12:13]
	s_cbranch_vccnz .LBB51_24
; %bb.23:
	ds_read_b32 v1, v12 offset:256
	s_waitcnt lgkmcnt(0)
	v_add_f32_e32 v15, v15, v1
.LBB51_24:
	v_mbcnt_lo_u32_b32 v1, -1, 0
	v_mbcnt_hi_u32_b32 v3, -1, v1
	v_and_b32_e32 v1, 64, v3
	v_add_u32_e32 v4, 64, v1
	v_xor_b32_e32 v1, 32, v3
	v_cmp_lt_i32_e32 vcc, v1, v4
	v_cndmask_b32_e32 v1, v3, v1, vcc
	v_lshlrev_b32_e32 v1, 2, v1
	s_waitcnt lgkmcnt(0)
	v_add_f32_e32 v5, v16, v2
	ds_bpermute_b32 v6, v1, v5
	v_xor_b32_e32 v2, 16, v3
	v_cmp_lt_i32_e32 vcc, v2, v4
	v_cndmask_b32_e32 v2, v3, v2, vcc
	v_lshlrev_b32_e32 v2, 2, v2
	s_waitcnt lgkmcnt(0)
	v_add_f32_e32 v6, v5, v6
	ds_bpermute_b32 v7, v2, v6
	;; [unrolled: 7-line block ×6, first 2 shown]
	s_and_b64 vcc, exec, s[12:13]
	s_cbranch_vccnz .LBB51_26
; %bb.25:
	ds_bpermute_b32 v1, v1, v15
	s_waitcnt lgkmcnt(0)
	v_add_f32_e32 v1, v15, v1
	ds_bpermute_b32 v2, v2, v1
	s_waitcnt lgkmcnt(0)
	v_add_f32_e32 v1, v1, v2
	;; [unrolled: 3-line block ×6, first 2 shown]
.LBB51_26:
	v_cmp_eq_u32_e32 vcc, 0, v0
	s_and_b64 exec, exec, vcc
	s_cbranch_execz .LBB51_50
; %bb.27:
	s_waitcnt lgkmcnt(0)
	v_add_f32_e32 v0, v3, v4
	v_add_f32_e32 v1, v14, v0
	s_and_b64 vcc, exec, s[12:13]
	v_cndmask_b32_e64 v0, v0, v1, s[0:1]
	s_cbranch_vccnz .LBB51_49
; %bb.28:
	v_add_f32_e32 v1, v13, v15
	v_cndmask_b32_e64 v1, v15, v1, s[2:3]
	s_cmp_lt_i32 s7, 2
	s_mov_b64 s[0:1], 0
	s_cbranch_scc1 .LBB51_32
; %bb.29:
	s_cmp_gt_i32 s7, 2
	s_cbranch_scc0 .LBB51_33
; %bb.30:
	s_cmp_eq_u32 s7, 3
	s_cbranch_scc0 .LBB51_34
; %bb.31:
	v_max_f32_e32 v2, v1, v1
	v_min_f32_e32 v2, 0x40e00000, v2
	v_mul_f32_e32 v3, 0xbfd9db23, v2
	s_mov_b32 s2, 0x3fb8aa3b
	v_mul_f32_e32 v4, 0x3fb8aa3b, v3
	v_fma_f32 v5, v3, s2, -v4
	v_rndne_f32_e32 v6, v4
	v_fmac_f32_e32 v5, 0x32a5705f, v3
	v_sub_f32_e32 v4, v4, v6
	v_add_f32_e32 v4, v4, v5
	v_exp_f32_e32 v4, v4
	v_cvt_i32_f32_e32 v5, v6
	s_mov_b32 s2, 0xc2ce8ed0
	v_cmp_ngt_f32_e32 vcc, s2, v3
	s_mov_b32 s2, 0x42b17218
	v_ldexp_f32 v4, v4, v5
	v_cndmask_b32_e32 v4, 0, v4, vcc
	v_mov_b32_e32 v5, 0x7f800000
	v_cmp_nlt_f32_e32 vcc, s2, v3
	v_cndmask_b32_e32 v3, v5, v4, vcc
	v_add_f32_e32 v3, 1.0, v3
	v_div_scale_f32 v4, s[2:3], v3, v3, v2
	v_div_scale_f32 v5, vcc, v2, v3, v2
	s_mov_b64 s[2:3], 0
	v_rcp_f32_e32 v6, v4
	v_fma_f32 v7, -v4, v6, 1.0
	v_fmac_f32_e32 v6, v7, v6
	v_mul_f32_e32 v7, v5, v6
	v_fma_f32 v8, -v4, v7, v5
	v_fmac_f32_e32 v7, v8, v6
	v_fma_f32 v4, -v4, v7, v5
	v_div_fmas_f32 v4, v4, v6, v7
	v_max_f32_e32 v5, v0, v0
	v_min_f32_e32 v5, 0x40e00000, v5
	v_max_f32_e32 v5, 0xc0e00000, v5
	v_add_f32_e32 v5, 1.0, v5
	v_div_fixup_f32 v2, v4, v3, v2
	v_mul_f32_e32 v2, v5, v2
	s_branch .LBB51_35
.LBB51_32:
                                        ; implicit-def: $vgpr2
	s_mov_b64 s[2:3], 0
	s_cbranch_execnz .LBB51_39
	s_branch .LBB51_40
.LBB51_33:
	s_mov_b64 s[10:11], -1
	s_mov_b64 s[2:3], 0
                                        ; implicit-def: $vgpr2
	s_branch .LBB51_36
.LBB51_34:
	s_mov_b64 s[2:3], -1
                                        ; implicit-def: $vgpr2
.LBB51_35:
	s_mov_b64 s[10:11], 0
.LBB51_36:
	s_and_b64 vcc, exec, s[10:11]
	s_cbranch_vccz .LBB51_38
; %bb.37:
	v_mul_f32_e32 v2, 0xbfb8aa3b, v1
	s_mov_b32 s9, 0xbfb8aa3b
	v_rndne_f32_e32 v3, v2
	v_sub_f32_e32 v4, v2, v3
	v_fma_f32 v2, v1, s9, -v2
	v_fmac_f32_e32 v2, 0xb2a5705f, v1
	v_add_f32_e32 v2, v4, v2
	v_exp_f32_e32 v2, v2
	v_cvt_i32_f32_e32 v3, v3
	s_mov_b32 s9, 0x42ce8ed0
	v_cmp_nlt_f32_e32 vcc, s9, v1
	s_mov_b32 s9, 0xc2b17218
	v_ldexp_f32 v2, v2, v3
	v_cndmask_b32_e32 v2, 0, v2, vcc
	v_mov_b32_e32 v3, 0x7f800000
	v_cmp_ngt_f32_e32 vcc, s9, v1
	v_cndmask_b32_e32 v2, v3, v2, vcc
	v_add_f32_e32 v2, 1.0, v2
	v_div_scale_f32 v3, s[10:11], v2, v2, v1
	v_div_scale_f32 v4, vcc, v1, v2, v1
	v_rcp_f32_e32 v5, v3
	v_fma_f32 v6, -v3, v5, 1.0
	v_fmac_f32_e32 v5, v6, v5
	v_mul_f32_e32 v6, v4, v5
	v_fma_f32 v7, -v3, v6, v4
	v_fmac_f32_e32 v6, v7, v5
	v_fma_f32 v3, -v3, v6, v4
	v_div_fmas_f32 v3, v3, v5, v6
	v_div_fixup_f32 v2, v3, v2, v1
	v_mul_f32_e32 v2, v0, v2
.LBB51_38:
	s_branch .LBB51_40
.LBB51_39:
	s_cmp_lg_u32 s7, 1
	s_mov_b64 s[0:1], -1
	s_cselect_b64 s[2:3], -1, 0
.LBB51_40:
	s_andn2_b64 vcc, exec, s[2:3]
	s_cbranch_vccz .LBB51_42
; %bb.41:
	s_andn2_b64 vcc, exec, s[0:1]
	s_cbranch_vccz .LBB51_43
	s_branch .LBB51_48
.LBB51_42:
	v_mul_f32_e32 v2, v1, v0
	s_cbranch_execnz .LBB51_48
.LBB51_43:
	v_mul_f32_e32 v3, 0x3d372713, v1
	v_mul_f32_e32 v2, 0x3f4c422a, v1
	v_fma_f32 v3, v1, v3, 1.0
	v_mul_f32_e32 v2, v2, v3
	s_mov_b32 s0, 0x3f200000
	v_cmp_nlt_f32_e64 s[0:1], |v2|, s0
                                        ; implicit-def: $vgpr3
	s_and_saveexec_b64 s[2:3], s[0:1]
	s_xor_b64 s[0:1], exec, s[2:3]
	s_cbranch_execz .LBB51_45
; %bb.44:
	v_add_f32_e64 v3, |v2|, |v2|
	v_mul_f32_e32 v4, 0x3fb8aa3b, v3
	s_mov_b32 s2, 0x3fb8aa3b
	v_rndne_f32_e32 v5, v4
	v_sub_f32_e32 v6, v4, v5
	v_fma_f32 v4, v3, s2, -v4
	v_fmac_f32_e32 v4, 0x32a5705f, v3
	v_add_f32_e32 v4, v6, v4
	v_exp_f32_e32 v4, v4
	v_cvt_i32_f32_e32 v5, v5
	s_mov_b32 s2, 0xc2ce8ed0
	v_cmp_ngt_f32_e32 vcc, s2, v3
	s_mov_b32 s2, 0x42b17218
	v_ldexp_f32 v4, v4, v5
	v_cndmask_b32_e32 v4, 0, v4, vcc
	v_mov_b32_e32 v5, 0x7f800000
	v_cmp_nlt_f32_e32 vcc, s2, v3
	v_cndmask_b32_e32 v3, v5, v4, vcc
	v_add_f32_e32 v3, 1.0, v3
	v_rcp_f32_e32 v3, v3
	v_fma_f32 v3, v3, -2.0, 1.0
.LBB51_45:
	s_andn2_saveexec_b64 s[0:1], s[0:1]
	s_cbranch_execz .LBB51_47
; %bb.46:
	v_mul_f32_e32 v3, v2, v2
	v_mov_b32_e32 v4, 0x3ca908c9
	v_fmac_f32_e32 v4, 0xbbbac73d, v3
	v_mov_b32_e32 v5, 0xbd5c1c4e
	v_fmac_f32_e32 v5, v3, v4
	;; [unrolled: 2-line block ×4, first 2 shown]
	v_mul_f32_e64 v4, |v2|, v5
	v_fma_f32 v3, v3, v4, |v2|
.LBB51_47:
	s_or_b64 exec, exec, s[0:1]
	s_brev_b32 s0, -2
	v_bfi_b32 v2, s0, v3, v2
	v_mul_f32_e32 v1, 0.5, v1
	v_add_f32_e32 v2, 1.0, v2
	v_mul_f32_e32 v1, v1, v2
	v_mul_f32_e32 v2, v0, v1
.LBB51_48:
	v_mov_b32_e32 v0, v2
.LBB51_49:
	s_load_dwordx2 s[0:1], s[4:5], 0x38
	s_mul_i32 s3, s26, s34
	s_mul_i32 s2, s30, s8
	s_add_i32 s3, s3, s6
	s_add_i32 s2, s3, s2
	s_mov_b32 s3, 0
	s_lshl_b64 s[2:3], s[2:3], 2
	s_waitcnt lgkmcnt(0)
	s_add_u32 s0, s0, s2
	s_addc_u32 s1, s1, s3
	global_store_dword v12, v0, s[0:1]
.LBB51_50:
	s_endpgm
	.section	.rodata,"a",@progbits
	.p2align	6, 0x0
	.amdhsa_kernel _ZL13mul_mat_vec_qIL9ggml_type7ELi1ELb1ELb0EEvPKvS2_PKi31ggml_cuda_mm_fusion_args_devicePfj15HIP_vector_typeIjLj3EEjjjS8_jjjS8_jjjj
		.amdhsa_group_segment_fixed_size 512
		.amdhsa_private_segment_fixed_size 0
		.amdhsa_kernarg_size 144
		.amdhsa_user_sgpr_count 6
		.amdhsa_user_sgpr_private_segment_buffer 1
		.amdhsa_user_sgpr_dispatch_ptr 0
		.amdhsa_user_sgpr_queue_ptr 0
		.amdhsa_user_sgpr_kernarg_segment_ptr 1
		.amdhsa_user_sgpr_dispatch_id 0
		.amdhsa_user_sgpr_flat_scratch_init 0
		.amdhsa_user_sgpr_private_segment_size 0
		.amdhsa_uses_dynamic_stack 0
		.amdhsa_system_sgpr_private_segment_wavefront_offset 0
		.amdhsa_system_sgpr_workgroup_id_x 1
		.amdhsa_system_sgpr_workgroup_id_y 1
		.amdhsa_system_sgpr_workgroup_id_z 1
		.amdhsa_system_sgpr_workgroup_info 0
		.amdhsa_system_vgpr_workitem_id 1
		.amdhsa_next_free_vgpr 35
		.amdhsa_next_free_sgpr 44
		.amdhsa_reserve_vcc 1
		.amdhsa_reserve_flat_scratch 0
		.amdhsa_float_round_mode_32 0
		.amdhsa_float_round_mode_16_64 0
		.amdhsa_float_denorm_mode_32 3
		.amdhsa_float_denorm_mode_16_64 3
		.amdhsa_dx10_clamp 1
		.amdhsa_ieee_mode 1
		.amdhsa_fp16_overflow 0
		.amdhsa_exception_fp_ieee_invalid_op 0
		.amdhsa_exception_fp_denorm_src 0
		.amdhsa_exception_fp_ieee_div_zero 0
		.amdhsa_exception_fp_ieee_overflow 0
		.amdhsa_exception_fp_ieee_underflow 0
		.amdhsa_exception_fp_ieee_inexact 0
		.amdhsa_exception_int_div_zero 0
	.end_amdhsa_kernel
	.section	.text._ZL13mul_mat_vec_qIL9ggml_type7ELi1ELb1ELb0EEvPKvS2_PKi31ggml_cuda_mm_fusion_args_devicePfj15HIP_vector_typeIjLj3EEjjjS8_jjjS8_jjjj,"axG",@progbits,_ZL13mul_mat_vec_qIL9ggml_type7ELi1ELb1ELb0EEvPKvS2_PKi31ggml_cuda_mm_fusion_args_devicePfj15HIP_vector_typeIjLj3EEjjjS8_jjjS8_jjjj,comdat
.Lfunc_end51:
	.size	_ZL13mul_mat_vec_qIL9ggml_type7ELi1ELb1ELb0EEvPKvS2_PKi31ggml_cuda_mm_fusion_args_devicePfj15HIP_vector_typeIjLj3EEjjjS8_jjjS8_jjjj, .Lfunc_end51-_ZL13mul_mat_vec_qIL9ggml_type7ELi1ELb1ELb0EEvPKvS2_PKi31ggml_cuda_mm_fusion_args_devicePfj15HIP_vector_typeIjLj3EEjjjS8_jjjS8_jjjj
                                        ; -- End function
	.set _ZL13mul_mat_vec_qIL9ggml_type7ELi1ELb1ELb0EEvPKvS2_PKi31ggml_cuda_mm_fusion_args_devicePfj15HIP_vector_typeIjLj3EEjjjS8_jjjS8_jjjj.num_vgpr, 35
	.set _ZL13mul_mat_vec_qIL9ggml_type7ELi1ELb1ELb0EEvPKvS2_PKi31ggml_cuda_mm_fusion_args_devicePfj15HIP_vector_typeIjLj3EEjjjS8_jjjS8_jjjj.num_agpr, 0
	.set _ZL13mul_mat_vec_qIL9ggml_type7ELi1ELb1ELb0EEvPKvS2_PKi31ggml_cuda_mm_fusion_args_devicePfj15HIP_vector_typeIjLj3EEjjjS8_jjjS8_jjjj.numbered_sgpr, 44
	.set _ZL13mul_mat_vec_qIL9ggml_type7ELi1ELb1ELb0EEvPKvS2_PKi31ggml_cuda_mm_fusion_args_devicePfj15HIP_vector_typeIjLj3EEjjjS8_jjjS8_jjjj.num_named_barrier, 0
	.set _ZL13mul_mat_vec_qIL9ggml_type7ELi1ELb1ELb0EEvPKvS2_PKi31ggml_cuda_mm_fusion_args_devicePfj15HIP_vector_typeIjLj3EEjjjS8_jjjS8_jjjj.private_seg_size, 0
	.set _ZL13mul_mat_vec_qIL9ggml_type7ELi1ELb1ELb0EEvPKvS2_PKi31ggml_cuda_mm_fusion_args_devicePfj15HIP_vector_typeIjLj3EEjjjS8_jjjS8_jjjj.uses_vcc, 1
	.set _ZL13mul_mat_vec_qIL9ggml_type7ELi1ELb1ELb0EEvPKvS2_PKi31ggml_cuda_mm_fusion_args_devicePfj15HIP_vector_typeIjLj3EEjjjS8_jjjS8_jjjj.uses_flat_scratch, 0
	.set _ZL13mul_mat_vec_qIL9ggml_type7ELi1ELb1ELb0EEvPKvS2_PKi31ggml_cuda_mm_fusion_args_devicePfj15HIP_vector_typeIjLj3EEjjjS8_jjjS8_jjjj.has_dyn_sized_stack, 0
	.set _ZL13mul_mat_vec_qIL9ggml_type7ELi1ELb1ELb0EEvPKvS2_PKi31ggml_cuda_mm_fusion_args_devicePfj15HIP_vector_typeIjLj3EEjjjS8_jjjS8_jjjj.has_recursion, 0
	.set _ZL13mul_mat_vec_qIL9ggml_type7ELi1ELb1ELb0EEvPKvS2_PKi31ggml_cuda_mm_fusion_args_devicePfj15HIP_vector_typeIjLj3EEjjjS8_jjjS8_jjjj.has_indirect_call, 0
	.section	.AMDGPU.csdata,"",@progbits
; Kernel info:
; codeLenInByte = 2888
; TotalNumSgprs: 48
; NumVgprs: 35
; ScratchSize: 0
; MemoryBound: 0
; FloatMode: 240
; IeeeMode: 1
; LDSByteSize: 512 bytes/workgroup (compile time only)
; SGPRBlocks: 5
; VGPRBlocks: 8
; NumSGPRsForWavesPerEU: 48
; NumVGPRsForWavesPerEU: 35
; Occupancy: 7
; WaveLimiterHint : 0
; COMPUTE_PGM_RSRC2:SCRATCH_EN: 0
; COMPUTE_PGM_RSRC2:USER_SGPR: 6
; COMPUTE_PGM_RSRC2:TRAP_HANDLER: 0
; COMPUTE_PGM_RSRC2:TGID_X_EN: 1
; COMPUTE_PGM_RSRC2:TGID_Y_EN: 1
; COMPUTE_PGM_RSRC2:TGID_Z_EN: 1
; COMPUTE_PGM_RSRC2:TIDIG_COMP_CNT: 1
	.section	.text._ZL13mul_mat_vec_qIL9ggml_type7ELi1ELb0ELb0EEvPKvS2_PKi31ggml_cuda_mm_fusion_args_devicePfj15HIP_vector_typeIjLj3EEjjjS8_jjjS8_jjjj,"axG",@progbits,_ZL13mul_mat_vec_qIL9ggml_type7ELi1ELb0ELb0EEvPKvS2_PKi31ggml_cuda_mm_fusion_args_devicePfj15HIP_vector_typeIjLj3EEjjjS8_jjjS8_jjjj,comdat
	.globl	_ZL13mul_mat_vec_qIL9ggml_type7ELi1ELb0ELb0EEvPKvS2_PKi31ggml_cuda_mm_fusion_args_devicePfj15HIP_vector_typeIjLj3EEjjjS8_jjjS8_jjjj ; -- Begin function _ZL13mul_mat_vec_qIL9ggml_type7ELi1ELb0ELb0EEvPKvS2_PKi31ggml_cuda_mm_fusion_args_devicePfj15HIP_vector_typeIjLj3EEjjjS8_jjjS8_jjjj
	.p2align	8
	.type	_ZL13mul_mat_vec_qIL9ggml_type7ELi1ELb0ELb0EEvPKvS2_PKi31ggml_cuda_mm_fusion_args_devicePfj15HIP_vector_typeIjLj3EEjjjS8_jjjS8_jjjj,@function
_ZL13mul_mat_vec_qIL9ggml_type7ELi1ELb0ELb0EEvPKvS2_PKi31ggml_cuda_mm_fusion_args_devicePfj15HIP_vector_typeIjLj3EEjjjS8_jjjS8_jjjj: ; @_ZL13mul_mat_vec_qIL9ggml_type7ELi1ELb0ELb0EEvPKvS2_PKi31ggml_cuda_mm_fusion_args_devicePfj15HIP_vector_typeIjLj3EEjjjS8_jjjS8_jjjj
; %bb.0:
	s_load_dwordx2 s[0:1], s[4:5], 0x10
	s_load_dwordx4 s[16:19], s[4:5], 0x40
	s_mov_b32 s10, s7
	s_mov_b64 s[14:15], 0
	s_waitcnt lgkmcnt(0)
	s_cmp_lg_u64 s[0:1], 0
	s_cselect_b64 s[12:13], -1, 0
	s_cmp_eq_u64 s[0:1], 0
	s_cbranch_scc1 .LBB52_5
; %bb.1:
	s_mov_b32 s11, 0
	s_lshl_b64 s[2:3], s[10:11], 2
	s_add_u32 s0, s0, s2
	s_addc_u32 s1, s1, s3
	s_load_dword s9, s[0:1], 0x0
	s_nop 0
	s_load_dwordx4 s[0:3], s[4:5], 0x68
	s_load_dword s11, s[4:5], 0x50
	s_andn2_b64 vcc, exec, s[14:15]
	s_cbranch_vccnz .LBB52_3
.LBB52_2:
	s_load_dwordx2 s[14:15], s[4:5], 0x5c
	s_waitcnt lgkmcnt(0)
	s_mul_hi_u32 s7, s14, s10
	s_add_i32 s7, s10, s7
	s_lshr_b32 s9, s7, s15
.LBB52_3:
	s_load_dword s22, s[4:5], 0x78
	s_andn2_b64 vcc, exec, s[12:13]
	s_cbranch_vccnz .LBB52_6
; %bb.4:
	s_mul_hi_u32 s7, s17, s10
	s_add_i32 s7, s10, s7
	s_lshr_b32 s7, s7, s18
	s_mul_i32 s7, s7, s19
	s_sub_i32 s23, s10, s7
	s_branch .LBB52_7
.LBB52_5:
                                        ; implicit-def: $sgpr9
	s_load_dwordx4 s[0:3], s[4:5], 0x68
	s_load_dword s11, s[4:5], 0x50
	s_branch .LBB52_2
.LBB52_6:
	s_mov_b32 s23, s10
.LBB52_7:
	s_load_dwordx4 s[12:15], s[4:5], 0x80
	v_lshlrev_b32_e32 v2, 6, v1
	v_add_u16_e32 v3, v2, v0
	s_lshr_b32 s7, s16, 5
	v_lshrrev_b16_e32 v5, 1, v3
	v_cmp_gt_u32_e32 vcc, s7, v5
	v_mov_b32_e32 v4, 0
	s_and_saveexec_b64 s[20:21], vcc
	s_cbranch_execz .LBB52_11
; %bb.8:
	s_waitcnt lgkmcnt(0)
	s_mul_hi_u32 s3, s3, s8
	s_load_dwordx4 s[16:19], s[4:5], 0x0
	s_add_i32 s3, s8, s3
	s_lshr_b32 s3, s3, s22
	s_mul_i32 s11, s11, s6
	s_mul_i32 s3, s3, s12
	s_mul_i32 s13, s13, s8
	s_mul_i32 s0, s9, s0
	s_add_i32 s3, s3, s11
	s_add_i32 s3, s0, s3
	s_mul_hi_u32 s0, s13, 36
	s_mul_i32 s13, s13, 36
	s_mul_i32 s1, s23, s1
	s_waitcnt lgkmcnt(0)
	s_add_u32 s11, s18, s13
	s_mul_hi_u32 s9, s1, 36
	s_mul_i32 s1, s1, 36
	s_addc_u32 s12, s19, s0
	v_add_u32_e32 v2, v2, v0
	s_add_u32 s0, s11, s1
	v_lshlrev_b32_e32 v3, 1, v0
	v_lshrrev_b32_e32 v2, 1, v2
	s_addc_u32 s1, s12, s9
	v_and_b32_e32 v9, 2, v3
	v_mad_u64_u32 v[2:3], s[0:1], v2, 36, s[0:1]
	v_lshlrev_b32_e32 v6, 2, v9
	v_and_b32_e32 v8, 1, v0
	v_mov_b32_e32 v4, 0
	v_or_b32_e32 v7, 4, v6
	v_lshlrev_b32_e32 v8, 3, v8
	s_mov_b64 s[12:13], 0
	v_lshlrev_b32_e32 v9, 2, v9
.LBB52_9:                               ; =>This Inner Loop Header: Depth=1
	v_add_u32_e32 v10, s3, v5
	v_mad_i64_i32 v[10:11], s[0:1], v10, 24, s[16:17]
	v_add_u32_e32 v5, 64, v5
	global_load_dword v14, v[2:3], off
	global_load_dwordx2 v[12:13], v[10:11], off
	v_add_co_u32_e32 v10, vcc, v10, v9
	v_addc_co_u32_e32 v11, vcc, 0, v11, vcc
	global_load_dwordx2 v[10:11], v[10:11], off offset:8
	v_cmp_le_u32_e64 s[0:1], s7, v5
	s_or_b64 s[12:13], s[0:1], s[12:13]
	s_waitcnt vmcnt(1)
	v_ashrrev_i32_e32 v15, v6, v13
	v_ashrrev_i32_e32 v18, v7, v13
	v_pk_mul_f16 v19, v12, v14
	v_lshlrev_b32_e32 v13, 4, v15
	v_lshlrev_b32_e32 v14, 11, v15
	v_lshrrev_b32_e32 v17, 12, v15
	v_lshrrev_b32_e32 v20, 5, v15
	v_lshlrev_b32_e32 v21, 2, v15
	s_waitcnt vmcnt(0)
	v_and_b32_e32 v12, 0xf0f0f0f, v10
	v_and_b32_e32 v13, 16, v13
	;; [unrolled: 1-line block ×6, first 2 shown]
	v_or3_b32 v12, v13, v12, v14
	v_lshlrev_b32_e32 v13, 4, v18
	v_lshlrev_b32_e32 v14, 11, v18
	v_or3_b32 v17, v20, v17, v21
	v_lshlrev_b32_e32 v20, 18, v18
	v_and_b32_e32 v13, 16, v13
	v_and_b32_e32 v14, 0x1000, v14
	v_and_b32_e32 v20, 0x100000, v20
	v_lshrrev_b32_e32 v21, 12, v18
	v_or3_b32 v14, v14, v13, v20
	v_lshrrev_b32_e32 v13, 5, v18
	v_lshlrev_b32_e32 v20, 2, v18
	v_and_b32_e32 v21, 16, v21
	v_and_b32_e32 v13, 0x1000, v13
	;; [unrolled: 1-line block ×3, first 2 shown]
	v_lshlrev_b32_e32 v16, 18, v15
	v_or3_b32 v20, v13, v21, v20
	v_lshlrev_b32_e32 v13, 25, v15
	v_and_b32_e32 v16, 0x100000, v16
	v_and_b32_e32 v13, 0x10000000, v13
	v_lshrrev_b32_e32 v10, 4, v10
	v_lshlrev_b32_e32 v15, 9, v15
	v_or3_b32 v21, v12, v16, v13
	v_add_co_u32_e32 v12, vcc, v2, v8
	v_and_b32_e32 v10, 0xf0f0f0f, v10
	v_and_b32_e32 v15, 0x10000000, v15
	v_lshlrev_b32_e32 v16, 25, v18
	v_addc_co_u32_e32 v13, vcc, 0, v3, vcc
	v_or3_b32 v10, v17, v15, v10
	v_and_b32_e32 v15, 0xf0f0f0f, v11
	v_and_b32_e32 v16, 0x10000000, v16
	v_or3_b32 v22, v14, v16, v15
	global_load_dwordx2 v[14:15], v[12:13], off offset:4
	global_load_dwordx2 v[16:17], v[12:13], off offset:20
	v_lshrrev_b32_e32 v11, 4, v11
	v_lshlrev_b32_e32 v12, 9, v18
	v_and_b32_e32 v11, 0xf0f0f0f, v11
	v_and_b32_e32 v12, 0x10000000, v12
	v_or3_b32 v11, v20, v12, v11
	v_cvt_f32_f16_sdwa v13, v19 dst_sel:DWORD dst_unused:UNUSED_PAD src0_sel:WORD_1
	v_add_co_u32_e32 v2, vcc, 0x900, v2
	v_addc_co_u32_e32 v3, vcc, 0, v3, vcc
	s_waitcnt vmcnt(1)
	v_dot4_i32_i8 v12, v21, v14, 0
	s_waitcnt vmcnt(0)
	v_dot4_i32_i8 v10, v10, v16, v12
	v_dot4_i32_i8 v10, v22, v15, v10
	;; [unrolled: 1-line block ×3, first 2 shown]
	v_cvt_f32_i32_e32 v10, v10
	v_mul_f32_e32 v11, 0.5, v13
	v_fma_mix_f32 v10, v10, v19, v11 op_sel_hi:[0,1,0]
	v_add_f32_e32 v4, v4, v10
	s_andn2_b64 exec, exec, s[12:13]
	s_cbranch_execnz .LBB52_9
; %bb.10:
	s_or_b64 exec, exec, s[12:13]
.LBB52_11:
	s_or_b64 exec, exec, s[20:21]
	v_cmp_eq_u32_e32 vcc, 0, v1
	s_waitcnt lgkmcnt(0)
	v_cmp_ne_u32_e64 s[0:1], 0, v1
	v_lshlrev_b32_e32 v2, 2, v0
	s_and_saveexec_b64 s[12:13], s[0:1]
; %bb.12:
	v_lshlrev_b32_e32 v1, 8, v1
	s_movk_i32 s0, 0xff00
	v_add3_u32 v1, v1, v2, s0
	ds_write_b32 v1, v4
; %bb.13:
	s_or_b64 exec, exec, s[12:13]
	s_waitcnt lgkmcnt(0)
	s_barrier
	s_and_saveexec_b64 s[0:1], vcc
	s_cbranch_execz .LBB52_16
; %bb.14:
	ds_read_b32 v1, v2
	v_mbcnt_lo_u32_b32 v2, -1, 0
	v_mbcnt_hi_u32_b32 v2, -1, v2
	v_and_b32_e32 v3, 64, v2
	v_add_u32_e32 v3, 64, v3
	v_xor_b32_e32 v5, 32, v2
	v_cmp_lt_i32_e32 vcc, v5, v3
	v_cndmask_b32_e32 v5, v2, v5, vcc
	v_lshlrev_b32_e32 v5, 2, v5
	s_waitcnt lgkmcnt(0)
	v_add_f32_e32 v1, v4, v1
	ds_bpermute_b32 v4, v5, v1
	v_xor_b32_e32 v5, 16, v2
	v_cmp_lt_i32_e32 vcc, v5, v3
	v_cndmask_b32_e32 v5, v2, v5, vcc
	v_lshlrev_b32_e32 v5, 2, v5
	s_waitcnt lgkmcnt(0)
	v_add_f32_e32 v1, v1, v4
	ds_bpermute_b32 v4, v5, v1
	v_xor_b32_e32 v5, 8, v2
	v_cmp_lt_i32_e32 vcc, v5, v3
	v_cndmask_b32_e32 v5, v2, v5, vcc
	v_lshlrev_b32_e32 v5, 2, v5
	s_waitcnt lgkmcnt(0)
	v_add_f32_e32 v1, v1, v4
	ds_bpermute_b32 v4, v5, v1
	v_xor_b32_e32 v5, 4, v2
	v_cmp_lt_i32_e32 vcc, v5, v3
	v_cndmask_b32_e32 v5, v2, v5, vcc
	v_lshlrev_b32_e32 v5, 2, v5
	s_waitcnt lgkmcnt(0)
	v_add_f32_e32 v1, v1, v4
	ds_bpermute_b32 v4, v5, v1
	v_xor_b32_e32 v5, 2, v2
	v_cmp_lt_i32_e32 vcc, v5, v3
	v_cndmask_b32_e32 v5, v2, v5, vcc
	v_lshlrev_b32_e32 v5, 2, v5
	s_waitcnt lgkmcnt(0)
	v_add_f32_e32 v1, v1, v4
	ds_bpermute_b32 v4, v5, v1
	v_xor_b32_e32 v5, 1, v2
	v_cmp_lt_i32_e32 vcc, v5, v3
	v_cndmask_b32_e32 v2, v2, v5, vcc
	v_lshlrev_b32_e32 v2, 2, v2
	s_waitcnt lgkmcnt(0)
	v_add_f32_e32 v1, v1, v4
	ds_bpermute_b32 v2, v2, v1
	s_mov_b32 s1, 0
	v_cmp_eq_u32_e32 vcc, 0, v0
	s_and_b64 exec, exec, vcc
	s_cbranch_execz .LBB52_16
; %bb.15:
	s_load_dwordx2 s[4:5], s[4:5], 0x38
	s_mul_i32 s0, s2, s10
	s_add_i32 s0, s0, s6
	s_mul_i32 s2, s14, s8
	s_add_i32 s0, s0, s2
	s_lshl_b64 s[0:1], s[0:1], 2
	s_waitcnt lgkmcnt(0)
	s_add_u32 s0, s4, s0
	v_add_f32_e32 v0, v1, v2
	s_addc_u32 s1, s5, s1
	v_mov_b32_e32 v1, 0
	global_store_dword v1, v0, s[0:1]
.LBB52_16:
	s_endpgm
	.section	.rodata,"a",@progbits
	.p2align	6, 0x0
	.amdhsa_kernel _ZL13mul_mat_vec_qIL9ggml_type7ELi1ELb0ELb0EEvPKvS2_PKi31ggml_cuda_mm_fusion_args_devicePfj15HIP_vector_typeIjLj3EEjjjS8_jjjS8_jjjj
		.amdhsa_group_segment_fixed_size 256
		.amdhsa_private_segment_fixed_size 0
		.amdhsa_kernarg_size 144
		.amdhsa_user_sgpr_count 6
		.amdhsa_user_sgpr_private_segment_buffer 1
		.amdhsa_user_sgpr_dispatch_ptr 0
		.amdhsa_user_sgpr_queue_ptr 0
		.amdhsa_user_sgpr_kernarg_segment_ptr 1
		.amdhsa_user_sgpr_dispatch_id 0
		.amdhsa_user_sgpr_flat_scratch_init 0
		.amdhsa_user_sgpr_private_segment_size 0
		.amdhsa_uses_dynamic_stack 0
		.amdhsa_system_sgpr_private_segment_wavefront_offset 0
		.amdhsa_system_sgpr_workgroup_id_x 1
		.amdhsa_system_sgpr_workgroup_id_y 1
		.amdhsa_system_sgpr_workgroup_id_z 1
		.amdhsa_system_sgpr_workgroup_info 0
		.amdhsa_system_vgpr_workitem_id 1
		.amdhsa_next_free_vgpr 23
		.amdhsa_next_free_sgpr 24
		.amdhsa_reserve_vcc 1
		.amdhsa_reserve_flat_scratch 0
		.amdhsa_float_round_mode_32 0
		.amdhsa_float_round_mode_16_64 0
		.amdhsa_float_denorm_mode_32 3
		.amdhsa_float_denorm_mode_16_64 3
		.amdhsa_dx10_clamp 1
		.amdhsa_ieee_mode 1
		.amdhsa_fp16_overflow 0
		.amdhsa_exception_fp_ieee_invalid_op 0
		.amdhsa_exception_fp_denorm_src 0
		.amdhsa_exception_fp_ieee_div_zero 0
		.amdhsa_exception_fp_ieee_overflow 0
		.amdhsa_exception_fp_ieee_underflow 0
		.amdhsa_exception_fp_ieee_inexact 0
		.amdhsa_exception_int_div_zero 0
	.end_amdhsa_kernel
	.section	.text._ZL13mul_mat_vec_qIL9ggml_type7ELi1ELb0ELb0EEvPKvS2_PKi31ggml_cuda_mm_fusion_args_devicePfj15HIP_vector_typeIjLj3EEjjjS8_jjjS8_jjjj,"axG",@progbits,_ZL13mul_mat_vec_qIL9ggml_type7ELi1ELb0ELb0EEvPKvS2_PKi31ggml_cuda_mm_fusion_args_devicePfj15HIP_vector_typeIjLj3EEjjjS8_jjjS8_jjjj,comdat
.Lfunc_end52:
	.size	_ZL13mul_mat_vec_qIL9ggml_type7ELi1ELb0ELb0EEvPKvS2_PKi31ggml_cuda_mm_fusion_args_devicePfj15HIP_vector_typeIjLj3EEjjjS8_jjjS8_jjjj, .Lfunc_end52-_ZL13mul_mat_vec_qIL9ggml_type7ELi1ELb0ELb0EEvPKvS2_PKi31ggml_cuda_mm_fusion_args_devicePfj15HIP_vector_typeIjLj3EEjjjS8_jjjS8_jjjj
                                        ; -- End function
	.set _ZL13mul_mat_vec_qIL9ggml_type7ELi1ELb0ELb0EEvPKvS2_PKi31ggml_cuda_mm_fusion_args_devicePfj15HIP_vector_typeIjLj3EEjjjS8_jjjS8_jjjj.num_vgpr, 23
	.set _ZL13mul_mat_vec_qIL9ggml_type7ELi1ELb0ELb0EEvPKvS2_PKi31ggml_cuda_mm_fusion_args_devicePfj15HIP_vector_typeIjLj3EEjjjS8_jjjS8_jjjj.num_agpr, 0
	.set _ZL13mul_mat_vec_qIL9ggml_type7ELi1ELb0ELb0EEvPKvS2_PKi31ggml_cuda_mm_fusion_args_devicePfj15HIP_vector_typeIjLj3EEjjjS8_jjjS8_jjjj.numbered_sgpr, 24
	.set _ZL13mul_mat_vec_qIL9ggml_type7ELi1ELb0ELb0EEvPKvS2_PKi31ggml_cuda_mm_fusion_args_devicePfj15HIP_vector_typeIjLj3EEjjjS8_jjjS8_jjjj.num_named_barrier, 0
	.set _ZL13mul_mat_vec_qIL9ggml_type7ELi1ELb0ELb0EEvPKvS2_PKi31ggml_cuda_mm_fusion_args_devicePfj15HIP_vector_typeIjLj3EEjjjS8_jjjS8_jjjj.private_seg_size, 0
	.set _ZL13mul_mat_vec_qIL9ggml_type7ELi1ELb0ELb0EEvPKvS2_PKi31ggml_cuda_mm_fusion_args_devicePfj15HIP_vector_typeIjLj3EEjjjS8_jjjS8_jjjj.uses_vcc, 1
	.set _ZL13mul_mat_vec_qIL9ggml_type7ELi1ELb0ELb0EEvPKvS2_PKi31ggml_cuda_mm_fusion_args_devicePfj15HIP_vector_typeIjLj3EEjjjS8_jjjS8_jjjj.uses_flat_scratch, 0
	.set _ZL13mul_mat_vec_qIL9ggml_type7ELi1ELb0ELb0EEvPKvS2_PKi31ggml_cuda_mm_fusion_args_devicePfj15HIP_vector_typeIjLj3EEjjjS8_jjjS8_jjjj.has_dyn_sized_stack, 0
	.set _ZL13mul_mat_vec_qIL9ggml_type7ELi1ELb0ELb0EEvPKvS2_PKi31ggml_cuda_mm_fusion_args_devicePfj15HIP_vector_typeIjLj3EEjjjS8_jjjS8_jjjj.has_recursion, 0
	.set _ZL13mul_mat_vec_qIL9ggml_type7ELi1ELb0ELb0EEvPKvS2_PKi31ggml_cuda_mm_fusion_args_devicePfj15HIP_vector_typeIjLj3EEjjjS8_jjjS8_jjjj.has_indirect_call, 0
	.section	.AMDGPU.csdata,"",@progbits
; Kernel info:
; codeLenInByte = 1216
; TotalNumSgprs: 28
; NumVgprs: 23
; ScratchSize: 0
; MemoryBound: 0
; FloatMode: 240
; IeeeMode: 1
; LDSByteSize: 256 bytes/workgroup (compile time only)
; SGPRBlocks: 3
; VGPRBlocks: 5
; NumSGPRsForWavesPerEU: 28
; NumVGPRsForWavesPerEU: 23
; Occupancy: 10
; WaveLimiterHint : 0
; COMPUTE_PGM_RSRC2:SCRATCH_EN: 0
; COMPUTE_PGM_RSRC2:USER_SGPR: 6
; COMPUTE_PGM_RSRC2:TRAP_HANDLER: 0
; COMPUTE_PGM_RSRC2:TGID_X_EN: 1
; COMPUTE_PGM_RSRC2:TGID_Y_EN: 1
; COMPUTE_PGM_RSRC2:TGID_Z_EN: 1
; COMPUTE_PGM_RSRC2:TIDIG_COMP_CNT: 1
	.section	.text._ZL13mul_mat_vec_qIL9ggml_type7ELi2ELb0ELb0EEvPKvS2_PKi31ggml_cuda_mm_fusion_args_devicePfj15HIP_vector_typeIjLj3EEjjjS8_jjjS8_jjjj,"axG",@progbits,_ZL13mul_mat_vec_qIL9ggml_type7ELi2ELb0ELb0EEvPKvS2_PKi31ggml_cuda_mm_fusion_args_devicePfj15HIP_vector_typeIjLj3EEjjjS8_jjjS8_jjjj,comdat
	.globl	_ZL13mul_mat_vec_qIL9ggml_type7ELi2ELb0ELb0EEvPKvS2_PKi31ggml_cuda_mm_fusion_args_devicePfj15HIP_vector_typeIjLj3EEjjjS8_jjjS8_jjjj ; -- Begin function _ZL13mul_mat_vec_qIL9ggml_type7ELi2ELb0ELb0EEvPKvS2_PKi31ggml_cuda_mm_fusion_args_devicePfj15HIP_vector_typeIjLj3EEjjjS8_jjjS8_jjjj
	.p2align	8
	.type	_ZL13mul_mat_vec_qIL9ggml_type7ELi2ELb0ELb0EEvPKvS2_PKi31ggml_cuda_mm_fusion_args_devicePfj15HIP_vector_typeIjLj3EEjjjS8_jjjS8_jjjj,@function
_ZL13mul_mat_vec_qIL9ggml_type7ELi2ELb0ELb0EEvPKvS2_PKi31ggml_cuda_mm_fusion_args_devicePfj15HIP_vector_typeIjLj3EEjjjS8_jjjS8_jjjj: ; @_ZL13mul_mat_vec_qIL9ggml_type7ELi2ELb0ELb0EEvPKvS2_PKi31ggml_cuda_mm_fusion_args_devicePfj15HIP_vector_typeIjLj3EEjjjS8_jjjS8_jjjj
; %bb.0:
	v_lshlrev_b32_e32 v2, 6, v1
	s_load_dword s9, s[4:5], 0x40
	s_load_dwordx4 s[12:15], s[4:5], 0x50
	s_load_dword s25, s[4:5], 0x60
	s_load_dwordx4 s[0:3], s[4:5], 0x68
	;; [unrolled: 2-line block ×3, first 2 shown]
	v_add_u16_e32 v2, v2, v0
	s_waitcnt lgkmcnt(0)
	s_lshr_b32 s9, s9, 5
	v_lshrrev_b16_e32 v8, 1, v2
	s_lshl_b32 s6, s6, 1
	v_cmp_gt_u32_e32 vcc, s9, v8
	v_mov_b32_e32 v6, 0
	v_mov_b32_e32 v7, 0
	;; [unrolled: 1-line block ×4, first 2 shown]
	s_and_saveexec_b64 s[10:11], vcc
	s_cbranch_execz .LBB53_4
; %bb.1:
	s_load_dwordx4 s[20:23], s[4:5], 0x0
	s_mul_i32 s17, s17, s8
	s_mul_hi_u32 s19, s17, 36
	s_mul_i32 s17, s17, 36
	s_mul_i32 s1, s1, s7
	s_waitcnt lgkmcnt(0)
	s_add_u32 s17, s22, s17
	s_addc_u32 s19, s23, s19
	s_mul_hi_u32 s23, s1, 36
	s_mul_i32 s1, s1, 36
	s_add_u32 s22, s17, s1
	s_mul_hi_u32 s1, s15, s7
	s_addc_u32 s23, s19, s23
	s_add_i32 s1, s7, s1
	s_lshr_b32 s1, s1, s25
	s_mul_i32 s1, s1, s0
	s_mul_hi_u32 s0, s3, s8
	s_add_i32 s0, s8, s0
	s_lshr_b32 s0, s0, s24
	s_mul_i32 s0, s0, s16
	s_add_i32 s0, s0, s1
	s_mul_i32 s1, s6, s12
	v_lshlrev_b32_e32 v3, 1, v0
	s_add_i32 s3, s0, s1
	s_add_i32 s1, s6, 1
	v_and_b32_e32 v5, 2, v3
	s_mul_i32 s1, s12, s1
	v_and_b32_e32 v3, 1, v0
	v_lshrrev_b16_e32 v2, 1, v2
	s_add_i32 s12, s0, s1
	v_lshlrev_b32_e32 v11, 3, v3
	v_mad_u64_u32 v[2:3], s[0:1], v2, 36, s[22:23]
	v_lshlrev_b32_e32 v9, 2, v5
	v_mov_b32_e32 v4, 0
	v_or_b32_e32 v10, 4, v9
	s_mov_b64 s[16:17], 0
	v_lshlrev_b32_e32 v12, 2, v5
	v_mov_b32_e32 v5, 0
	v_mov_b32_e32 v6, 0
	;; [unrolled: 1-line block ×3, first 2 shown]
.LBB53_2:                               ; =>This Inner Loop Header: Depth=1
	v_add_u32_e32 v13, s3, v8
	v_mad_i64_i32 v[13:14], s[0:1], v13, 24, s[20:21]
	global_load_dwordx2 v[15:16], v[13:14], off
	v_add_co_u32_e32 v13, vcc, v13, v12
	v_addc_co_u32_e32 v14, vcc, 0, v14, vcc
	global_load_dwordx2 v[13:14], v[13:14], off offset:8
	s_waitcnt vmcnt(1)
	v_ashrrev_i32_e32 v24, v9, v16
	v_ashrrev_i32_e32 v28, v10, v16
	v_lshlrev_b32_e32 v16, 4, v24
	v_lshlrev_b32_e32 v17, 11, v24
	v_and_b32_e32 v16, 16, v16
	v_and_b32_e32 v17, 0x1000, v17
	s_waitcnt vmcnt(0)
	v_and_b32_e32 v19, 0xf0f0f0f, v13
	v_lshrrev_b32_e32 v18, 12, v24
	v_or3_b32 v25, v16, v19, v17
	v_lshrrev_b32_e32 v16, 5, v24
	v_lshlrev_b32_e32 v17, 2, v24
	v_and_b32_e32 v18, 16, v18
	v_and_b32_e32 v16, 0x1000, v16
	;; [unrolled: 1-line block ×3, first 2 shown]
	v_or3_b32 v26, v16, v18, v17
	v_lshlrev_b32_e32 v16, 4, v28
	v_lshlrev_b32_e32 v17, 11, v28
	;; [unrolled: 1-line block ×3, first 2 shown]
	v_and_b32_e32 v16, 16, v16
	v_and_b32_e32 v17, 0x1000, v17
	;; [unrolled: 1-line block ×3, first 2 shown]
	v_or3_b32 v27, v17, v16, v18
	v_add_u32_e32 v16, s12, v8
	v_mad_i64_i32 v[16:17], s[0:1], v16, 24, s[20:21]
	v_lshrrev_b32_e32 v13, 4, v13
	v_and_b32_e32 v13, 0xf0f0f0f, v13
	v_add_co_u32_e32 v18, vcc, v16, v12
	v_addc_co_u32_e32 v19, vcc, 0, v17, vcc
	global_load_dwordx2 v[20:21], v[16:17], off
	global_load_dwordx2 v[22:23], v[18:19], off offset:8
	s_waitcnt vmcnt(1)
	v_ashrrev_i32_e32 v16, v9, v21
	v_lshlrev_b32_e32 v17, 4, v16
	v_lshlrev_b32_e32 v18, 11, v16
	v_and_b32_e32 v17, 16, v17
	v_and_b32_e32 v18, 0x1000, v18
	s_waitcnt vmcnt(0)
	v_and_b32_e32 v19, 0xf0f0f0f, v22
	v_or3_b32 v17, v17, v19, v18
	v_lshrrev_b32_e32 v18, 12, v16
	v_lshrrev_b32_e32 v19, 5, v16
	v_lshlrev_b32_e32 v29, 2, v16
	v_and_b32_e32 v18, 16, v18
	v_and_b32_e32 v19, 0x1000, v19
	;; [unrolled: 1-line block ×3, first 2 shown]
	v_or3_b32 v18, v19, v18, v29
	v_ashrrev_i32_e32 v29, v10, v21
	v_lshlrev_b32_e32 v19, 4, v29
	v_lshlrev_b32_e32 v21, 11, v29
	;; [unrolled: 1-line block ×3, first 2 shown]
	v_and_b32_e32 v19, 16, v19
	v_and_b32_e32 v21, 0x1000, v21
	;; [unrolled: 1-line block ×3, first 2 shown]
	v_or3_b32 v19, v21, v19, v30
	v_lshlrev_b32_e32 v21, 18, v24
	v_lshlrev_b32_e32 v30, 25, v24
	v_and_b32_e32 v21, 0x100000, v21
	v_and_b32_e32 v30, 0x10000000, v30
	v_or3_b32 v30, v25, v21, v30
	v_lshlrev_b32_e32 v21, 9, v24
	v_and_b32_e32 v21, 0x10000000, v21
	v_or3_b32 v13, v26, v21, v13
	v_lshlrev_b32_e32 v21, 25, v28
	v_and_b32_e32 v21, 0x10000000, v21
	v_and_b32_e32 v24, 0xf0f0f0f, v14
	v_or3_b32 v31, v27, v21, v24
	v_lshlrev_b32_e32 v21, 18, v16
	v_lshlrev_b32_e32 v24, 25, v16
	v_and_b32_e32 v21, 0x100000, v21
	v_and_b32_e32 v24, 0x10000000, v24
	v_or3_b32 v32, v17, v21, v24
	v_lshlrev_b32_e32 v16, 9, v16
	v_lshrrev_b32_e32 v17, 4, v22
	v_and_b32_e32 v16, 0x10000000, v16
	v_and_b32_e32 v17, 0xf0f0f0f, v17
	v_or3_b32 v33, v18, v16, v17
	v_lshlrev_b32_e32 v16, 25, v29
	v_and_b32_e32 v16, 0x10000000, v16
	v_and_b32_e32 v17, 0xf0f0f0f, v23
	v_or3_b32 v34, v19, v16, v17
	v_add_co_u32_e32 v16, vcc, v2, v11
	v_addc_co_u32_e32 v17, vcc, 0, v3, vcc
	global_load_dwordx2 v[18:19], v[16:17], off offset:4
	global_load_dwordx2 v[21:22], v[16:17], off offset:20
	v_lshrrev_b32_e32 v14, 4, v14
	v_and_b32_e32 v14, 0xf0f0f0f, v14
	s_waitcnt vmcnt(1)
	v_dot4_i32_i8 v16, v30, v18, 0
	s_waitcnt vmcnt(0)
	v_dot4_i32_i8 v16, v13, v21, v16
	v_dot4_i32_i8 v17, v32, v18, 0
	;; [unrolled: 1-line block ×4, first 2 shown]
	v_add_u32_e32 v16, s13, v8
	v_dot4_i32_i8 v35, v34, v19, v17
	v_mad_u64_u32 v[16:17], s[0:1], v16, 36, s[22:23]
	v_add_u32_e32 v8, 64, v8
	v_cmp_le_u32_e64 s[0:1], s9, v8
	v_add_co_u32_e32 v18, vcc, v16, v12
	v_addc_co_u32_e32 v19, vcc, 0, v17, vcc
	global_load_dwordx2 v[24:25], v[18:19], off offset:4
	global_load_dwordx2 v[26:27], v[18:19], off offset:20
	v_lshrrev_b32_e32 v19, 12, v28
	v_and_b32_e32 v19, 16, v19
	s_or_b64 s[16:17], s[0:1], s[16:17]
	s_waitcnt vmcnt(1)
	v_dot4_i32_i8 v18, v30, v24, 0
	s_waitcnt vmcnt(0)
	v_dot4_i32_i8 v13, v13, v26, v18
	v_dot4_i32_i8 v18, v32, v24, 0
	;; [unrolled: 1-line block ×5, first 2 shown]
	v_lshrrev_b32_e32 v24, 5, v28
	v_lshlrev_b32_e32 v25, 2, v28
	v_and_b32_e32 v24, 0x1000, v24
	v_and_b32_e32 v25, 0x100000, v25
	v_or3_b32 v19, v24, v19, v25
	v_lshrrev_b32_e32 v24, 12, v29
	v_lshrrev_b32_e32 v25, 5, v29
	v_lshlrev_b32_e32 v26, 2, v29
	v_and_b32_e32 v24, 16, v24
	v_and_b32_e32 v25, 0x1000, v25
	;; [unrolled: 1-line block ×3, first 2 shown]
	v_or3_b32 v24, v25, v24, v26
	v_lshlrev_b32_e32 v25, 9, v28
	v_and_b32_e32 v25, 0x10000000, v25
	v_or3_b32 v14, v19, v25, v14
	v_lshrrev_b32_e32 v19, 4, v23
	v_lshlrev_b32_e32 v23, 9, v29
	v_and_b32_e32 v23, 0x10000000, v23
	v_and_b32_e32 v19, 0xf0f0f0f, v19
	v_or3_b32 v19, v24, v23, v19
	v_dot4_i32_i8 v21, v14, v22, v21
	v_dot4_i32_i8 v22, v19, v22, v35
	v_dot4_i32_i8 v13, v14, v27, v13
	v_dot4_i32_i8 v14, v19, v27, v18
	global_load_dword v18, v[16:17], off
	global_load_dword v19, v[2:3], off
	v_cvt_f32_i32_e32 v21, v21
	v_cvt_f32_i32_e32 v13, v13
	;; [unrolled: 1-line block ×4, first 2 shown]
	v_add_co_u32_e32 v2, vcc, 0x900, v2
	v_addc_co_u32_e32 v3, vcc, 0, v3, vcc
	s_waitcnt vmcnt(0)
	v_pk_mul_f16 v16, v15, v19
	v_pk_mul_f16 v17, v20, v19
	v_cvt_f32_f16_sdwa v19, v16 dst_sel:DWORD dst_unused:UNUSED_PAD src0_sel:WORD_1
	v_pk_mul_f16 v15, v15, v18
	v_pk_mul_f16 v18, v20, v18
	v_cvt_f32_f16_sdwa v20, v15 dst_sel:DWORD dst_unused:UNUSED_PAD src0_sel:WORD_1
	v_mul_f32_e32 v19, 0.5, v19
	v_fma_mix_f32 v16, v21, v16, v19 op_sel_hi:[0,1,0]
	v_cvt_f32_f16_sdwa v19, v17 dst_sel:DWORD dst_unused:UNUSED_PAD src0_sel:WORD_1
	v_cvt_f32_f16_sdwa v21, v18 dst_sel:DWORD dst_unused:UNUSED_PAD src0_sel:WORD_1
	v_mul_f32_e32 v20, 0.5, v20
	v_fma_mix_f32 v13, v13, v15, v20 op_sel_hi:[0,1,0]
	v_mul_f32_e32 v19, 0.5, v19
	v_mul_f32_e32 v21, 0.5, v21
	v_fma_mix_f32 v15, v22, v17, v19 op_sel_hi:[0,1,0]
	v_fma_mix_f32 v14, v14, v18, v21 op_sel_hi:[0,1,0]
	v_add_f32_e32 v7, v7, v16
	v_add_f32_e32 v5, v5, v13
	;; [unrolled: 1-line block ×4, first 2 shown]
	s_andn2_b64 exec, exec, s[16:17]
	s_cbranch_execnz .LBB53_2
; %bb.3:
	s_or_b64 exec, exec, s[16:17]
.LBB53_4:
	s_or_b64 exec, exec, s[10:11]
	v_cmp_eq_u32_e32 vcc, 0, v1
	v_cmp_ne_u32_e64 s[0:1], 0, v1
	v_lshlrev_b32_e32 v2, 2, v0
	s_and_saveexec_b64 s[10:11], s[0:1]
	s_cbranch_execz .LBB53_6
; %bb.5:
	v_lshl_or_b32 v1, v1, 10, v2
	v_add_u32_e32 v1, 0xfffffc00, v1
	ds_write2st64_b32 v1, v7, v6 offset1:1
	ds_write2st64_b32 v1, v5, v4 offset0:2 offset1:3
.LBB53_6:
	s_or_b64 exec, exec, s[10:11]
	s_waitcnt lgkmcnt(0)
	s_barrier
	s_and_saveexec_b64 s[0:1], vcc
	s_cbranch_execz .LBB53_11
; %bb.7:
	v_mbcnt_lo_u32_b32 v1, -1, 0
	v_mbcnt_hi_u32_b32 v11, -1, v1
	ds_read2st64_b32 v[9:10], v2 offset1:1
	v_and_b32_e32 v1, 64, v11
	v_add_u32_e32 v12, 64, v1
	v_xor_b32_e32 v1, 32, v11
	v_cmp_lt_i32_e32 vcc, v1, v12
	v_cndmask_b32_e32 v1, v11, v1, vcc
	v_lshlrev_b32_e32 v1, 2, v1
	s_waitcnt lgkmcnt(0)
	v_add_f32_e32 v7, v9, v7
	v_add_f32_e32 v10, v10, v6
	ds_bpermute_b32 v9, v1, v7
	ds_bpermute_b32 v14, v1, v10
	v_xor_b32_e32 v3, 16, v11
	v_cmp_lt_i32_e32 vcc, v3, v12
	v_cndmask_b32_e32 v3, v11, v3, vcc
	v_lshlrev_b32_e32 v3, 2, v3
	s_waitcnt lgkmcnt(1)
	v_add_f32_e32 v7, v7, v9
	s_waitcnt lgkmcnt(0)
	v_add_f32_e32 v10, v10, v14
	ds_bpermute_b32 v9, v3, v7
	ds_bpermute_b32 v14, v3, v10
	v_xor_b32_e32 v8, 8, v11
	v_cmp_lt_i32_e32 vcc, v8, v12
	v_cndmask_b32_e32 v8, v11, v8, vcc
	v_lshlrev_b32_e32 v8, 2, v8
	s_waitcnt lgkmcnt(1)
	v_add_f32_e32 v9, v7, v9
	s_waitcnt lgkmcnt(0)
	;; [unrolled: 10-line block ×3, first 2 shown]
	v_add_f32_e32 v10, v10, v14
	ds_bpermute_b32 v15, v6, v9
	ds_bpermute_b32 v14, v6, v10
	v_xor_b32_e32 v13, 2, v11
	v_cmp_lt_i32_e32 vcc, v13, v12
	v_cndmask_b32_e32 v13, v11, v13, vcc
	v_lshlrev_b32_e32 v7, 2, v13
	v_xor_b32_e32 v13, 1, v11
	v_cmp_lt_i32_e32 vcc, v13, v12
	s_waitcnt lgkmcnt(1)
	v_add_f32_e32 v9, v9, v15
	s_waitcnt lgkmcnt(0)
	v_add_f32_e32 v10, v10, v14
	v_cndmask_b32_e32 v11, v11, v13, vcc
	ds_bpermute_b32 v12, v7, v9
	ds_bpermute_b32 v13, v7, v10
	s_load_dwordx2 s[0:1], s[4:5], 0x38
	s_mul_i32 s2, s2, s7
	v_lshlrev_b32_e32 v11, 2, v11
	s_waitcnt lgkmcnt(0)
	v_add_f32_e32 v9, v9, v12
	v_add_f32_e32 v10, v10, v13
	s_mul_i32 s3, s18, s8
	s_add_i32 s2, s2, s6
	ds_bpermute_b32 v12, v11, v9
	ds_bpermute_b32 v13, v11, v10
	s_add_i32 s2, s2, s3
	s_mov_b32 s3, 0
	s_lshl_b64 s[2:3], s[2:3], 2
	s_add_u32 s2, s0, s2
	v_add_u32_e32 v14, s6, v0
	s_addc_u32 s3, s1, s3
	v_cmp_gt_u32_e32 vcc, 2, v0
	v_cmp_gt_u32_e64 s[0:1], s14, v14
	s_and_b64 s[0:1], vcc, s[0:1]
	s_waitcnt lgkmcnt(1)
	v_add_f32_e32 v9, v9, v12
	s_waitcnt lgkmcnt(0)
	v_add_f32_e32 v10, v10, v13
	s_and_saveexec_b64 s[4:5], s[0:1]
	s_cbranch_execz .LBB53_9
; %bb.8:
	v_cmp_eq_u32_e32 vcc, 1, v0
	v_cndmask_b32_e32 v12, v9, v10, vcc
	v_cmp_eq_u32_e32 vcc, 2, v0
	v_cndmask_b32_e32 v12, v12, v5, vcc
	;; [unrolled: 2-line block ×3, first 2 shown]
	global_store_dword v2, v12, s[2:3]
.LBB53_9:
	s_or_b64 exec, exec, s[4:5]
	ds_read2st64_b32 v[12:13], v2 offset0:2 offset1:3
	s_waitcnt lgkmcnt(0)
	v_add_f32_e32 v2, v12, v5
	v_add_f32_e32 v4, v13, v4
	ds_bpermute_b32 v5, v1, v2
	ds_bpermute_b32 v1, v1, v4
	s_waitcnt lgkmcnt(1)
	v_add_f32_e32 v2, v2, v5
	s_waitcnt lgkmcnt(0)
	v_add_f32_e32 v1, v4, v1
	ds_bpermute_b32 v4, v3, v2
	ds_bpermute_b32 v3, v3, v1
	s_waitcnt lgkmcnt(1)
	v_add_f32_e32 v2, v2, v4
	s_waitcnt lgkmcnt(0)
	;; [unrolled: 6-line block ×5, first 2 shown]
	v_add_f32_e32 v2, v3, v4
	ds_bpermute_b32 v3, v11, v1
	ds_bpermute_b32 v4, v11, v2
	s_and_b64 exec, exec, s[0:1]
	s_cbranch_execz .LBB53_11
; %bb.10:
	s_waitcnt lgkmcnt(1)
	v_add_f32_e32 v1, v1, v3
	v_add_u32_e32 v3, 2, v0
	v_cmp_eq_u32_e32 vcc, 1, v3
	s_waitcnt lgkmcnt(0)
	v_add_f32_e32 v2, v2, v4
	v_cndmask_b32_e32 v4, v9, v10, vcc
	v_cmp_eq_u32_e32 vcc, 2, v3
	v_cndmask_b32_e32 v1, v4, v1, vcc
	v_cmp_eq_u32_e32 vcc, 3, v3
	v_cndmask_b32_e32 v2, v1, v2, vcc
	v_add_u32_e32 v0, s14, v0
	v_mov_b32_e32 v1, 0
	v_lshlrev_b64 v[0:1], 2, v[0:1]
	v_mov_b32_e32 v3, s3
	v_add_co_u32_e32 v0, vcc, s2, v0
	v_addc_co_u32_e32 v1, vcc, v3, v1, vcc
	global_store_dword v[0:1], v2, off
.LBB53_11:
	s_endpgm
	.section	.rodata,"a",@progbits
	.p2align	6, 0x0
	.amdhsa_kernel _ZL13mul_mat_vec_qIL9ggml_type7ELi2ELb0ELb0EEvPKvS2_PKi31ggml_cuda_mm_fusion_args_devicePfj15HIP_vector_typeIjLj3EEjjjS8_jjjS8_jjjj
		.amdhsa_group_segment_fixed_size 1024
		.amdhsa_private_segment_fixed_size 0
		.amdhsa_kernarg_size 144
		.amdhsa_user_sgpr_count 6
		.amdhsa_user_sgpr_private_segment_buffer 1
		.amdhsa_user_sgpr_dispatch_ptr 0
		.amdhsa_user_sgpr_queue_ptr 0
		.amdhsa_user_sgpr_kernarg_segment_ptr 1
		.amdhsa_user_sgpr_dispatch_id 0
		.amdhsa_user_sgpr_flat_scratch_init 0
		.amdhsa_user_sgpr_private_segment_size 0
		.amdhsa_uses_dynamic_stack 0
		.amdhsa_system_sgpr_private_segment_wavefront_offset 0
		.amdhsa_system_sgpr_workgroup_id_x 1
		.amdhsa_system_sgpr_workgroup_id_y 1
		.amdhsa_system_sgpr_workgroup_id_z 1
		.amdhsa_system_sgpr_workgroup_info 0
		.amdhsa_system_vgpr_workitem_id 1
		.amdhsa_next_free_vgpr 36
		.amdhsa_next_free_sgpr 26
		.amdhsa_reserve_vcc 1
		.amdhsa_reserve_flat_scratch 0
		.amdhsa_float_round_mode_32 0
		.amdhsa_float_round_mode_16_64 0
		.amdhsa_float_denorm_mode_32 3
		.amdhsa_float_denorm_mode_16_64 3
		.amdhsa_dx10_clamp 1
		.amdhsa_ieee_mode 1
		.amdhsa_fp16_overflow 0
		.amdhsa_exception_fp_ieee_invalid_op 0
		.amdhsa_exception_fp_denorm_src 0
		.amdhsa_exception_fp_ieee_div_zero 0
		.amdhsa_exception_fp_ieee_overflow 0
		.amdhsa_exception_fp_ieee_underflow 0
		.amdhsa_exception_fp_ieee_inexact 0
		.amdhsa_exception_int_div_zero 0
	.end_amdhsa_kernel
	.section	.text._ZL13mul_mat_vec_qIL9ggml_type7ELi2ELb0ELb0EEvPKvS2_PKi31ggml_cuda_mm_fusion_args_devicePfj15HIP_vector_typeIjLj3EEjjjS8_jjjS8_jjjj,"axG",@progbits,_ZL13mul_mat_vec_qIL9ggml_type7ELi2ELb0ELb0EEvPKvS2_PKi31ggml_cuda_mm_fusion_args_devicePfj15HIP_vector_typeIjLj3EEjjjS8_jjjS8_jjjj,comdat
.Lfunc_end53:
	.size	_ZL13mul_mat_vec_qIL9ggml_type7ELi2ELb0ELb0EEvPKvS2_PKi31ggml_cuda_mm_fusion_args_devicePfj15HIP_vector_typeIjLj3EEjjjS8_jjjS8_jjjj, .Lfunc_end53-_ZL13mul_mat_vec_qIL9ggml_type7ELi2ELb0ELb0EEvPKvS2_PKi31ggml_cuda_mm_fusion_args_devicePfj15HIP_vector_typeIjLj3EEjjjS8_jjjS8_jjjj
                                        ; -- End function
	.set _ZL13mul_mat_vec_qIL9ggml_type7ELi2ELb0ELb0EEvPKvS2_PKi31ggml_cuda_mm_fusion_args_devicePfj15HIP_vector_typeIjLj3EEjjjS8_jjjS8_jjjj.num_vgpr, 36
	.set _ZL13mul_mat_vec_qIL9ggml_type7ELi2ELb0ELb0EEvPKvS2_PKi31ggml_cuda_mm_fusion_args_devicePfj15HIP_vector_typeIjLj3EEjjjS8_jjjS8_jjjj.num_agpr, 0
	.set _ZL13mul_mat_vec_qIL9ggml_type7ELi2ELb0ELb0EEvPKvS2_PKi31ggml_cuda_mm_fusion_args_devicePfj15HIP_vector_typeIjLj3EEjjjS8_jjjS8_jjjj.numbered_sgpr, 26
	.set _ZL13mul_mat_vec_qIL9ggml_type7ELi2ELb0ELb0EEvPKvS2_PKi31ggml_cuda_mm_fusion_args_devicePfj15HIP_vector_typeIjLj3EEjjjS8_jjjS8_jjjj.num_named_barrier, 0
	.set _ZL13mul_mat_vec_qIL9ggml_type7ELi2ELb0ELb0EEvPKvS2_PKi31ggml_cuda_mm_fusion_args_devicePfj15HIP_vector_typeIjLj3EEjjjS8_jjjS8_jjjj.private_seg_size, 0
	.set _ZL13mul_mat_vec_qIL9ggml_type7ELi2ELb0ELb0EEvPKvS2_PKi31ggml_cuda_mm_fusion_args_devicePfj15HIP_vector_typeIjLj3EEjjjS8_jjjS8_jjjj.uses_vcc, 1
	.set _ZL13mul_mat_vec_qIL9ggml_type7ELi2ELb0ELb0EEvPKvS2_PKi31ggml_cuda_mm_fusion_args_devicePfj15HIP_vector_typeIjLj3EEjjjS8_jjjS8_jjjj.uses_flat_scratch, 0
	.set _ZL13mul_mat_vec_qIL9ggml_type7ELi2ELb0ELb0EEvPKvS2_PKi31ggml_cuda_mm_fusion_args_devicePfj15HIP_vector_typeIjLj3EEjjjS8_jjjS8_jjjj.has_dyn_sized_stack, 0
	.set _ZL13mul_mat_vec_qIL9ggml_type7ELi2ELb0ELb0EEvPKvS2_PKi31ggml_cuda_mm_fusion_args_devicePfj15HIP_vector_typeIjLj3EEjjjS8_jjjS8_jjjj.has_recursion, 0
	.set _ZL13mul_mat_vec_qIL9ggml_type7ELi2ELb0ELb0EEvPKvS2_PKi31ggml_cuda_mm_fusion_args_devicePfj15HIP_vector_typeIjLj3EEjjjS8_jjjS8_jjjj.has_indirect_call, 0
	.section	.AMDGPU.csdata,"",@progbits
; Kernel info:
; codeLenInByte = 2140
; TotalNumSgprs: 30
; NumVgprs: 36
; ScratchSize: 0
; MemoryBound: 0
; FloatMode: 240
; IeeeMode: 1
; LDSByteSize: 1024 bytes/workgroup (compile time only)
; SGPRBlocks: 3
; VGPRBlocks: 8
; NumSGPRsForWavesPerEU: 30
; NumVGPRsForWavesPerEU: 36
; Occupancy: 7
; WaveLimiterHint : 0
; COMPUTE_PGM_RSRC2:SCRATCH_EN: 0
; COMPUTE_PGM_RSRC2:USER_SGPR: 6
; COMPUTE_PGM_RSRC2:TRAP_HANDLER: 0
; COMPUTE_PGM_RSRC2:TGID_X_EN: 1
; COMPUTE_PGM_RSRC2:TGID_Y_EN: 1
; COMPUTE_PGM_RSRC2:TGID_Z_EN: 1
; COMPUTE_PGM_RSRC2:TIDIG_COMP_CNT: 1
	.section	.text._ZL13mul_mat_vec_qIL9ggml_type7ELi3ELb0ELb0EEvPKvS2_PKi31ggml_cuda_mm_fusion_args_devicePfj15HIP_vector_typeIjLj3EEjjjS8_jjjS8_jjjj,"axG",@progbits,_ZL13mul_mat_vec_qIL9ggml_type7ELi3ELb0ELb0EEvPKvS2_PKi31ggml_cuda_mm_fusion_args_devicePfj15HIP_vector_typeIjLj3EEjjjS8_jjjS8_jjjj,comdat
	.globl	_ZL13mul_mat_vec_qIL9ggml_type7ELi3ELb0ELb0EEvPKvS2_PKi31ggml_cuda_mm_fusion_args_devicePfj15HIP_vector_typeIjLj3EEjjjS8_jjjS8_jjjj ; -- Begin function _ZL13mul_mat_vec_qIL9ggml_type7ELi3ELb0ELb0EEvPKvS2_PKi31ggml_cuda_mm_fusion_args_devicePfj15HIP_vector_typeIjLj3EEjjjS8_jjjS8_jjjj
	.p2align	8
	.type	_ZL13mul_mat_vec_qIL9ggml_type7ELi3ELb0ELb0EEvPKvS2_PKi31ggml_cuda_mm_fusion_args_devicePfj15HIP_vector_typeIjLj3EEjjjS8_jjjS8_jjjj,@function
_ZL13mul_mat_vec_qIL9ggml_type7ELi3ELb0ELb0EEvPKvS2_PKi31ggml_cuda_mm_fusion_args_devicePfj15HIP_vector_typeIjLj3EEjjjS8_jjjS8_jjjj: ; @_ZL13mul_mat_vec_qIL9ggml_type7ELi3ELb0ELb0EEvPKvS2_PKi31ggml_cuda_mm_fusion_args_devicePfj15HIP_vector_typeIjLj3EEjjjS8_jjjS8_jjjj
; %bb.0:
	v_lshlrev_b32_e32 v2, 6, v1
	s_load_dword s9, s[4:5], 0x40
	s_load_dwordx4 s[0:3], s[4:5], 0x50
	s_load_dword s25, s[4:5], 0x60
	s_load_dwordx4 s[12:15], s[4:5], 0x68
	;; [unrolled: 2-line block ×3, first 2 shown]
	v_add_u16_e32 v2, v2, v0
	s_waitcnt lgkmcnt(0)
	s_lshr_b32 s9, s9, 5
	v_lshrrev_b16_e32 v17, 1, v2
	v_mov_b32_e32 v13, 0
	s_lshl_b32 s6, s6, 1
	v_cmp_gt_u32_e32 vcc, s9, v17
	v_mov_b32_e32 v14, v13
	v_mov_b32_e32 v15, v13
	;; [unrolled: 1-line block ×5, first 2 shown]
	s_and_saveexec_b64 s[10:11], vcc
	s_cbranch_execz .LBB54_4
; %bb.1:
	s_load_dwordx4 s[20:23], s[4:5], 0x0
	s_mul_i32 s17, s17, s8
	s_mul_hi_u32 s19, s17, 36
	s_mul_i32 s17, s17, 36
	s_mul_i32 s13, s13, s7
	s_waitcnt lgkmcnt(0)
	s_add_u32 s17, s22, s17
	s_addc_u32 s19, s23, s19
	s_mul_hi_u32 s23, s13, 36
	s_mul_i32 s13, s13, 36
	s_add_u32 s22, s17, s13
	s_mul_hi_u32 s3, s3, s7
	s_addc_u32 s23, s19, s23
	s_add_i32 s3, s7, s3
	s_lshr_b32 s3, s3, s25
	s_mul_i32 s3, s3, s12
	s_mul_hi_u32 s12, s15, s8
	s_add_i32 s12, s8, s12
	s_lshr_b32 s12, s12, s24
	s_mul_i32 s12, s12, s16
	v_lshlrev_b32_e32 v3, 1, v0
	s_add_i32 s13, s6, 1
	v_and_b32_e32 v4, 2, v3
	s_add_i32 s12, s12, s3
	s_mul_i32 s3, s6, s0
	s_mul_i32 s0, s0, s13
	v_and_b32_e32 v3, 1, v0
	v_lshrrev_b16_e32 v2, 1, v2
	s_add_i32 s3, s12, s3
	s_add_i32 s0, s12, s0
	v_lshlrev_b32_e32 v20, 3, v3
	v_mad_u64_u32 v[2:3], s[12:13], v2, 36, s[22:23]
	v_mov_b32_e32 v11, 0
	v_lshlrev_b32_e32 v18, 2, v4
	v_or_b32_e32 v19, 4, v18
	s_lshl_b32 s15, s1, 1
	s_mov_b64 s[12:13], 0
	v_lshlrev_b32_e32 v21, 2, v4
	v_mov_b32_e32 v12, v11
	v_mov_b32_e32 v13, v11
	v_mov_b32_e32 v14, v11
	v_mov_b32_e32 v15, v11
	v_mov_b32_e32 v16, v11
.LBB54_2:                               ; =>This Inner Loop Header: Depth=1
	v_add_u32_e32 v6, s3, v17
	v_mad_i64_i32 v[22:23], s[16:17], v6, 24, s[20:21]
	v_add_co_u32_e32 v4, vcc, v2, v20
	v_addc_co_u32_e32 v5, vcc, 0, v3, vcc
	global_load_dwordx2 v[9:10], v[4:5], off offset:4
	global_load_dwordx2 v[7:8], v[4:5], off offset:20
	global_load_dword v26, v[2:3], off
	s_nop 0
	global_load_dwordx2 v[4:5], v[22:23], off
	v_add_co_u32_e32 v22, vcc, v22, v21
	v_addc_co_u32_e32 v23, vcc, 0, v23, vcc
	global_load_dwordx2 v[24:25], v[22:23], off offset:8
	s_waitcnt vmcnt(1)
	v_ashrrev_i32_e32 v6, v18, v5
	v_lshlrev_b32_e32 v23, 4, v6
	v_lshlrev_b32_e32 v27, 11, v6
	v_and_b32_e32 v23, 16, v23
	v_and_b32_e32 v27, 0x1000, v27
	s_waitcnt vmcnt(0)
	v_and_b32_e32 v22, 0xf0f0f0f, v24
	v_or3_b32 v22, v23, v22, v27
	v_lshlrev_b32_e32 v23, 18, v6
	v_lshlrev_b32_e32 v27, 25, v6
	v_and_b32_e32 v23, 0x100000, v23
	v_and_b32_e32 v27, 0x10000000, v27
	v_or3_b32 v22, v22, v23, v27
	v_lshrrev_b32_e32 v23, 4, v24
	v_lshrrev_b32_e32 v24, 12, v6
	;; [unrolled: 1-line block ×3, first 2 shown]
	v_lshlrev_b32_e32 v29, 2, v6
	v_and_b32_e32 v24, 16, v24
	v_and_b32_e32 v28, 0x1000, v28
	v_and_b32_e32 v29, 0x100000, v29
	v_lshlrev_b32_e32 v6, 9, v6
	v_and_b32_e32 v23, 0xf0f0f0f, v23
	v_and_b32_e32 v6, 0x10000000, v6
	v_or3_b32 v24, v28, v24, v29
	v_ashrrev_i32_e32 v5, v19, v5
	v_dot4_i32_i8 v27, v22, v9, 0
	v_or3_b32 v23, v24, v6, v23
	v_dot4_i32_i8 v6, v23, v7, v27
	v_lshlrev_b32_e32 v27, 4, v5
	v_lshlrev_b32_e32 v28, 11, v5
	;; [unrolled: 1-line block ×3, first 2 shown]
	v_and_b32_e32 v27, 16, v27
	v_and_b32_e32 v28, 0x1000, v28
	;; [unrolled: 1-line block ×3, first 2 shown]
	v_lshlrev_b32_e32 v30, 25, v5
	v_and_b32_e32 v24, 0xf0f0f0f, v25
	v_and_b32_e32 v30, 0x10000000, v30
	v_or3_b32 v27, v28, v27, v29
	v_or3_b32 v24, v27, v30, v24
	v_lshrrev_b32_e32 v27, 12, v5
	v_lshrrev_b32_e32 v28, 5, v5
	v_lshlrev_b32_e32 v29, 2, v5
	v_lshrrev_b32_e32 v25, 4, v25
	v_and_b32_e32 v27, 16, v27
	v_and_b32_e32 v28, 0x1000, v28
	;; [unrolled: 1-line block ×3, first 2 shown]
	v_lshlrev_b32_e32 v5, 9, v5
	v_and_b32_e32 v25, 0xf0f0f0f, v25
	v_and_b32_e32 v5, 0x10000000, v5
	v_or3_b32 v27, v28, v27, v29
	v_dot4_i32_i8 v6, v24, v10, v6
	v_or3_b32 v25, v27, v5, v25
	v_dot4_i32_i8 v5, v25, v8, v6
	v_pk_mul_f16 v6, v4, v26
	v_cvt_f32_f16_sdwa v27, v6 dst_sel:DWORD dst_unused:UNUSED_PAD src0_sel:WORD_1
	v_cvt_f32_i32_e32 v5, v5
	v_mul_f32_e32 v27, 0.5, v27
	v_fma_mix_f32 v5, v5, v6, v27 op_sel_hi:[0,1,0]
	v_add_f32_e32 v16, v16, v5
	v_add_u32_e32 v5, s0, v17
	v_mad_i64_i32 v[27:28], s[16:17], v5, 24, s[20:21]
	global_load_dwordx2 v[5:6], v[27:28], off
	v_add_co_u32_e32 v27, vcc, v27, v21
	v_addc_co_u32_e32 v28, vcc, 0, v28, vcc
	global_load_dwordx2 v[27:28], v[27:28], off offset:8
	s_waitcnt vmcnt(1)
	v_ashrrev_i32_e32 v29, v18, v6
	v_lshlrev_b32_e32 v31, 4, v29
	v_lshlrev_b32_e32 v32, 11, v29
	v_and_b32_e32 v31, 16, v31
	v_and_b32_e32 v32, 0x1000, v32
	s_waitcnt vmcnt(0)
	v_and_b32_e32 v30, 0xf0f0f0f, v27
	v_or3_b32 v30, v31, v30, v32
	v_lshlrev_b32_e32 v31, 18, v29
	v_lshlrev_b32_e32 v32, 25, v29
	v_and_b32_e32 v31, 0x100000, v31
	v_and_b32_e32 v32, 0x10000000, v32
	v_or3_b32 v30, v30, v31, v32
	v_lshrrev_b32_e32 v31, 12, v29
	v_lshrrev_b32_e32 v32, 5, v29
	v_lshlrev_b32_e32 v33, 2, v29
	v_lshrrev_b32_e32 v27, 4, v27
	v_and_b32_e32 v31, 16, v31
	v_and_b32_e32 v32, 0x1000, v32
	v_and_b32_e32 v33, 0x100000, v33
	v_lshlrev_b32_e32 v29, 9, v29
	v_ashrrev_i32_e32 v6, v19, v6
	v_and_b32_e32 v27, 0xf0f0f0f, v27
	v_and_b32_e32 v29, 0x10000000, v29
	v_or3_b32 v31, v32, v31, v33
	v_or3_b32 v31, v31, v29, v27
	v_lshlrev_b32_e32 v27, 4, v6
	v_lshlrev_b32_e32 v29, 11, v6
	;; [unrolled: 1-line block ×3, first 2 shown]
	v_dot4_i32_i8 v9, v30, v9, 0
	v_and_b32_e32 v27, 16, v27
	v_and_b32_e32 v29, 0x1000, v29
	;; [unrolled: 1-line block ×3, first 2 shown]
	v_lshlrev_b32_e32 v33, 25, v6
	v_dot4_i32_i8 v7, v31, v7, v9
	v_and_b32_e32 v9, 0xf0f0f0f, v28
	v_and_b32_e32 v33, 0x10000000, v33
	v_or3_b32 v27, v29, v27, v32
	v_or3_b32 v32, v27, v33, v9
	v_dot4_i32_i8 v7, v32, v10, v7
	v_lshrrev_b32_e32 v9, 4, v28
	v_lshrrev_b32_e32 v10, 12, v6
	;; [unrolled: 1-line block ×3, first 2 shown]
	v_lshlrev_b32_e32 v28, 2, v6
	v_and_b32_e32 v10, 16, v10
	v_and_b32_e32 v27, 0x1000, v27
	v_and_b32_e32 v28, 0x100000, v28
	v_lshlrev_b32_e32 v6, 9, v6
	v_and_b32_e32 v9, 0xf0f0f0f, v9
	v_and_b32_e32 v6, 0x10000000, v6
	v_or3_b32 v10, v27, v10, v28
	v_or3_b32 v10, v10, v6, v9
	v_dot4_i32_i8 v6, v10, v8, v7
	v_pk_mul_f16 v7, v5, v26
	v_cvt_f32_f16_sdwa v8, v7 dst_sel:DWORD dst_unused:UNUSED_PAD src0_sel:WORD_1
	v_cvt_f32_i32_e32 v6, v6
	v_mul_f32_e32 v8, 0.5, v8
	v_fma_mix_f32 v6, v6, v7, v8 op_sel_hi:[0,1,0]
	v_add_f32_e32 v15, v15, v6
	v_add_u32_e32 v6, s1, v17
	v_mad_u64_u32 v[6:7], s[16:17], v6, 36, s[22:23]
	v_add_co_u32_e32 v8, vcc, v6, v21
	v_addc_co_u32_e32 v9, vcc, 0, v7, vcc
	global_load_dwordx2 v[26:27], v[8:9], off offset:4
	global_load_dwordx2 v[28:29], v[8:9], off offset:20
	global_load_dword v33, v[6:7], off
	s_waitcnt vmcnt(2)
	v_dot4_i32_i8 v6, v22, v26, 0
	s_waitcnt vmcnt(1)
	v_dot4_i32_i8 v6, v23, v28, v6
	v_dot4_i32_i8 v6, v24, v27, v6
	s_waitcnt vmcnt(0)
	v_pk_mul_f16 v7, v4, v33
	v_dot4_i32_i8 v6, v25, v29, v6
	v_cvt_f32_f16_sdwa v8, v7 dst_sel:DWORD dst_unused:UNUSED_PAD src0_sel:WORD_1
	v_cvt_f32_i32_e32 v6, v6
	v_mul_f32_e32 v8, 0.5, v8
	v_fma_mix_f32 v6, v6, v7, v8 op_sel_hi:[0,1,0]
	v_add_f32_e32 v14, v14, v6
	v_dot4_i32_i8 v6, v30, v26, 0
	v_dot4_i32_i8 v6, v31, v28, v6
	;; [unrolled: 1-line block ×3, first 2 shown]
	v_pk_mul_f16 v7, v5, v33
	v_dot4_i32_i8 v6, v10, v29, v6
	v_cvt_f32_f16_sdwa v8, v7 dst_sel:DWORD dst_unused:UNUSED_PAD src0_sel:WORD_1
	v_cvt_f32_i32_e32 v6, v6
	v_mul_f32_e32 v8, 0.5, v8
	v_fma_mix_f32 v6, v6, v7, v8 op_sel_hi:[0,1,0]
	v_add_f32_e32 v13, v13, v6
	v_add_u32_e32 v6, s15, v17
	v_mad_u64_u32 v[6:7], s[16:17], v6, 36, s[22:23]
	v_add_u32_e32 v17, 64, v17
	v_add_co_u32_e32 v8, vcc, v6, v21
	v_addc_co_u32_e32 v9, vcc, 0, v7, vcc
	global_load_dwordx2 v[26:27], v[8:9], off offset:4
	global_load_dwordx2 v[28:29], v[8:9], off offset:20
	global_load_dword v33, v[6:7], off
	v_add_co_u32_e32 v2, vcc, 0x900, v2
	v_addc_co_u32_e32 v3, vcc, 0, v3, vcc
	v_cmp_le_u32_e32 vcc, s9, v17
	s_or_b64 s[12:13], vcc, s[12:13]
	s_waitcnt vmcnt(2)
	v_dot4_i32_i8 v6, v22, v26, 0
	s_waitcnt vmcnt(1)
	v_dot4_i32_i8 v6, v23, v28, v6
	v_dot4_i32_i8 v6, v24, v27, v6
	s_waitcnt vmcnt(0)
	v_pk_mul_f16 v4, v4, v33
	v_dot4_i32_i8 v6, v25, v29, v6
	v_cvt_f32_f16_sdwa v7, v4 dst_sel:DWORD dst_unused:UNUSED_PAD src0_sel:WORD_1
	v_cvt_f32_i32_e32 v6, v6
	v_pk_mul_f16 v5, v5, v33
	v_mul_f32_e32 v7, 0.5, v7
	v_fma_mix_f32 v4, v6, v4, v7 op_sel_hi:[0,1,0]
	v_add_f32_e32 v12, v12, v4
	v_dot4_i32_i8 v4, v30, v26, 0
	v_dot4_i32_i8 v4, v31, v28, v4
	;; [unrolled: 1-line block ×4, first 2 shown]
	v_cvt_f32_f16_sdwa v6, v5 dst_sel:DWORD dst_unused:UNUSED_PAD src0_sel:WORD_1
	v_cvt_f32_i32_e32 v4, v4
	v_mul_f32_e32 v6, 0.5, v6
	v_fma_mix_f32 v4, v4, v5, v6 op_sel_hi:[0,1,0]
	v_add_f32_e32 v11, v11, v4
	s_andn2_b64 exec, exec, s[12:13]
	s_cbranch_execnz .LBB54_2
; %bb.3:
	s_or_b64 exec, exec, s[12:13]
.LBB54_4:
	s_or_b64 exec, exec, s[10:11]
	v_cmp_eq_u32_e32 vcc, 0, v1
	v_cmp_ne_u32_e64 s[0:1], 0, v1
	s_and_saveexec_b64 s[10:11], s[0:1]
	s_cbranch_execz .LBB54_6
; %bb.5:
	v_mul_u32_u24_e32 v1, 0x600, v1
	v_lshl_or_b32 v1, v0, 2, v1
	v_add_u32_e32 v1, 0xfffffa00, v1
	ds_write2st64_b32 v1, v16, v15 offset1:1
	ds_write2st64_b32 v1, v14, v13 offset0:2 offset1:3
	ds_write2st64_b32 v1, v12, v11 offset0:4 offset1:5
.LBB54_6:
	s_or_b64 exec, exec, s[10:11]
	s_waitcnt lgkmcnt(0)
	s_barrier
	s_and_saveexec_b64 s[0:1], vcc
	s_cbranch_execz .LBB54_13
; %bb.7:
	v_lshlrev_b32_e32 v3, 2, v0
	v_mbcnt_lo_u32_b32 v1, -1, 0
	v_mbcnt_hi_u32_b32 v7, -1, v1
	ds_read2st64_b32 v[5:6], v3 offset1:1
	v_and_b32_e32 v1, 64, v7
	v_add_u32_e32 v8, 64, v1
	v_xor_b32_e32 v1, 32, v7
	v_cmp_lt_i32_e32 vcc, v1, v8
	v_cndmask_b32_e32 v1, v7, v1, vcc
	v_lshlrev_b32_e32 v1, 2, v1
	s_waitcnt lgkmcnt(0)
	v_add_f32_e32 v10, v5, v16
	v_add_f32_e32 v6, v6, v15
	ds_bpermute_b32 v16, v1, v10
	ds_bpermute_b32 v15, v1, v6
	v_xor_b32_e32 v2, 16, v7
	v_cmp_lt_i32_e32 vcc, v2, v8
	v_cndmask_b32_e32 v2, v7, v2, vcc
	v_lshlrev_b32_e32 v2, 2, v2
	s_waitcnt lgkmcnt(1)
	v_add_f32_e32 v10, v10, v16
	s_waitcnt lgkmcnt(0)
	v_add_f32_e32 v6, v6, v15
	ds_bpermute_b32 v16, v2, v10
	ds_bpermute_b32 v15, v2, v6
	v_xor_b32_e32 v4, 8, v7
	v_cmp_lt_i32_e32 vcc, v4, v8
	v_cndmask_b32_e32 v4, v7, v4, vcc
	v_lshlrev_b32_e32 v4, 2, v4
	s_waitcnt lgkmcnt(1)
	v_add_f32_e32 v10, v10, v16
	s_waitcnt lgkmcnt(0)
	;; [unrolled: 10-line block ×3, first 2 shown]
	v_add_f32_e32 v15, v15, v17
	ds_bpermute_b32 v16, v5, v10
	ds_bpermute_b32 v17, v5, v15
	v_xor_b32_e32 v9, 2, v7
	v_cmp_lt_i32_e32 vcc, v9, v8
	v_cndmask_b32_e32 v9, v7, v9, vcc
	v_lshlrev_b32_e32 v6, 2, v9
	v_xor_b32_e32 v9, 1, v7
	v_cmp_lt_i32_e32 vcc, v9, v8
	s_waitcnt lgkmcnt(1)
	v_add_f32_e32 v8, v10, v16
	s_waitcnt lgkmcnt(0)
	v_add_f32_e32 v15, v15, v17
	ds_bpermute_b32 v10, v6, v8
	ds_bpermute_b32 v16, v6, v15
	s_load_dwordx2 s[0:1], s[4:5], 0x38
	v_cndmask_b32_e32 v7, v7, v9, vcc
	s_mul_i32 s4, s14, s7
	v_lshlrev_b32_e32 v9, 2, v7
	s_waitcnt lgkmcnt(0)
	v_add_f32_e32 v7, v8, v10
	v_add_f32_e32 v10, v15, v16
	s_mul_i32 s3, s18, s8
	s_add_i32 s4, s4, s6
	ds_bpermute_b32 v8, v9, v7
	ds_bpermute_b32 v15, v9, v10
	s_add_i32 s4, s4, s3
	s_mov_b32 s5, 0
	s_lshl_b64 s[4:5], s[4:5], 2
	s_add_u32 s4, s0, s4
	v_add_u32_e32 v16, s6, v0
	s_addc_u32 s5, s1, s5
	v_cmp_gt_u32_e32 vcc, 2, v0
	v_cmp_gt_u32_e64 s[0:1], s2, v16
	s_and_b64 s[0:1], vcc, s[0:1]
	s_waitcnt lgkmcnt(1)
	v_add_f32_e32 v7, v7, v8
	s_waitcnt lgkmcnt(0)
	v_add_f32_e32 v8, v10, v15
	s_and_saveexec_b64 s[6:7], s[0:1]
	s_cbranch_execz .LBB54_9
; %bb.8:
	v_cmp_eq_u32_e32 vcc, 1, v0
	v_cndmask_b32_e32 v10, v7, v8, vcc
	v_cmp_eq_u32_e32 vcc, 2, v0
	v_cndmask_b32_e32 v10, v10, v14, vcc
	;; [unrolled: 2-line block ×5, first 2 shown]
	global_store_dword v3, v10, s[4:5]
.LBB54_9:
	s_or_b64 exec, exec, s[6:7]
	ds_read2st64_b32 v[15:16], v3 offset0:2 offset1:3
	s_waitcnt lgkmcnt(0)
	v_add_f32_e32 v10, v15, v14
	v_add_f32_e32 v13, v16, v13
	ds_bpermute_b32 v14, v1, v10
	ds_bpermute_b32 v15, v1, v13
	s_waitcnt lgkmcnt(1)
	v_add_f32_e32 v10, v10, v14
	s_waitcnt lgkmcnt(0)
	v_add_f32_e32 v13, v13, v15
	ds_bpermute_b32 v14, v2, v10
	ds_bpermute_b32 v15, v2, v13
	s_waitcnt lgkmcnt(1)
	v_add_f32_e32 v10, v10, v14
	s_waitcnt lgkmcnt(0)
	;; [unrolled: 6-line block ×6, first 2 shown]
	v_add_f32_e32 v10, v14, v15
	s_and_saveexec_b64 s[6:7], s[0:1]
	s_cbranch_execz .LBB54_11
; %bb.10:
	v_add_u32_e32 v14, 2, v0
	v_cmp_eq_u32_e32 vcc, 1, v14
	v_cndmask_b32_e32 v15, v7, v8, vcc
	v_cmp_eq_u32_e32 vcc, 2, v14
	v_cndmask_b32_e32 v15, v15, v13, vcc
	;; [unrolled: 2-line block ×5, first 2 shown]
	v_add_u32_e32 v14, s2, v0
	v_mov_b32_e32 v15, 0
	v_lshlrev_b64 v[14:15], 2, v[14:15]
	v_mov_b32_e32 v17, s5
	v_add_co_u32_e32 v14, vcc, s4, v14
	v_addc_co_u32_e32 v15, vcc, v17, v15, vcc
	global_store_dword v[14:15], v16, off
.LBB54_11:
	s_or_b64 exec, exec, s[6:7]
	ds_read2st64_b32 v[14:15], v3 offset0:4 offset1:5
	s_waitcnt lgkmcnt(0)
	v_add_f32_e32 v3, v14, v12
	v_add_f32_e32 v11, v15, v11
	ds_bpermute_b32 v12, v1, v3
	ds_bpermute_b32 v1, v1, v11
	s_waitcnt lgkmcnt(1)
	v_add_f32_e32 v3, v3, v12
	s_waitcnt lgkmcnt(0)
	v_add_f32_e32 v1, v11, v1
	ds_bpermute_b32 v11, v2, v3
	ds_bpermute_b32 v2, v2, v1
	s_waitcnt lgkmcnt(1)
	v_add_f32_e32 v3, v3, v11
	s_waitcnt lgkmcnt(0)
	v_add_f32_e32 v1, v1, v2
	ds_bpermute_b32 v2, v4, v3
	ds_bpermute_b32 v4, v4, v1
	s_waitcnt lgkmcnt(1)
	v_add_f32_e32 v2, v3, v2
	s_waitcnt lgkmcnt(0)
	v_add_f32_e32 v1, v1, v4
	ds_bpermute_b32 v3, v5, v2
	ds_bpermute_b32 v4, v5, v1
	s_waitcnt lgkmcnt(1)
	v_add_f32_e32 v2, v2, v3
	s_waitcnt lgkmcnt(0)
	v_add_f32_e32 v3, v1, v4
	ds_bpermute_b32 v1, v6, v2
	ds_bpermute_b32 v4, v6, v3
	s_waitcnt lgkmcnt(1)
	v_add_f32_e32 v1, v2, v1
	s_waitcnt lgkmcnt(0)
	v_add_f32_e32 v2, v3, v4
	ds_bpermute_b32 v3, v9, v1
	ds_bpermute_b32 v4, v9, v2
	s_and_b64 exec, exec, s[0:1]
	s_cbranch_execz .LBB54_13
; %bb.12:
	s_waitcnt lgkmcnt(1)
	v_add_f32_e32 v1, v1, v3
	v_add_u32_e32 v3, 4, v0
	v_cmp_eq_u32_e32 vcc, 1, v3
	s_waitcnt lgkmcnt(0)
	v_add_f32_e32 v2, v2, v4
	v_cndmask_b32_e32 v4, v7, v8, vcc
	v_cmp_eq_u32_e32 vcc, 2, v3
	v_cndmask_b32_e32 v4, v4, v13, vcc
	v_cmp_eq_u32_e32 vcc, 3, v3
	;; [unrolled: 2-line block ×4, first 2 shown]
	v_cndmask_b32_e32 v2, v1, v2, vcc
	v_lshl_or_b32 v0, s2, 1, v0
	v_mov_b32_e32 v1, 0
	v_lshlrev_b64 v[0:1], 2, v[0:1]
	v_mov_b32_e32 v3, s5
	v_add_co_u32_e32 v0, vcc, s4, v0
	v_addc_co_u32_e32 v1, vcc, v3, v1, vcc
	global_store_dword v[0:1], v2, off
.LBB54_13:
	s_endpgm
	.section	.rodata,"a",@progbits
	.p2align	6, 0x0
	.amdhsa_kernel _ZL13mul_mat_vec_qIL9ggml_type7ELi3ELb0ELb0EEvPKvS2_PKi31ggml_cuda_mm_fusion_args_devicePfj15HIP_vector_typeIjLj3EEjjjS8_jjjS8_jjjj
		.amdhsa_group_segment_fixed_size 1536
		.amdhsa_private_segment_fixed_size 0
		.amdhsa_kernarg_size 144
		.amdhsa_user_sgpr_count 6
		.amdhsa_user_sgpr_private_segment_buffer 1
		.amdhsa_user_sgpr_dispatch_ptr 0
		.amdhsa_user_sgpr_queue_ptr 0
		.amdhsa_user_sgpr_kernarg_segment_ptr 1
		.amdhsa_user_sgpr_dispatch_id 0
		.amdhsa_user_sgpr_flat_scratch_init 0
		.amdhsa_user_sgpr_private_segment_size 0
		.amdhsa_uses_dynamic_stack 0
		.amdhsa_system_sgpr_private_segment_wavefront_offset 0
		.amdhsa_system_sgpr_workgroup_id_x 1
		.amdhsa_system_sgpr_workgroup_id_y 1
		.amdhsa_system_sgpr_workgroup_id_z 1
		.amdhsa_system_sgpr_workgroup_info 0
		.amdhsa_system_vgpr_workitem_id 1
		.amdhsa_next_free_vgpr 34
		.amdhsa_next_free_sgpr 26
		.amdhsa_reserve_vcc 1
		.amdhsa_reserve_flat_scratch 0
		.amdhsa_float_round_mode_32 0
		.amdhsa_float_round_mode_16_64 0
		.amdhsa_float_denorm_mode_32 3
		.amdhsa_float_denorm_mode_16_64 3
		.amdhsa_dx10_clamp 1
		.amdhsa_ieee_mode 1
		.amdhsa_fp16_overflow 0
		.amdhsa_exception_fp_ieee_invalid_op 0
		.amdhsa_exception_fp_denorm_src 0
		.amdhsa_exception_fp_ieee_div_zero 0
		.amdhsa_exception_fp_ieee_overflow 0
		.amdhsa_exception_fp_ieee_underflow 0
		.amdhsa_exception_fp_ieee_inexact 0
		.amdhsa_exception_int_div_zero 0
	.end_amdhsa_kernel
	.section	.text._ZL13mul_mat_vec_qIL9ggml_type7ELi3ELb0ELb0EEvPKvS2_PKi31ggml_cuda_mm_fusion_args_devicePfj15HIP_vector_typeIjLj3EEjjjS8_jjjS8_jjjj,"axG",@progbits,_ZL13mul_mat_vec_qIL9ggml_type7ELi3ELb0ELb0EEvPKvS2_PKi31ggml_cuda_mm_fusion_args_devicePfj15HIP_vector_typeIjLj3EEjjjS8_jjjS8_jjjj,comdat
.Lfunc_end54:
	.size	_ZL13mul_mat_vec_qIL9ggml_type7ELi3ELb0ELb0EEvPKvS2_PKi31ggml_cuda_mm_fusion_args_devicePfj15HIP_vector_typeIjLj3EEjjjS8_jjjS8_jjjj, .Lfunc_end54-_ZL13mul_mat_vec_qIL9ggml_type7ELi3ELb0ELb0EEvPKvS2_PKi31ggml_cuda_mm_fusion_args_devicePfj15HIP_vector_typeIjLj3EEjjjS8_jjjS8_jjjj
                                        ; -- End function
	.set _ZL13mul_mat_vec_qIL9ggml_type7ELi3ELb0ELb0EEvPKvS2_PKi31ggml_cuda_mm_fusion_args_devicePfj15HIP_vector_typeIjLj3EEjjjS8_jjjS8_jjjj.num_vgpr, 34
	.set _ZL13mul_mat_vec_qIL9ggml_type7ELi3ELb0ELb0EEvPKvS2_PKi31ggml_cuda_mm_fusion_args_devicePfj15HIP_vector_typeIjLj3EEjjjS8_jjjS8_jjjj.num_agpr, 0
	.set _ZL13mul_mat_vec_qIL9ggml_type7ELi3ELb0ELb0EEvPKvS2_PKi31ggml_cuda_mm_fusion_args_devicePfj15HIP_vector_typeIjLj3EEjjjS8_jjjS8_jjjj.numbered_sgpr, 26
	.set _ZL13mul_mat_vec_qIL9ggml_type7ELi3ELb0ELb0EEvPKvS2_PKi31ggml_cuda_mm_fusion_args_devicePfj15HIP_vector_typeIjLj3EEjjjS8_jjjS8_jjjj.num_named_barrier, 0
	.set _ZL13mul_mat_vec_qIL9ggml_type7ELi3ELb0ELb0EEvPKvS2_PKi31ggml_cuda_mm_fusion_args_devicePfj15HIP_vector_typeIjLj3EEjjjS8_jjjS8_jjjj.private_seg_size, 0
	.set _ZL13mul_mat_vec_qIL9ggml_type7ELi3ELb0ELb0EEvPKvS2_PKi31ggml_cuda_mm_fusion_args_devicePfj15HIP_vector_typeIjLj3EEjjjS8_jjjS8_jjjj.uses_vcc, 1
	.set _ZL13mul_mat_vec_qIL9ggml_type7ELi3ELb0ELb0EEvPKvS2_PKi31ggml_cuda_mm_fusion_args_devicePfj15HIP_vector_typeIjLj3EEjjjS8_jjjS8_jjjj.uses_flat_scratch, 0
	.set _ZL13mul_mat_vec_qIL9ggml_type7ELi3ELb0ELb0EEvPKvS2_PKi31ggml_cuda_mm_fusion_args_devicePfj15HIP_vector_typeIjLj3EEjjjS8_jjjS8_jjjj.has_dyn_sized_stack, 0
	.set _ZL13mul_mat_vec_qIL9ggml_type7ELi3ELb0ELb0EEvPKvS2_PKi31ggml_cuda_mm_fusion_args_devicePfj15HIP_vector_typeIjLj3EEjjjS8_jjjS8_jjjj.has_recursion, 0
	.set _ZL13mul_mat_vec_qIL9ggml_type7ELi3ELb0ELb0EEvPKvS2_PKi31ggml_cuda_mm_fusion_args_devicePfj15HIP_vector_typeIjLj3EEjjjS8_jjjS8_jjjj.has_indirect_call, 0
	.section	.AMDGPU.csdata,"",@progbits
; Kernel info:
; codeLenInByte = 2700
; TotalNumSgprs: 30
; NumVgprs: 34
; ScratchSize: 0
; MemoryBound: 0
; FloatMode: 240
; IeeeMode: 1
; LDSByteSize: 1536 bytes/workgroup (compile time only)
; SGPRBlocks: 3
; VGPRBlocks: 8
; NumSGPRsForWavesPerEU: 30
; NumVGPRsForWavesPerEU: 34
; Occupancy: 7
; WaveLimiterHint : 0
; COMPUTE_PGM_RSRC2:SCRATCH_EN: 0
; COMPUTE_PGM_RSRC2:USER_SGPR: 6
; COMPUTE_PGM_RSRC2:TRAP_HANDLER: 0
; COMPUTE_PGM_RSRC2:TGID_X_EN: 1
; COMPUTE_PGM_RSRC2:TGID_Y_EN: 1
; COMPUTE_PGM_RSRC2:TGID_Z_EN: 1
; COMPUTE_PGM_RSRC2:TIDIG_COMP_CNT: 1
	.section	.text._ZL13mul_mat_vec_qIL9ggml_type7ELi4ELb0ELb0EEvPKvS2_PKi31ggml_cuda_mm_fusion_args_devicePfj15HIP_vector_typeIjLj3EEjjjS8_jjjS8_jjjj,"axG",@progbits,_ZL13mul_mat_vec_qIL9ggml_type7ELi4ELb0ELb0EEvPKvS2_PKi31ggml_cuda_mm_fusion_args_devicePfj15HIP_vector_typeIjLj3EEjjjS8_jjjS8_jjjj,comdat
	.globl	_ZL13mul_mat_vec_qIL9ggml_type7ELi4ELb0ELb0EEvPKvS2_PKi31ggml_cuda_mm_fusion_args_devicePfj15HIP_vector_typeIjLj3EEjjjS8_jjjS8_jjjj ; -- Begin function _ZL13mul_mat_vec_qIL9ggml_type7ELi4ELb0ELb0EEvPKvS2_PKi31ggml_cuda_mm_fusion_args_devicePfj15HIP_vector_typeIjLj3EEjjjS8_jjjS8_jjjj
	.p2align	8
	.type	_ZL13mul_mat_vec_qIL9ggml_type7ELi4ELb0ELb0EEvPKvS2_PKi31ggml_cuda_mm_fusion_args_devicePfj15HIP_vector_typeIjLj3EEjjjS8_jjjS8_jjjj,@function
_ZL13mul_mat_vec_qIL9ggml_type7ELi4ELb0ELb0EEvPKvS2_PKi31ggml_cuda_mm_fusion_args_devicePfj15HIP_vector_typeIjLj3EEjjjS8_jjjS8_jjjj: ; @_ZL13mul_mat_vec_qIL9ggml_type7ELi4ELb0ELb0EEvPKvS2_PKi31ggml_cuda_mm_fusion_args_devicePfj15HIP_vector_typeIjLj3EEjjjS8_jjjS8_jjjj
; %bb.0:
	v_lshlrev_b32_e32 v2, 6, v1
	s_load_dword s9, s[4:5], 0x40
	s_load_dwordx4 s[0:3], s[4:5], 0x50
	s_load_dword s25, s[4:5], 0x60
	s_load_dwordx4 s[12:15], s[4:5], 0x68
	s_load_dword s24, s[4:5], 0x78
	s_load_dwordx4 s[16:19], s[4:5], 0x80
	v_add_u16_e32 v2, v2, v0
	s_waitcnt lgkmcnt(0)
	s_lshr_b32 s9, s9, 5
	v_lshrrev_b16_e32 v19, 1, v2
	v_mov_b32_e32 v13, 0
	s_lshl_b32 s6, s6, 1
	v_cmp_gt_u32_e32 vcc, s9, v19
	v_mov_b32_e32 v14, v13
	v_mov_b32_e32 v15, v13
	;; [unrolled: 1-line block ×7, first 2 shown]
	s_and_saveexec_b64 s[10:11], vcc
	s_cbranch_execz .LBB55_4
; %bb.1:
	s_load_dwordx4 s[20:23], s[4:5], 0x0
	s_mul_i32 s17, s17, s8
	s_mul_hi_u32 s19, s17, 36
	s_mul_i32 s17, s17, 36
	s_mul_i32 s13, s13, s7
	s_waitcnt lgkmcnt(0)
	s_add_u32 s17, s22, s17
	s_addc_u32 s19, s23, s19
	s_mul_hi_u32 s23, s13, 36
	s_mul_i32 s13, s13, 36
	s_add_u32 s22, s17, s13
	s_mul_hi_u32 s3, s3, s7
	s_addc_u32 s23, s19, s23
	s_add_i32 s3, s7, s3
	s_lshr_b32 s3, s3, s25
	s_mul_i32 s3, s3, s12
	s_mul_hi_u32 s12, s15, s8
	s_add_i32 s12, s8, s12
	s_lshr_b32 s12, s12, s24
	s_mul_i32 s12, s12, s16
	v_lshlrev_b32_e32 v3, 1, v0
	s_add_i32 s13, s6, 1
	v_and_b32_e32 v4, 2, v3
	s_add_i32 s12, s12, s3
	s_mul_i32 s3, s6, s0
	s_mul_i32 s0, s0, s13
	v_and_b32_e32 v3, 1, v0
	v_lshrrev_b16_e32 v2, 1, v2
	s_add_i32 s3, s12, s3
	s_add_i32 s0, s12, s0
	v_lshlrev_b32_e32 v22, 3, v3
	v_mad_u64_u32 v[2:3], s[12:13], v2, 36, s[22:23]
	v_mov_b32_e32 v11, 0
	v_lshlrev_b32_e32 v20, 2, v4
	v_or_b32_e32 v21, 4, v20
	s_lshl_b32 s15, s1, 1
	s_mul_i32 s16, s1, 3
	s_mov_b64 s[12:13], 0
	v_lshlrev_b32_e32 v23, 2, v4
	v_mov_b32_e32 v12, v11
	v_mov_b32_e32 v13, v11
	;; [unrolled: 1-line block ×7, first 2 shown]
.LBB55_2:                               ; =>This Inner Loop Header: Depth=1
	v_add_u32_e32 v6, s3, v19
	v_mad_i64_i32 v[24:25], s[24:25], v6, 24, s[20:21]
	v_add_co_u32_e32 v4, vcc, v2, v22
	v_addc_co_u32_e32 v5, vcc, 0, v3, vcc
	global_load_dwordx2 v[9:10], v[4:5], off offset:4
	global_load_dwordx2 v[7:8], v[4:5], off offset:20
	global_load_dword v28, v[2:3], off
	s_nop 0
	global_load_dwordx2 v[4:5], v[24:25], off
	v_add_co_u32_e32 v24, vcc, v24, v23
	v_addc_co_u32_e32 v25, vcc, 0, v25, vcc
	global_load_dwordx2 v[26:27], v[24:25], off offset:8
	s_waitcnt vmcnt(1)
	v_ashrrev_i32_e32 v6, v20, v5
	v_lshlrev_b32_e32 v25, 4, v6
	v_lshlrev_b32_e32 v29, 11, v6
	v_and_b32_e32 v25, 16, v25
	v_and_b32_e32 v29, 0x1000, v29
	s_waitcnt vmcnt(0)
	v_and_b32_e32 v24, 0xf0f0f0f, v26
	v_or3_b32 v24, v25, v24, v29
	v_lshlrev_b32_e32 v25, 18, v6
	v_lshlrev_b32_e32 v29, 25, v6
	v_and_b32_e32 v25, 0x100000, v25
	v_and_b32_e32 v29, 0x10000000, v29
	v_or3_b32 v24, v24, v25, v29
	v_lshrrev_b32_e32 v25, 4, v26
	v_lshrrev_b32_e32 v26, 12, v6
	;; [unrolled: 1-line block ×3, first 2 shown]
	v_lshlrev_b32_e32 v31, 2, v6
	v_and_b32_e32 v26, 16, v26
	v_and_b32_e32 v30, 0x1000, v30
	v_and_b32_e32 v31, 0x100000, v31
	v_lshlrev_b32_e32 v6, 9, v6
	v_and_b32_e32 v25, 0xf0f0f0f, v25
	v_and_b32_e32 v6, 0x10000000, v6
	v_or3_b32 v26, v30, v26, v31
	v_ashrrev_i32_e32 v5, v21, v5
	v_dot4_i32_i8 v29, v24, v9, 0
	v_or3_b32 v25, v26, v6, v25
	v_dot4_i32_i8 v6, v25, v7, v29
	v_lshlrev_b32_e32 v29, 4, v5
	v_lshlrev_b32_e32 v30, 11, v5
	;; [unrolled: 1-line block ×3, first 2 shown]
	v_and_b32_e32 v29, 16, v29
	v_and_b32_e32 v30, 0x1000, v30
	;; [unrolled: 1-line block ×3, first 2 shown]
	v_lshlrev_b32_e32 v32, 25, v5
	v_and_b32_e32 v26, 0xf0f0f0f, v27
	v_and_b32_e32 v32, 0x10000000, v32
	v_or3_b32 v29, v30, v29, v31
	v_or3_b32 v26, v29, v32, v26
	v_lshrrev_b32_e32 v29, 12, v5
	v_lshrrev_b32_e32 v30, 5, v5
	v_lshlrev_b32_e32 v31, 2, v5
	v_lshrrev_b32_e32 v27, 4, v27
	v_and_b32_e32 v29, 16, v29
	v_and_b32_e32 v30, 0x1000, v30
	;; [unrolled: 1-line block ×3, first 2 shown]
	v_lshlrev_b32_e32 v5, 9, v5
	v_and_b32_e32 v27, 0xf0f0f0f, v27
	v_and_b32_e32 v5, 0x10000000, v5
	v_or3_b32 v29, v30, v29, v31
	v_dot4_i32_i8 v6, v26, v10, v6
	v_or3_b32 v27, v29, v5, v27
	v_dot4_i32_i8 v5, v27, v8, v6
	v_pk_mul_f16 v6, v4, v28
	v_cvt_f32_f16_sdwa v29, v6 dst_sel:DWORD dst_unused:UNUSED_PAD src0_sel:WORD_1
	v_cvt_f32_i32_e32 v5, v5
	v_mul_f32_e32 v29, 0.5, v29
	v_fma_mix_f32 v5, v5, v6, v29 op_sel_hi:[0,1,0]
	v_add_f32_e32 v18, v18, v5
	v_add_u32_e32 v5, s0, v19
	v_mad_i64_i32 v[29:30], s[24:25], v5, 24, s[20:21]
	global_load_dwordx2 v[5:6], v[29:30], off
	v_add_co_u32_e32 v29, vcc, v29, v23
	v_addc_co_u32_e32 v30, vcc, 0, v30, vcc
	global_load_dwordx2 v[29:30], v[29:30], off offset:8
	s_waitcnt vmcnt(1)
	v_ashrrev_i32_e32 v31, v20, v6
	v_lshlrev_b32_e32 v33, 4, v31
	v_lshlrev_b32_e32 v34, 11, v31
	v_ashrrev_i32_e32 v32, v21, v6
	v_and_b32_e32 v33, 16, v33
	s_waitcnt vmcnt(0)
	v_and_b32_e32 v6, 0xf0f0f0f, v29
	v_and_b32_e32 v34, 0x1000, v34
	v_or3_b32 v6, v33, v6, v34
	v_lshlrev_b32_e32 v33, 18, v31
	v_lshlrev_b32_e32 v34, 25, v31
	v_and_b32_e32 v33, 0x100000, v33
	v_and_b32_e32 v34, 0x10000000, v34
	v_or3_b32 v6, v6, v33, v34
	v_lshrrev_b32_e32 v33, 12, v31
	v_lshrrev_b32_e32 v34, 5, v31
	v_lshlrev_b32_e32 v35, 2, v31
	v_lshrrev_b32_e32 v29, 4, v29
	v_and_b32_e32 v33, 16, v33
	v_and_b32_e32 v34, 0x1000, v34
	;; [unrolled: 1-line block ×3, first 2 shown]
	v_lshlrev_b32_e32 v31, 9, v31
	v_and_b32_e32 v29, 0xf0f0f0f, v29
	v_and_b32_e32 v31, 0x10000000, v31
	v_or3_b32 v33, v34, v33, v35
	v_or3_b32 v33, v33, v31, v29
	v_lshlrev_b32_e32 v29, 4, v32
	v_lshlrev_b32_e32 v31, 11, v32
	;; [unrolled: 1-line block ×3, first 2 shown]
	v_dot4_i32_i8 v9, v6, v9, 0
	v_and_b32_e32 v29, 16, v29
	v_and_b32_e32 v31, 0x1000, v31
	;; [unrolled: 1-line block ×3, first 2 shown]
	v_lshlrev_b32_e32 v35, 25, v32
	v_dot4_i32_i8 v7, v33, v7, v9
	v_and_b32_e32 v9, 0xf0f0f0f, v30
	v_and_b32_e32 v35, 0x10000000, v35
	v_or3_b32 v29, v31, v29, v34
	v_or3_b32 v34, v29, v35, v9
	v_dot4_i32_i8 v7, v34, v10, v7
	v_lshrrev_b32_e32 v9, 4, v30
	v_lshrrev_b32_e32 v10, 12, v32
	;; [unrolled: 1-line block ×3, first 2 shown]
	v_lshlrev_b32_e32 v30, 2, v32
	v_and_b32_e32 v10, 16, v10
	v_and_b32_e32 v29, 0x1000, v29
	;; [unrolled: 1-line block ×3, first 2 shown]
	v_lshlrev_b32_e32 v31, 9, v32
	v_and_b32_e32 v9, 0xf0f0f0f, v9
	v_and_b32_e32 v31, 0x10000000, v31
	v_or3_b32 v10, v29, v10, v30
	v_or3_b32 v32, v10, v31, v9
	v_dot4_i32_i8 v7, v32, v8, v7
	v_pk_mul_f16 v8, v5, v28
	v_cvt_f32_f16_sdwa v9, v8 dst_sel:DWORD dst_unused:UNUSED_PAD src0_sel:WORD_1
	v_cvt_f32_i32_e32 v7, v7
	v_mul_f32_e32 v9, 0.5, v9
	v_fma_mix_f32 v7, v7, v8, v9 op_sel_hi:[0,1,0]
	v_add_f32_e32 v17, v17, v7
	v_add_u32_e32 v7, s1, v19
	v_mad_u64_u32 v[7:8], s[24:25], v7, 36, s[22:23]
	v_add_co_u32_e32 v9, vcc, v7, v23
	v_addc_co_u32_e32 v10, vcc, 0, v8, vcc
	global_load_dwordx2 v[28:29], v[9:10], off offset:4
	global_load_dwordx2 v[30:31], v[9:10], off offset:20
	global_load_dword v35, v[7:8], off
	s_waitcnt vmcnt(2)
	v_dot4_i32_i8 v7, v24, v28, 0
	s_waitcnt vmcnt(1)
	v_dot4_i32_i8 v7, v25, v30, v7
	v_dot4_i32_i8 v7, v26, v29, v7
	s_waitcnt vmcnt(0)
	v_pk_mul_f16 v8, v4, v35
	v_dot4_i32_i8 v7, v27, v31, v7
	v_cvt_f32_f16_sdwa v9, v8 dst_sel:DWORD dst_unused:UNUSED_PAD src0_sel:WORD_1
	v_cvt_f32_i32_e32 v7, v7
	v_mul_f32_e32 v9, 0.5, v9
	v_fma_mix_f32 v7, v7, v8, v9 op_sel_hi:[0,1,0]
	v_add_f32_e32 v16, v16, v7
	v_dot4_i32_i8 v7, v6, v28, 0
	v_dot4_i32_i8 v7, v33, v30, v7
	v_dot4_i32_i8 v7, v34, v29, v7
	v_pk_mul_f16 v8, v5, v35
	v_dot4_i32_i8 v7, v32, v31, v7
	v_cvt_f32_f16_sdwa v9, v8 dst_sel:DWORD dst_unused:UNUSED_PAD src0_sel:WORD_1
	v_cvt_f32_i32_e32 v7, v7
	v_mul_f32_e32 v9, 0.5, v9
	v_fma_mix_f32 v7, v7, v8, v9 op_sel_hi:[0,1,0]
	v_add_f32_e32 v15, v15, v7
	v_add_u32_e32 v7, s15, v19
	v_mad_u64_u32 v[7:8], s[24:25], v7, 36, s[22:23]
	v_add_co_u32_e32 v9, vcc, v7, v23
	v_addc_co_u32_e32 v10, vcc, 0, v8, vcc
	global_load_dwordx2 v[28:29], v[9:10], off offset:4
	global_load_dwordx2 v[30:31], v[9:10], off offset:20
	global_load_dword v35, v[7:8], off
	s_waitcnt vmcnt(2)
	v_dot4_i32_i8 v7, v24, v28, 0
	s_waitcnt vmcnt(1)
	v_dot4_i32_i8 v7, v25, v30, v7
	v_dot4_i32_i8 v7, v26, v29, v7
	s_waitcnt vmcnt(0)
	v_pk_mul_f16 v8, v4, v35
	v_dot4_i32_i8 v7, v27, v31, v7
	v_cvt_f32_f16_sdwa v9, v8 dst_sel:DWORD dst_unused:UNUSED_PAD src0_sel:WORD_1
	v_cvt_f32_i32_e32 v7, v7
	v_mul_f32_e32 v9, 0.5, v9
	v_fma_mix_f32 v7, v7, v8, v9 op_sel_hi:[0,1,0]
	v_add_f32_e32 v14, v14, v7
	v_dot4_i32_i8 v7, v6, v28, 0
	v_dot4_i32_i8 v7, v33, v30, v7
	;; [unrolled: 1-line block ×3, first 2 shown]
	v_pk_mul_f16 v8, v5, v35
	v_dot4_i32_i8 v7, v32, v31, v7
	v_cvt_f32_f16_sdwa v9, v8 dst_sel:DWORD dst_unused:UNUSED_PAD src0_sel:WORD_1
	v_cvt_f32_i32_e32 v7, v7
	v_mul_f32_e32 v9, 0.5, v9
	v_fma_mix_f32 v7, v7, v8, v9 op_sel_hi:[0,1,0]
	v_add_f32_e32 v13, v13, v7
	v_add_u32_e32 v7, s16, v19
	v_mad_u64_u32 v[7:8], s[24:25], v7, 36, s[22:23]
	v_add_u32_e32 v19, 64, v19
	v_add_co_u32_e32 v9, vcc, v7, v23
	v_addc_co_u32_e32 v10, vcc, 0, v8, vcc
	global_load_dwordx2 v[28:29], v[9:10], off offset:4
	global_load_dwordx2 v[30:31], v[9:10], off offset:20
	global_load_dword v35, v[7:8], off
	v_add_co_u32_e32 v2, vcc, 0x900, v2
	v_addc_co_u32_e32 v3, vcc, 0, v3, vcc
	v_cmp_le_u32_e32 vcc, s9, v19
	s_or_b64 s[12:13], vcc, s[12:13]
	s_waitcnt vmcnt(2)
	v_dot4_i32_i8 v7, v24, v28, 0
	s_waitcnt vmcnt(1)
	v_dot4_i32_i8 v7, v25, v30, v7
	v_dot4_i32_i8 v7, v26, v29, v7
	s_waitcnt vmcnt(0)
	v_pk_mul_f16 v4, v4, v35
	v_dot4_i32_i8 v7, v27, v31, v7
	v_cvt_f32_f16_sdwa v8, v4 dst_sel:DWORD dst_unused:UNUSED_PAD src0_sel:WORD_1
	v_cvt_f32_i32_e32 v7, v7
	v_pk_mul_f16 v5, v5, v35
	v_mul_f32_e32 v8, 0.5, v8
	v_fma_mix_f32 v4, v7, v4, v8 op_sel_hi:[0,1,0]
	v_add_f32_e32 v12, v12, v4
	v_dot4_i32_i8 v4, v6, v28, 0
	v_dot4_i32_i8 v4, v33, v30, v4
	;; [unrolled: 1-line block ×4, first 2 shown]
	v_cvt_f32_f16_sdwa v6, v5 dst_sel:DWORD dst_unused:UNUSED_PAD src0_sel:WORD_1
	v_cvt_f32_i32_e32 v4, v4
	v_mul_f32_e32 v6, 0.5, v6
	v_fma_mix_f32 v4, v4, v5, v6 op_sel_hi:[0,1,0]
	v_add_f32_e32 v11, v11, v4
	s_andn2_b64 exec, exec, s[12:13]
	s_cbranch_execnz .LBB55_2
; %bb.3:
	s_or_b64 exec, exec, s[12:13]
.LBB55_4:
	s_or_b64 exec, exec, s[10:11]
	v_cmp_eq_u32_e32 vcc, 0, v1
	v_cmp_ne_u32_e64 s[0:1], 0, v1
	v_lshlrev_b32_e32 v2, 2, v0
	s_and_saveexec_b64 s[10:11], s[0:1]
	s_cbranch_execz .LBB55_6
; %bb.5:
	v_lshl_or_b32 v1, v1, 11, v2
	v_add_u32_e32 v1, 0xfffff800, v1
	ds_write2st64_b32 v1, v18, v17 offset1:1
	ds_write2st64_b32 v1, v16, v15 offset0:2 offset1:3
	ds_write2st64_b32 v1, v14, v13 offset0:4 offset1:5
	;; [unrolled: 1-line block ×3, first 2 shown]
.LBB55_6:
	s_or_b64 exec, exec, s[10:11]
	s_waitcnt lgkmcnt(0)
	s_barrier
	s_and_saveexec_b64 s[0:1], vcc
	s_cbranch_execz .LBB55_15
; %bb.7:
	v_mbcnt_lo_u32_b32 v1, -1, 0
	v_mbcnt_hi_u32_b32 v7, -1, v1
	ds_read2st64_b32 v[5:6], v2 offset1:1
	v_and_b32_e32 v1, 64, v7
	v_add_u32_e32 v8, 64, v1
	v_xor_b32_e32 v1, 32, v7
	v_cmp_lt_i32_e32 vcc, v1, v8
	v_cndmask_b32_e32 v1, v7, v1, vcc
	v_lshlrev_b32_e32 v1, 2, v1
	s_waitcnt lgkmcnt(0)
	v_add_f32_e32 v10, v5, v18
	v_add_f32_e32 v6, v6, v17
	ds_bpermute_b32 v18, v1, v10
	ds_bpermute_b32 v17, v1, v6
	v_xor_b32_e32 v3, 16, v7
	v_cmp_lt_i32_e32 vcc, v3, v8
	v_cndmask_b32_e32 v3, v7, v3, vcc
	v_lshlrev_b32_e32 v3, 2, v3
	s_waitcnt lgkmcnt(1)
	v_add_f32_e32 v10, v10, v18
	s_waitcnt lgkmcnt(0)
	v_add_f32_e32 v6, v6, v17
	ds_bpermute_b32 v18, v3, v10
	ds_bpermute_b32 v17, v3, v6
	v_xor_b32_e32 v4, 8, v7
	v_cmp_lt_i32_e32 vcc, v4, v8
	v_cndmask_b32_e32 v4, v7, v4, vcc
	v_lshlrev_b32_e32 v4, 2, v4
	s_waitcnt lgkmcnt(1)
	v_add_f32_e32 v10, v10, v18
	s_waitcnt lgkmcnt(0)
	;; [unrolled: 10-line block ×3, first 2 shown]
	v_add_f32_e32 v17, v17, v19
	ds_bpermute_b32 v18, v5, v10
	ds_bpermute_b32 v19, v5, v17
	v_xor_b32_e32 v9, 2, v7
	v_cmp_lt_i32_e32 vcc, v9, v8
	v_cndmask_b32_e32 v9, v7, v9, vcc
	v_lshlrev_b32_e32 v6, 2, v9
	v_xor_b32_e32 v9, 1, v7
	v_cmp_lt_i32_e32 vcc, v9, v8
	s_waitcnt lgkmcnt(1)
	v_add_f32_e32 v8, v10, v18
	s_waitcnt lgkmcnt(0)
	v_add_f32_e32 v17, v17, v19
	ds_bpermute_b32 v10, v6, v8
	ds_bpermute_b32 v18, v6, v17
	s_load_dwordx2 s[0:1], s[4:5], 0x38
	v_cndmask_b32_e32 v7, v7, v9, vcc
	s_mul_i32 s4, s14, s7
	v_lshlrev_b32_e32 v9, 2, v7
	s_waitcnt lgkmcnt(0)
	v_add_f32_e32 v7, v8, v10
	v_add_f32_e32 v10, v17, v18
	s_mul_i32 s3, s18, s8
	s_add_i32 s4, s4, s6
	ds_bpermute_b32 v8, v9, v7
	ds_bpermute_b32 v17, v9, v10
	s_add_i32 s4, s4, s3
	s_mov_b32 s5, 0
	s_lshl_b64 s[4:5], s[4:5], 2
	s_add_u32 s4, s0, s4
	v_add_u32_e32 v18, s6, v0
	s_addc_u32 s5, s1, s5
	v_cmp_gt_u32_e32 vcc, 2, v0
	v_cmp_gt_u32_e64 s[0:1], s2, v18
	s_and_b64 s[0:1], vcc, s[0:1]
	s_waitcnt lgkmcnt(1)
	v_add_f32_e32 v7, v7, v8
	s_waitcnt lgkmcnt(0)
	v_add_f32_e32 v8, v10, v17
	s_and_saveexec_b64 s[6:7], s[0:1]
	s_cbranch_execz .LBB55_9
; %bb.8:
	v_cmp_eq_u32_e32 vcc, 1, v0
	v_cndmask_b32_e32 v10, v7, v8, vcc
	v_cmp_eq_u32_e32 vcc, 2, v0
	v_cndmask_b32_e32 v10, v10, v16, vcc
	;; [unrolled: 2-line block ×7, first 2 shown]
	global_store_dword v2, v10, s[4:5]
.LBB55_9:
	s_or_b64 exec, exec, s[6:7]
	ds_read2st64_b32 v[17:18], v2 offset0:2 offset1:3
	s_waitcnt lgkmcnt(0)
	v_add_f32_e32 v10, v17, v16
	v_add_f32_e32 v15, v18, v15
	ds_bpermute_b32 v16, v1, v10
	ds_bpermute_b32 v17, v1, v15
	s_waitcnt lgkmcnt(1)
	v_add_f32_e32 v10, v10, v16
	s_waitcnt lgkmcnt(0)
	v_add_f32_e32 v15, v15, v17
	ds_bpermute_b32 v16, v3, v10
	ds_bpermute_b32 v17, v3, v15
	s_waitcnt lgkmcnt(1)
	v_add_f32_e32 v10, v10, v16
	s_waitcnt lgkmcnt(0)
	;; [unrolled: 6-line block ×6, first 2 shown]
	v_add_f32_e32 v10, v16, v17
	s_and_saveexec_b64 s[6:7], s[0:1]
	s_cbranch_execz .LBB55_11
; %bb.10:
	v_add_u32_e32 v16, 2, v0
	v_cmp_eq_u32_e32 vcc, 1, v16
	v_cndmask_b32_e32 v17, v7, v8, vcc
	v_cmp_eq_u32_e32 vcc, 2, v16
	v_cndmask_b32_e32 v17, v17, v15, vcc
	;; [unrolled: 2-line block ×7, first 2 shown]
	v_add_u32_e32 v16, s2, v0
	v_mov_b32_e32 v17, 0
	v_lshlrev_b64 v[16:17], 2, v[16:17]
	v_mov_b32_e32 v19, s5
	v_add_co_u32_e32 v16, vcc, s4, v16
	v_addc_co_u32_e32 v17, vcc, v19, v17, vcc
	global_store_dword v[16:17], v18, off
.LBB55_11:
	s_or_b64 exec, exec, s[6:7]
	ds_read2st64_b32 v[16:17], v2 offset0:4 offset1:5
	s_waitcnt lgkmcnt(0)
	v_add_f32_e32 v14, v16, v14
	v_add_f32_e32 v13, v17, v13
	ds_bpermute_b32 v16, v1, v14
	ds_bpermute_b32 v17, v1, v13
	s_waitcnt lgkmcnt(1)
	v_add_f32_e32 v14, v14, v16
	s_waitcnt lgkmcnt(0)
	v_add_f32_e32 v13, v13, v17
	ds_bpermute_b32 v16, v3, v14
	ds_bpermute_b32 v17, v3, v13
	s_waitcnt lgkmcnt(1)
	v_add_f32_e32 v14, v14, v16
	s_waitcnt lgkmcnt(0)
	;; [unrolled: 6-line block ×6, first 2 shown]
	v_add_f32_e32 v13, v13, v17
	s_and_saveexec_b64 s[6:7], s[0:1]
	s_cbranch_execz .LBB55_13
; %bb.12:
	v_add_u32_e32 v16, 4, v0
	v_cmp_eq_u32_e32 vcc, 1, v16
	v_cndmask_b32_e32 v17, v7, v8, vcc
	v_cmp_eq_u32_e32 vcc, 2, v16
	v_cndmask_b32_e32 v17, v17, v15, vcc
	;; [unrolled: 2-line block ×7, first 2 shown]
	v_lshl_or_b32 v16, s2, 1, v0
	v_mov_b32_e32 v17, 0
	v_lshlrev_b64 v[16:17], 2, v[16:17]
	v_mov_b32_e32 v19, s5
	v_add_co_u32_e32 v16, vcc, s4, v16
	v_addc_co_u32_e32 v17, vcc, v19, v17, vcc
	global_store_dword v[16:17], v18, off
.LBB55_13:
	s_or_b64 exec, exec, s[6:7]
	ds_read2st64_b32 v[16:17], v2 offset0:6 offset1:7
	s_waitcnt lgkmcnt(0)
	v_add_f32_e32 v2, v16, v12
	v_add_f32_e32 v11, v17, v11
	ds_bpermute_b32 v12, v1, v2
	ds_bpermute_b32 v1, v1, v11
	s_waitcnt lgkmcnt(1)
	v_add_f32_e32 v2, v2, v12
	s_waitcnt lgkmcnt(0)
	v_add_f32_e32 v1, v11, v1
	ds_bpermute_b32 v11, v3, v2
	ds_bpermute_b32 v3, v3, v1
	s_waitcnt lgkmcnt(1)
	v_add_f32_e32 v2, v2, v11
	s_waitcnt lgkmcnt(0)
	;; [unrolled: 6-line block ×5, first 2 shown]
	v_add_f32_e32 v2, v3, v4
	ds_bpermute_b32 v3, v9, v1
	ds_bpermute_b32 v4, v9, v2
	s_and_b64 exec, exec, s[0:1]
	s_cbranch_execz .LBB55_15
; %bb.14:
	s_waitcnt lgkmcnt(1)
	v_add_f32_e32 v1, v1, v3
	v_add_u32_e32 v3, 6, v0
	v_cmp_eq_u32_e32 vcc, 1, v3
	s_waitcnt lgkmcnt(0)
	v_add_f32_e32 v2, v2, v4
	v_cndmask_b32_e32 v4, v7, v8, vcc
	v_cmp_eq_u32_e32 vcc, 2, v3
	v_cndmask_b32_e32 v4, v4, v15, vcc
	v_cmp_eq_u32_e32 vcc, 3, v3
	;; [unrolled: 2-line block ×5, first 2 shown]
	v_cndmask_b32_e32 v4, v4, v1, vcc
	v_mad_u64_u32 v[0:1], s[0:1], s2, 3, v[0:1]
	v_mov_b32_e32 v1, 0
	v_cmp_eq_u32_e32 vcc, 7, v3
	v_lshlrev_b64 v[0:1], 2, v[0:1]
	v_cndmask_b32_e32 v2, v4, v2, vcc
	v_mov_b32_e32 v3, s5
	v_add_co_u32_e32 v0, vcc, s4, v0
	v_addc_co_u32_e32 v1, vcc, v3, v1, vcc
	global_store_dword v[0:1], v2, off
.LBB55_15:
	s_endpgm
	.section	.rodata,"a",@progbits
	.p2align	6, 0x0
	.amdhsa_kernel _ZL13mul_mat_vec_qIL9ggml_type7ELi4ELb0ELb0EEvPKvS2_PKi31ggml_cuda_mm_fusion_args_devicePfj15HIP_vector_typeIjLj3EEjjjS8_jjjS8_jjjj
		.amdhsa_group_segment_fixed_size 2048
		.amdhsa_private_segment_fixed_size 0
		.amdhsa_kernarg_size 144
		.amdhsa_user_sgpr_count 6
		.amdhsa_user_sgpr_private_segment_buffer 1
		.amdhsa_user_sgpr_dispatch_ptr 0
		.amdhsa_user_sgpr_queue_ptr 0
		.amdhsa_user_sgpr_kernarg_segment_ptr 1
		.amdhsa_user_sgpr_dispatch_id 0
		.amdhsa_user_sgpr_flat_scratch_init 0
		.amdhsa_user_sgpr_private_segment_size 0
		.amdhsa_uses_dynamic_stack 0
		.amdhsa_system_sgpr_private_segment_wavefront_offset 0
		.amdhsa_system_sgpr_workgroup_id_x 1
		.amdhsa_system_sgpr_workgroup_id_y 1
		.amdhsa_system_sgpr_workgroup_id_z 1
		.amdhsa_system_sgpr_workgroup_info 0
		.amdhsa_system_vgpr_workitem_id 1
		.amdhsa_next_free_vgpr 36
		.amdhsa_next_free_sgpr 61
		.amdhsa_reserve_vcc 1
		.amdhsa_reserve_flat_scratch 0
		.amdhsa_float_round_mode_32 0
		.amdhsa_float_round_mode_16_64 0
		.amdhsa_float_denorm_mode_32 3
		.amdhsa_float_denorm_mode_16_64 3
		.amdhsa_dx10_clamp 1
		.amdhsa_ieee_mode 1
		.amdhsa_fp16_overflow 0
		.amdhsa_exception_fp_ieee_invalid_op 0
		.amdhsa_exception_fp_denorm_src 0
		.amdhsa_exception_fp_ieee_div_zero 0
		.amdhsa_exception_fp_ieee_overflow 0
		.amdhsa_exception_fp_ieee_underflow 0
		.amdhsa_exception_fp_ieee_inexact 0
		.amdhsa_exception_int_div_zero 0
	.end_amdhsa_kernel
	.section	.text._ZL13mul_mat_vec_qIL9ggml_type7ELi4ELb0ELb0EEvPKvS2_PKi31ggml_cuda_mm_fusion_args_devicePfj15HIP_vector_typeIjLj3EEjjjS8_jjjS8_jjjj,"axG",@progbits,_ZL13mul_mat_vec_qIL9ggml_type7ELi4ELb0ELb0EEvPKvS2_PKi31ggml_cuda_mm_fusion_args_devicePfj15HIP_vector_typeIjLj3EEjjjS8_jjjS8_jjjj,comdat
.Lfunc_end55:
	.size	_ZL13mul_mat_vec_qIL9ggml_type7ELi4ELb0ELb0EEvPKvS2_PKi31ggml_cuda_mm_fusion_args_devicePfj15HIP_vector_typeIjLj3EEjjjS8_jjjS8_jjjj, .Lfunc_end55-_ZL13mul_mat_vec_qIL9ggml_type7ELi4ELb0ELb0EEvPKvS2_PKi31ggml_cuda_mm_fusion_args_devicePfj15HIP_vector_typeIjLj3EEjjjS8_jjjS8_jjjj
                                        ; -- End function
	.set _ZL13mul_mat_vec_qIL9ggml_type7ELi4ELb0ELb0EEvPKvS2_PKi31ggml_cuda_mm_fusion_args_devicePfj15HIP_vector_typeIjLj3EEjjjS8_jjjS8_jjjj.num_vgpr, 36
	.set _ZL13mul_mat_vec_qIL9ggml_type7ELi4ELb0ELb0EEvPKvS2_PKi31ggml_cuda_mm_fusion_args_devicePfj15HIP_vector_typeIjLj3EEjjjS8_jjjS8_jjjj.num_agpr, 0
	.set _ZL13mul_mat_vec_qIL9ggml_type7ELi4ELb0ELb0EEvPKvS2_PKi31ggml_cuda_mm_fusion_args_devicePfj15HIP_vector_typeIjLj3EEjjjS8_jjjS8_jjjj.numbered_sgpr, 26
	.set _ZL13mul_mat_vec_qIL9ggml_type7ELi4ELb0ELb0EEvPKvS2_PKi31ggml_cuda_mm_fusion_args_devicePfj15HIP_vector_typeIjLj3EEjjjS8_jjjS8_jjjj.num_named_barrier, 0
	.set _ZL13mul_mat_vec_qIL9ggml_type7ELi4ELb0ELb0EEvPKvS2_PKi31ggml_cuda_mm_fusion_args_devicePfj15HIP_vector_typeIjLj3EEjjjS8_jjjS8_jjjj.private_seg_size, 0
	.set _ZL13mul_mat_vec_qIL9ggml_type7ELi4ELb0ELb0EEvPKvS2_PKi31ggml_cuda_mm_fusion_args_devicePfj15HIP_vector_typeIjLj3EEjjjS8_jjjS8_jjjj.uses_vcc, 1
	.set _ZL13mul_mat_vec_qIL9ggml_type7ELi4ELb0ELb0EEvPKvS2_PKi31ggml_cuda_mm_fusion_args_devicePfj15HIP_vector_typeIjLj3EEjjjS8_jjjS8_jjjj.uses_flat_scratch, 0
	.set _ZL13mul_mat_vec_qIL9ggml_type7ELi4ELb0ELb0EEvPKvS2_PKi31ggml_cuda_mm_fusion_args_devicePfj15HIP_vector_typeIjLj3EEjjjS8_jjjS8_jjjj.has_dyn_sized_stack, 0
	.set _ZL13mul_mat_vec_qIL9ggml_type7ELi4ELb0ELb0EEvPKvS2_PKi31ggml_cuda_mm_fusion_args_devicePfj15HIP_vector_typeIjLj3EEjjjS8_jjjS8_jjjj.has_recursion, 0
	.set _ZL13mul_mat_vec_qIL9ggml_type7ELi4ELb0ELb0EEvPKvS2_PKi31ggml_cuda_mm_fusion_args_devicePfj15HIP_vector_typeIjLj3EEjjjS8_jjjS8_jjjj.has_indirect_call, 0
	.section	.AMDGPU.csdata,"",@progbits
; Kernel info:
; codeLenInByte = 3284
; TotalNumSgprs: 30
; NumVgprs: 36
; ScratchSize: 0
; MemoryBound: 0
; FloatMode: 240
; IeeeMode: 1
; LDSByteSize: 2048 bytes/workgroup (compile time only)
; SGPRBlocks: 8
; VGPRBlocks: 8
; NumSGPRsForWavesPerEU: 65
; NumVGPRsForWavesPerEU: 36
; Occupancy: 7
; WaveLimiterHint : 0
; COMPUTE_PGM_RSRC2:SCRATCH_EN: 0
; COMPUTE_PGM_RSRC2:USER_SGPR: 6
; COMPUTE_PGM_RSRC2:TRAP_HANDLER: 0
; COMPUTE_PGM_RSRC2:TGID_X_EN: 1
; COMPUTE_PGM_RSRC2:TGID_Y_EN: 1
; COMPUTE_PGM_RSRC2:TGID_Z_EN: 1
; COMPUTE_PGM_RSRC2:TIDIG_COMP_CNT: 1
	.section	.text._ZL13mul_mat_vec_qIL9ggml_type7ELi5ELb0ELb0EEvPKvS2_PKi31ggml_cuda_mm_fusion_args_devicePfj15HIP_vector_typeIjLj3EEjjjS8_jjjS8_jjjj,"axG",@progbits,_ZL13mul_mat_vec_qIL9ggml_type7ELi5ELb0ELb0EEvPKvS2_PKi31ggml_cuda_mm_fusion_args_devicePfj15HIP_vector_typeIjLj3EEjjjS8_jjjS8_jjjj,comdat
	.globl	_ZL13mul_mat_vec_qIL9ggml_type7ELi5ELb0ELb0EEvPKvS2_PKi31ggml_cuda_mm_fusion_args_devicePfj15HIP_vector_typeIjLj3EEjjjS8_jjjS8_jjjj ; -- Begin function _ZL13mul_mat_vec_qIL9ggml_type7ELi5ELb0ELb0EEvPKvS2_PKi31ggml_cuda_mm_fusion_args_devicePfj15HIP_vector_typeIjLj3EEjjjS8_jjjS8_jjjj
	.p2align	8
	.type	_ZL13mul_mat_vec_qIL9ggml_type7ELi5ELb0ELb0EEvPKvS2_PKi31ggml_cuda_mm_fusion_args_devicePfj15HIP_vector_typeIjLj3EEjjjS8_jjjS8_jjjj,@function
_ZL13mul_mat_vec_qIL9ggml_type7ELi5ELb0ELb0EEvPKvS2_PKi31ggml_cuda_mm_fusion_args_devicePfj15HIP_vector_typeIjLj3EEjjjS8_jjjS8_jjjj: ; @_ZL13mul_mat_vec_qIL9ggml_type7ELi5ELb0ELb0EEvPKvS2_PKi31ggml_cuda_mm_fusion_args_devicePfj15HIP_vector_typeIjLj3EEjjjS8_jjjS8_jjjj
; %bb.0:
	s_load_dword s9, s[4:5], 0x40
	s_load_dwordx4 s[0:3], s[4:5], 0x50
	s_load_dword s25, s[4:5], 0x60
	s_load_dwordx4 s[12:15], s[4:5], 0x68
	;; [unrolled: 2-line block ×3, first 2 shown]
	v_lshl_or_b32 v2, v1, 6, v0
	s_waitcnt lgkmcnt(0)
	s_lshr_b32 s9, s9, 5
	v_lshrrev_b16_e32 v21, 1, v2
	v_mov_b32_e32 v11, 0
	s_lshl_b32 s6, s6, 1
	v_cmp_gt_u32_e32 vcc, s9, v21
	v_mov_b32_e32 v12, v11
	v_mov_b32_e32 v13, v11
	;; [unrolled: 1-line block ×9, first 2 shown]
	s_and_saveexec_b64 s[10:11], vcc
	s_cbranch_execz .LBB56_4
; %bb.1:
	s_load_dwordx4 s[20:23], s[4:5], 0x0
	s_mul_i32 s17, s17, s8
	s_mul_hi_u32 s19, s17, 36
	s_mul_i32 s17, s17, 36
	s_mul_i32 s13, s13, s7
	s_waitcnt lgkmcnt(0)
	s_add_u32 s17, s22, s17
	s_addc_u32 s19, s23, s19
	s_mul_hi_u32 s23, s13, 36
	s_mul_i32 s13, s13, 36
	s_add_u32 s22, s17, s13
	s_mul_hi_u32 s3, s3, s7
	s_addc_u32 s23, s19, s23
	s_add_i32 s3, s7, s3
	s_lshr_b32 s3, s3, s25
	s_mul_i32 s3, s3, s12
	s_mul_hi_u32 s12, s15, s8
	s_add_i32 s12, s8, s12
	s_lshr_b32 s12, s12, s24
	s_mul_i32 s12, s12, s16
	v_lshlrev_b32_e32 v3, 1, v0
	s_add_i32 s13, s6, 1
	v_and_b32_e32 v4, 2, v3
	s_add_i32 s12, s12, s3
	s_mul_i32 s3, s6, s0
	s_mul_i32 s0, s0, s13
	v_and_b32_e32 v3, 1, v0
	v_lshrrev_b32_e32 v2, 1, v2
	s_add_i32 s3, s12, s3
	s_add_i32 s0, s12, s0
	v_lshlrev_b32_e32 v24, 3, v3
	v_mad_u64_u32 v[2:3], s[12:13], v2, 36, s[22:23]
	v_mov_b32_e32 v11, 0
	v_lshlrev_b32_e32 v22, 2, v4
	v_or_b32_e32 v23, 4, v22
	s_lshl_b32 s15, s1, 1
	s_mul_i32 s16, s1, 3
	s_lshl_b32 s17, s1, 2
	s_mov_b64 s[12:13], 0
	v_lshlrev_b32_e32 v25, 2, v4
	v_mov_b32_e32 v12, v11
	v_mov_b32_e32 v13, v11
	;; [unrolled: 1-line block ×9, first 2 shown]
.LBB56_2:                               ; =>This Inner Loop Header: Depth=1
	v_add_u32_e32 v6, s3, v21
	v_mad_i64_i32 v[26:27], s[24:25], v6, 24, s[20:21]
	v_add_co_u32_e32 v4, vcc, v2, v24
	v_addc_co_u32_e32 v5, vcc, 0, v3, vcc
	global_load_dwordx2 v[9:10], v[4:5], off offset:4
	global_load_dwordx2 v[7:8], v[4:5], off offset:20
	global_load_dword v30, v[2:3], off
	s_nop 0
	global_load_dwordx2 v[4:5], v[26:27], off
	v_add_co_u32_e32 v26, vcc, v26, v25
	v_addc_co_u32_e32 v27, vcc, 0, v27, vcc
	global_load_dwordx2 v[28:29], v[26:27], off offset:8
	s_waitcnt vmcnt(1)
	v_ashrrev_i32_e32 v6, v22, v5
	v_lshlrev_b32_e32 v27, 4, v6
	v_lshlrev_b32_e32 v31, 11, v6
	v_and_b32_e32 v27, 16, v27
	v_and_b32_e32 v31, 0x1000, v31
	s_waitcnt vmcnt(0)
	v_and_b32_e32 v26, 0xf0f0f0f, v28
	v_or3_b32 v26, v27, v26, v31
	v_lshlrev_b32_e32 v27, 18, v6
	v_lshlrev_b32_e32 v31, 25, v6
	v_and_b32_e32 v27, 0x100000, v27
	v_and_b32_e32 v31, 0x10000000, v31
	v_or3_b32 v26, v26, v27, v31
	v_lshrrev_b32_e32 v27, 4, v28
	v_lshrrev_b32_e32 v28, 12, v6
	;; [unrolled: 1-line block ×3, first 2 shown]
	v_lshlrev_b32_e32 v33, 2, v6
	v_and_b32_e32 v28, 16, v28
	v_and_b32_e32 v32, 0x1000, v32
	;; [unrolled: 1-line block ×3, first 2 shown]
	v_lshlrev_b32_e32 v6, 9, v6
	v_and_b32_e32 v27, 0xf0f0f0f, v27
	v_and_b32_e32 v6, 0x10000000, v6
	v_or3_b32 v28, v32, v28, v33
	v_ashrrev_i32_e32 v5, v23, v5
	v_dot4_i32_i8 v31, v26, v9, 0
	v_or3_b32 v27, v28, v6, v27
	v_dot4_i32_i8 v6, v27, v7, v31
	v_lshlrev_b32_e32 v31, 4, v5
	v_lshlrev_b32_e32 v32, 11, v5
	;; [unrolled: 1-line block ×3, first 2 shown]
	v_and_b32_e32 v31, 16, v31
	v_and_b32_e32 v32, 0x1000, v32
	;; [unrolled: 1-line block ×3, first 2 shown]
	v_lshlrev_b32_e32 v34, 25, v5
	v_and_b32_e32 v28, 0xf0f0f0f, v29
	v_and_b32_e32 v34, 0x10000000, v34
	v_or3_b32 v31, v32, v31, v33
	v_or3_b32 v28, v31, v34, v28
	v_lshrrev_b32_e32 v31, 12, v5
	v_lshrrev_b32_e32 v32, 5, v5
	v_lshlrev_b32_e32 v33, 2, v5
	v_lshrrev_b32_e32 v29, 4, v29
	v_and_b32_e32 v31, 16, v31
	v_and_b32_e32 v32, 0x1000, v32
	;; [unrolled: 1-line block ×3, first 2 shown]
	v_lshlrev_b32_e32 v5, 9, v5
	v_and_b32_e32 v29, 0xf0f0f0f, v29
	v_and_b32_e32 v5, 0x10000000, v5
	v_or3_b32 v31, v32, v31, v33
	v_dot4_i32_i8 v6, v28, v10, v6
	v_or3_b32 v29, v31, v5, v29
	v_dot4_i32_i8 v5, v29, v8, v6
	v_pk_mul_f16 v6, v4, v30
	v_cvt_f32_f16_sdwa v31, v6 dst_sel:DWORD dst_unused:UNUSED_PAD src0_sel:WORD_1
	v_cvt_f32_i32_e32 v5, v5
	v_mul_f32_e32 v31, 0.5, v31
	v_fma_mix_f32 v5, v5, v6, v31 op_sel_hi:[0,1,0]
	v_add_f32_e32 v20, v20, v5
	v_add_u32_e32 v5, s0, v21
	v_mad_i64_i32 v[31:32], s[24:25], v5, 24, s[20:21]
	global_load_dwordx2 v[5:6], v[31:32], off
	v_add_co_u32_e32 v31, vcc, v31, v25
	v_addc_co_u32_e32 v32, vcc, 0, v32, vcc
	global_load_dwordx2 v[31:32], v[31:32], off offset:8
	s_waitcnt vmcnt(1)
	v_ashrrev_i32_e32 v33, v22, v6
	v_lshlrev_b32_e32 v35, 4, v33
	v_lshlrev_b32_e32 v36, 11, v33
	v_ashrrev_i32_e32 v34, v23, v6
	v_and_b32_e32 v35, 16, v35
	s_waitcnt vmcnt(0)
	v_and_b32_e32 v6, 0xf0f0f0f, v31
	v_and_b32_e32 v36, 0x1000, v36
	v_or3_b32 v6, v35, v6, v36
	v_lshlrev_b32_e32 v35, 18, v33
	v_lshlrev_b32_e32 v36, 25, v33
	v_and_b32_e32 v35, 0x100000, v35
	v_and_b32_e32 v36, 0x10000000, v36
	v_or3_b32 v6, v6, v35, v36
	v_dot4_i32_i8 v35, v6, v9, 0
	v_lshrrev_b32_e32 v9, 4, v31
	v_lshrrev_b32_e32 v31, 12, v33
	;; [unrolled: 1-line block ×3, first 2 shown]
	v_lshlrev_b32_e32 v37, 2, v33
	v_and_b32_e32 v31, 16, v31
	v_and_b32_e32 v36, 0x1000, v36
	;; [unrolled: 1-line block ×3, first 2 shown]
	v_lshlrev_b32_e32 v33, 9, v33
	v_and_b32_e32 v9, 0xf0f0f0f, v9
	v_and_b32_e32 v33, 0x10000000, v33
	v_or3_b32 v31, v36, v31, v37
	v_or3_b32 v9, v31, v33, v9
	v_dot4_i32_i8 v7, v9, v7, v35
	v_lshlrev_b32_e32 v33, 4, v34
	v_lshlrev_b32_e32 v35, 11, v34
	;; [unrolled: 1-line block ×3, first 2 shown]
	v_and_b32_e32 v33, 16, v33
	v_and_b32_e32 v35, 0x1000, v35
	;; [unrolled: 1-line block ×3, first 2 shown]
	v_lshlrev_b32_e32 v37, 25, v34
	v_and_b32_e32 v31, 0xf0f0f0f, v32
	v_and_b32_e32 v37, 0x10000000, v37
	v_or3_b32 v33, v35, v33, v36
	v_or3_b32 v38, v33, v37, v31
	v_dot4_i32_i8 v10, v38, v10, v7
	v_lshrrev_b32_e32 v7, 4, v32
	v_lshrrev_b32_e32 v31, 12, v34
	;; [unrolled: 1-line block ×3, first 2 shown]
	v_lshlrev_b32_e32 v33, 2, v34
	v_and_b32_e32 v31, 16, v31
	v_and_b32_e32 v32, 0x1000, v32
	;; [unrolled: 1-line block ×3, first 2 shown]
	v_lshlrev_b32_e32 v34, 9, v34
	v_and_b32_e32 v7, 0xf0f0f0f, v7
	v_and_b32_e32 v34, 0x10000000, v34
	v_or3_b32 v31, v32, v31, v33
	v_or3_b32 v7, v31, v34, v7
	v_dot4_i32_i8 v8, v7, v8, v10
	v_pk_mul_f16 v10, v5, v30
	v_cvt_f32_f16_sdwa v30, v10 dst_sel:DWORD dst_unused:UNUSED_PAD src0_sel:WORD_1
	v_cvt_f32_i32_e32 v8, v8
	v_mul_f32_e32 v30, 0.5, v30
	v_fma_mix_f32 v8, v8, v10, v30 op_sel_hi:[0,1,0]
	v_add_f32_e32 v19, v19, v8
	v_add_u32_e32 v8, s1, v21
	v_mad_u64_u32 v[30:31], s[24:25], v8, 36, s[22:23]
	v_add_co_u32_e32 v32, vcc, v30, v25
	v_addc_co_u32_e32 v33, vcc, 0, v31, vcc
	global_load_dwordx2 v[34:35], v[32:33], off offset:4
	global_load_dwordx2 v[36:37], v[32:33], off offset:20
	global_load_dword v8, v[30:31], off
	s_waitcnt vmcnt(2)
	v_dot4_i32_i8 v10, v26, v34, 0
	s_waitcnt vmcnt(1)
	v_dot4_i32_i8 v10, v27, v36, v10
	v_dot4_i32_i8 v10, v28, v35, v10
	s_waitcnt vmcnt(0)
	v_pk_mul_f16 v30, v4, v8
	v_dot4_i32_i8 v10, v29, v37, v10
	v_cvt_f32_f16_sdwa v31, v30 dst_sel:DWORD dst_unused:UNUSED_PAD src0_sel:WORD_1
	v_cvt_f32_i32_e32 v10, v10
	v_pk_mul_f16 v8, v5, v8
	v_mul_f32_e32 v31, 0.5, v31
	v_fma_mix_f32 v10, v10, v30, v31 op_sel_hi:[0,1,0]
	v_add_f32_e32 v18, v18, v10
	v_dot4_i32_i8 v10, v6, v34, 0
	v_dot4_i32_i8 v10, v9, v36, v10
	v_dot4_i32_i8 v10, v38, v35, v10
	v_dot4_i32_i8 v10, v7, v37, v10
	v_cvt_f32_f16_sdwa v30, v8 dst_sel:DWORD dst_unused:UNUSED_PAD src0_sel:WORD_1
	v_cvt_f32_i32_e32 v10, v10
	v_mul_f32_e32 v30, 0.5, v30
	v_fma_mix_f32 v8, v10, v8, v30 op_sel_hi:[0,1,0]
	v_add_f32_e32 v17, v17, v8
	v_add_u32_e32 v8, s15, v21
	v_mad_u64_u32 v[30:31], s[24:25], v8, 36, s[22:23]
	v_add_co_u32_e32 v32, vcc, v30, v25
	v_addc_co_u32_e32 v33, vcc, 0, v31, vcc
	global_load_dwordx2 v[34:35], v[32:33], off offset:4
	global_load_dwordx2 v[36:37], v[32:33], off offset:20
	global_load_dword v8, v[30:31], off
	s_waitcnt vmcnt(2)
	v_dot4_i32_i8 v10, v26, v34, 0
	s_waitcnt vmcnt(1)
	v_dot4_i32_i8 v10, v27, v36, v10
	v_dot4_i32_i8 v10, v28, v35, v10
	s_waitcnt vmcnt(0)
	v_pk_mul_f16 v30, v4, v8
	v_dot4_i32_i8 v10, v29, v37, v10
	v_cvt_f32_f16_sdwa v31, v30 dst_sel:DWORD dst_unused:UNUSED_PAD src0_sel:WORD_1
	v_cvt_f32_i32_e32 v10, v10
	v_pk_mul_f16 v8, v5, v8
	v_mul_f32_e32 v31, 0.5, v31
	v_fma_mix_f32 v10, v10, v30, v31 op_sel_hi:[0,1,0]
	v_add_f32_e32 v16, v16, v10
	v_dot4_i32_i8 v10, v6, v34, 0
	v_dot4_i32_i8 v10, v9, v36, v10
	v_dot4_i32_i8 v10, v38, v35, v10
	v_dot4_i32_i8 v10, v7, v37, v10
	;; [unrolled: 30-line block ×3, first 2 shown]
	v_cvt_f32_f16_sdwa v30, v8 dst_sel:DWORD dst_unused:UNUSED_PAD src0_sel:WORD_1
	v_cvt_f32_i32_e32 v10, v10
	v_mul_f32_e32 v30, 0.5, v30
	v_fma_mix_f32 v8, v10, v8, v30 op_sel_hi:[0,1,0]
	v_add_f32_e32 v13, v13, v8
	v_add_u32_e32 v8, s17, v21
	v_mad_u64_u32 v[30:31], s[24:25], v8, 36, s[22:23]
	v_add_u32_e32 v21, 32, v21
	v_add_co_u32_e32 v32, vcc, v30, v25
	v_addc_co_u32_e32 v33, vcc, 0, v31, vcc
	global_load_dwordx2 v[34:35], v[32:33], off offset:4
	global_load_dwordx2 v[36:37], v[32:33], off offset:20
	global_load_dword v8, v[30:31], off
	v_add_co_u32_e32 v2, vcc, 0x480, v2
	v_addc_co_u32_e32 v3, vcc, 0, v3, vcc
	v_cmp_le_u32_e32 vcc, s9, v21
	s_or_b64 s[12:13], vcc, s[12:13]
	s_waitcnt vmcnt(2)
	v_dot4_i32_i8 v10, v26, v34, 0
	s_waitcnt vmcnt(1)
	v_dot4_i32_i8 v10, v27, v36, v10
	v_dot4_i32_i8 v10, v28, v35, v10
	s_waitcnt vmcnt(0)
	v_pk_mul_f16 v4, v4, v8
	v_dot4_i32_i8 v10, v29, v37, v10
	v_cvt_f32_f16_sdwa v26, v4 dst_sel:DWORD dst_unused:UNUSED_PAD src0_sel:WORD_1
	v_cvt_f32_i32_e32 v10, v10
	v_pk_mul_f16 v5, v5, v8
	v_mul_f32_e32 v26, 0.5, v26
	v_fma_mix_f32 v4, v10, v4, v26 op_sel_hi:[0,1,0]
	v_add_f32_e32 v12, v12, v4
	v_dot4_i32_i8 v4, v6, v34, 0
	v_dot4_i32_i8 v4, v9, v36, v4
	;; [unrolled: 1-line block ×4, first 2 shown]
	v_cvt_f32_f16_sdwa v6, v5 dst_sel:DWORD dst_unused:UNUSED_PAD src0_sel:WORD_1
	v_cvt_f32_i32_e32 v4, v4
	v_mul_f32_e32 v6, 0.5, v6
	v_fma_mix_f32 v4, v4, v5, v6 op_sel_hi:[0,1,0]
	v_add_f32_e32 v11, v11, v4
	s_andn2_b64 exec, exec, s[12:13]
	s_cbranch_execnz .LBB56_2
; %bb.3:
	s_or_b64 exec, exec, s[12:13]
.LBB56_4:
	s_or_b64 exec, exec, s[10:11]
	s_mov_b32 s1, 0
	v_cmp_eq_u32_e32 vcc, 0, v1
	; wave barrier
	s_and_saveexec_b64 s[10:11], vcc
	s_cbranch_execz .LBB56_15
; %bb.5:
	v_mbcnt_lo_u32_b32 v1, -1, 0
	v_mbcnt_hi_u32_b32 v6, -1, v1
	v_and_b32_e32 v1, 64, v6
	v_add_u32_e32 v7, 64, v1
	v_xor_b32_e32 v1, 32, v6
	v_cmp_lt_i32_e32 vcc, v1, v7
	v_cndmask_b32_e32 v1, v6, v1, vcc
	v_lshlrev_b32_e32 v1, 2, v1
	ds_bpermute_b32 v5, v1, v20
	ds_bpermute_b32 v8, v1, v19
	v_xor_b32_e32 v2, 16, v6
	v_cmp_lt_i32_e32 vcc, v2, v7
	v_cndmask_b32_e32 v2, v6, v2, vcc
	v_lshlrev_b32_e32 v2, 2, v2
	s_waitcnt lgkmcnt(1)
	v_add_f32_e32 v5, v20, v5
	s_waitcnt lgkmcnt(0)
	v_add_f32_e32 v8, v19, v8
	ds_bpermute_b32 v10, v2, v5
	ds_bpermute_b32 v19, v2, v8
	v_xor_b32_e32 v3, 8, v6
	v_cmp_lt_i32_e32 vcc, v3, v7
	v_cndmask_b32_e32 v3, v6, v3, vcc
	v_lshlrev_b32_e32 v3, 2, v3
	s_waitcnt lgkmcnt(1)
	v_add_f32_e32 v10, v5, v10
	s_waitcnt lgkmcnt(0)
	v_add_f32_e32 v8, v8, v19
	;; [unrolled: 10-line block ×3, first 2 shown]
	ds_bpermute_b32 v20, v4, v10
	ds_bpermute_b32 v19, v4, v8
	v_xor_b32_e32 v9, 2, v6
	v_cmp_lt_i32_e32 vcc, v9, v7
	v_cndmask_b32_e32 v9, v6, v9, vcc
	v_lshlrev_b32_e32 v5, 2, v9
	v_xor_b32_e32 v9, 1, v6
	v_cmp_lt_i32_e32 vcc, v9, v7
	s_waitcnt lgkmcnt(1)
	v_add_f32_e32 v7, v10, v20
	s_waitcnt lgkmcnt(0)
	v_add_f32_e32 v10, v8, v19
	v_cndmask_b32_e32 v6, v6, v9, vcc
	ds_bpermute_b32 v9, v5, v7
	ds_bpermute_b32 v19, v5, v10
	s_load_dwordx2 s[4:5], s[4:5], 0x38
	s_mul_i32 s3, s14, s7
	v_lshlrev_b32_e32 v8, 2, v6
	s_waitcnt lgkmcnt(0)
	v_add_f32_e32 v6, v7, v9
	v_add_f32_e32 v9, v10, v19
	s_mul_i32 s0, s18, s8
	s_add_i32 s3, s3, s6
	ds_bpermute_b32 v7, v8, v6
	ds_bpermute_b32 v10, v8, v9
	s_add_i32 s0, s3, s0
	s_lshl_b64 s[0:1], s[0:1], 2
	s_add_u32 s4, s4, s0
	v_add_u32_e32 v19, s6, v0
	s_addc_u32 s5, s5, s1
	v_cmp_gt_u32_e32 vcc, 2, v0
	v_cmp_gt_u32_e64 s[0:1], s2, v19
	s_and_b64 s[0:1], vcc, s[0:1]
	s_waitcnt lgkmcnt(1)
	v_add_f32_e32 v6, v6, v7
	s_waitcnt lgkmcnt(0)
	v_add_f32_e32 v7, v9, v10
	s_and_saveexec_b64 s[6:7], s[0:1]
	s_cbranch_execz .LBB56_7
; %bb.6:
	v_cmp_eq_u32_e32 vcc, 1, v0
	v_cndmask_b32_e32 v9, v6, v7, vcc
	v_cmp_eq_u32_e32 vcc, 2, v0
	v_cndmask_b32_e32 v9, v9, v18, vcc
	;; [unrolled: 2-line block ×9, first 2 shown]
	v_lshlrev_b32_e32 v10, 2, v0
	global_store_dword v10, v9, s[4:5]
.LBB56_7:
	s_or_b64 exec, exec, s[6:7]
	ds_bpermute_b32 v9, v1, v18
	ds_bpermute_b32 v10, v1, v17
	s_waitcnt lgkmcnt(1)
	v_add_f32_e32 v9, v18, v9
	s_waitcnt lgkmcnt(0)
	v_add_f32_e32 v10, v17, v10
	ds_bpermute_b32 v17, v2, v9
	ds_bpermute_b32 v18, v2, v10
	s_waitcnt lgkmcnt(1)
	v_add_f32_e32 v9, v9, v17
	s_waitcnt lgkmcnt(0)
	v_add_f32_e32 v10, v10, v18
	;; [unrolled: 6-line block ×6, first 2 shown]
	s_and_saveexec_b64 s[6:7], s[0:1]
	s_cbranch_execz .LBB56_9
; %bb.8:
	v_add_u32_e32 v17, 2, v0
	v_cmp_eq_u32_e32 vcc, 1, v17
	v_cndmask_b32_e32 v18, v6, v7, vcc
	v_cmp_eq_u32_e32 vcc, 2, v17
	v_cndmask_b32_e32 v18, v18, v10, vcc
	;; [unrolled: 2-line block ×9, first 2 shown]
	v_add_u32_e32 v17, s2, v0
	v_mov_b32_e32 v18, 0
	v_lshlrev_b64 v[17:18], 2, v[17:18]
	v_mov_b32_e32 v20, s5
	v_add_co_u32_e32 v17, vcc, s4, v17
	v_addc_co_u32_e32 v18, vcc, v20, v18, vcc
	global_store_dword v[17:18], v19, off
.LBB56_9:
	s_or_b64 exec, exec, s[6:7]
	ds_bpermute_b32 v17, v1, v16
	ds_bpermute_b32 v18, v1, v15
	s_waitcnt lgkmcnt(1)
	v_add_f32_e32 v16, v16, v17
	s_waitcnt lgkmcnt(0)
	v_add_f32_e32 v15, v15, v18
	ds_bpermute_b32 v17, v2, v16
	ds_bpermute_b32 v18, v2, v15
	s_waitcnt lgkmcnt(1)
	v_add_f32_e32 v16, v16, v17
	s_waitcnt lgkmcnt(0)
	v_add_f32_e32 v15, v15, v18
	;; [unrolled: 6-line block ×6, first 2 shown]
	s_and_saveexec_b64 s[6:7], s[0:1]
	s_cbranch_execz .LBB56_11
; %bb.10:
	v_add_u32_e32 v17, 4, v0
	v_cmp_eq_u32_e32 vcc, 1, v17
	v_cndmask_b32_e32 v18, v6, v7, vcc
	v_cmp_eq_u32_e32 vcc, 2, v17
	v_cndmask_b32_e32 v18, v18, v10, vcc
	;; [unrolled: 2-line block ×9, first 2 shown]
	v_lshl_or_b32 v17, s2, 1, v0
	v_mov_b32_e32 v18, 0
	v_lshlrev_b64 v[17:18], 2, v[17:18]
	v_mov_b32_e32 v20, s5
	v_add_co_u32_e32 v17, vcc, s4, v17
	v_addc_co_u32_e32 v18, vcc, v20, v18, vcc
	global_store_dword v[17:18], v19, off
.LBB56_11:
	s_or_b64 exec, exec, s[6:7]
	ds_bpermute_b32 v17, v1, v14
	ds_bpermute_b32 v18, v1, v13
	s_waitcnt lgkmcnt(1)
	v_add_f32_e32 v14, v14, v17
	s_waitcnt lgkmcnt(0)
	v_add_f32_e32 v13, v13, v18
	ds_bpermute_b32 v17, v2, v14
	ds_bpermute_b32 v18, v2, v13
	s_waitcnt lgkmcnt(1)
	v_add_f32_e32 v14, v14, v17
	s_waitcnt lgkmcnt(0)
	v_add_f32_e32 v13, v13, v18
	;; [unrolled: 6-line block ×6, first 2 shown]
	s_and_saveexec_b64 s[6:7], s[0:1]
	s_cbranch_execz .LBB56_13
; %bb.12:
	v_add_u32_e32 v19, 6, v0
	v_cmp_eq_u32_e32 vcc, 1, v19
	v_cndmask_b32_e32 v17, v6, v7, vcc
	v_cmp_eq_u32_e32 vcc, 2, v19
	v_cndmask_b32_e32 v17, v17, v10, vcc
	v_cmp_eq_u32_e32 vcc, 3, v19
	v_cndmask_b32_e32 v17, v17, v9, vcc
	v_cmp_eq_u32_e32 vcc, 4, v19
	v_cndmask_b32_e32 v17, v17, v16, vcc
	v_cmp_eq_u32_e32 vcc, 5, v19
	v_cndmask_b32_e32 v17, v17, v15, vcc
	v_cmp_eq_u32_e32 vcc, 6, v19
	v_cndmask_b32_e32 v17, v17, v14, vcc
	v_cmp_eq_u32_e32 vcc, 7, v19
	v_cndmask_b32_e32 v17, v17, v13, vcc
	v_cmp_eq_u32_e32 vcc, 8, v19
	v_cndmask_b32_e32 v20, v17, v12, vcc
	v_mad_u64_u32 v[17:18], s[8:9], s2, 3, v[0:1]
	v_mov_b32_e32 v18, 0
	v_cmp_eq_u32_e32 vcc, 9, v19
	v_lshlrev_b64 v[17:18], 2, v[17:18]
	v_cndmask_b32_e32 v19, v20, v11, vcc
	v_mov_b32_e32 v20, s5
	v_add_co_u32_e32 v17, vcc, s4, v17
	v_addc_co_u32_e32 v18, vcc, v20, v18, vcc
	global_store_dword v[17:18], v19, off
.LBB56_13:
	s_or_b64 exec, exec, s[6:7]
	ds_bpermute_b32 v17, v1, v12
	ds_bpermute_b32 v1, v1, v11
	s_waitcnt lgkmcnt(1)
	v_add_f32_e32 v12, v12, v17
	s_waitcnt lgkmcnt(0)
	v_add_f32_e32 v1, v11, v1
	ds_bpermute_b32 v11, v2, v12
	ds_bpermute_b32 v2, v2, v1
	s_waitcnt lgkmcnt(1)
	v_add_f32_e32 v11, v12, v11
	s_waitcnt lgkmcnt(0)
	v_add_f32_e32 v1, v1, v2
	ds_bpermute_b32 v2, v3, v11
	ds_bpermute_b32 v3, v3, v1
	s_waitcnt lgkmcnt(1)
	v_add_f32_e32 v2, v11, v2
	s_waitcnt lgkmcnt(0)
	v_add_f32_e32 v1, v1, v3
	ds_bpermute_b32 v3, v4, v2
	ds_bpermute_b32 v4, v4, v1
	s_waitcnt lgkmcnt(1)
	v_add_f32_e32 v2, v2, v3
	s_waitcnt lgkmcnt(0)
	v_add_f32_e32 v3, v1, v4
	ds_bpermute_b32 v1, v5, v2
	ds_bpermute_b32 v4, v5, v3
	s_waitcnt lgkmcnt(1)
	v_add_f32_e32 v1, v2, v1
	s_waitcnt lgkmcnt(0)
	v_add_f32_e32 v2, v3, v4
	ds_bpermute_b32 v3, v8, v1
	ds_bpermute_b32 v4, v8, v2
	s_and_b64 exec, exec, s[0:1]
	s_cbranch_execz .LBB56_15
; %bb.14:
	s_waitcnt lgkmcnt(1)
	v_add_f32_e32 v1, v1, v3
	v_add_u32_e32 v3, 8, v0
	v_cmp_eq_u32_e32 vcc, 1, v3
	s_waitcnt lgkmcnt(0)
	v_add_f32_e32 v2, v2, v4
	v_cndmask_b32_e32 v4, v6, v7, vcc
	v_cmp_eq_u32_e32 vcc, 2, v3
	v_cndmask_b32_e32 v4, v4, v10, vcc
	v_cmp_eq_u32_e32 vcc, 3, v3
	v_cndmask_b32_e32 v4, v4, v9, vcc
	v_cmp_eq_u32_e32 vcc, 4, v3
	v_cndmask_b32_e32 v4, v4, v16, vcc
	v_cmp_eq_u32_e32 vcc, 5, v3
	v_cndmask_b32_e32 v4, v4, v15, vcc
	v_cmp_eq_u32_e32 vcc, 6, v3
	v_cndmask_b32_e32 v4, v4, v14, vcc
	v_cmp_eq_u32_e32 vcc, 7, v3
	v_cndmask_b32_e32 v4, v4, v13, vcc
	v_cmp_eq_u32_e32 vcc, 8, v3
	v_cndmask_b32_e32 v1, v4, v1, vcc
	v_cmp_eq_u32_e32 vcc, 9, v3
	v_cndmask_b32_e32 v2, v1, v2, vcc
	v_lshl_or_b32 v0, s2, 2, v0
	v_mov_b32_e32 v1, 0
	v_lshlrev_b64 v[0:1], 2, v[0:1]
	v_mov_b32_e32 v3, s5
	v_add_co_u32_e32 v0, vcc, s4, v0
	v_addc_co_u32_e32 v1, vcc, v3, v1, vcc
	global_store_dword v[0:1], v2, off
.LBB56_15:
	s_endpgm
	.section	.rodata,"a",@progbits
	.p2align	6, 0x0
	.amdhsa_kernel _ZL13mul_mat_vec_qIL9ggml_type7ELi5ELb0ELb0EEvPKvS2_PKi31ggml_cuda_mm_fusion_args_devicePfj15HIP_vector_typeIjLj3EEjjjS8_jjjS8_jjjj
		.amdhsa_group_segment_fixed_size 0
		.amdhsa_private_segment_fixed_size 0
		.amdhsa_kernarg_size 144
		.amdhsa_user_sgpr_count 6
		.amdhsa_user_sgpr_private_segment_buffer 1
		.amdhsa_user_sgpr_dispatch_ptr 0
		.amdhsa_user_sgpr_queue_ptr 0
		.amdhsa_user_sgpr_kernarg_segment_ptr 1
		.amdhsa_user_sgpr_dispatch_id 0
		.amdhsa_user_sgpr_flat_scratch_init 0
		.amdhsa_user_sgpr_private_segment_size 0
		.amdhsa_uses_dynamic_stack 0
		.amdhsa_system_sgpr_private_segment_wavefront_offset 0
		.amdhsa_system_sgpr_workgroup_id_x 1
		.amdhsa_system_sgpr_workgroup_id_y 1
		.amdhsa_system_sgpr_workgroup_id_z 1
		.amdhsa_system_sgpr_workgroup_info 0
		.amdhsa_system_vgpr_workitem_id 1
		.amdhsa_next_free_vgpr 39
		.amdhsa_next_free_sgpr 26
		.amdhsa_reserve_vcc 1
		.amdhsa_reserve_flat_scratch 0
		.amdhsa_float_round_mode_32 0
		.amdhsa_float_round_mode_16_64 0
		.amdhsa_float_denorm_mode_32 3
		.amdhsa_float_denorm_mode_16_64 3
		.amdhsa_dx10_clamp 1
		.amdhsa_ieee_mode 1
		.amdhsa_fp16_overflow 0
		.amdhsa_exception_fp_ieee_invalid_op 0
		.amdhsa_exception_fp_denorm_src 0
		.amdhsa_exception_fp_ieee_div_zero 0
		.amdhsa_exception_fp_ieee_overflow 0
		.amdhsa_exception_fp_ieee_underflow 0
		.amdhsa_exception_fp_ieee_inexact 0
		.amdhsa_exception_int_div_zero 0
	.end_amdhsa_kernel
	.section	.text._ZL13mul_mat_vec_qIL9ggml_type7ELi5ELb0ELb0EEvPKvS2_PKi31ggml_cuda_mm_fusion_args_devicePfj15HIP_vector_typeIjLj3EEjjjS8_jjjS8_jjjj,"axG",@progbits,_ZL13mul_mat_vec_qIL9ggml_type7ELi5ELb0ELb0EEvPKvS2_PKi31ggml_cuda_mm_fusion_args_devicePfj15HIP_vector_typeIjLj3EEjjjS8_jjjS8_jjjj,comdat
.Lfunc_end56:
	.size	_ZL13mul_mat_vec_qIL9ggml_type7ELi5ELb0ELb0EEvPKvS2_PKi31ggml_cuda_mm_fusion_args_devicePfj15HIP_vector_typeIjLj3EEjjjS8_jjjS8_jjjj, .Lfunc_end56-_ZL13mul_mat_vec_qIL9ggml_type7ELi5ELb0ELb0EEvPKvS2_PKi31ggml_cuda_mm_fusion_args_devicePfj15HIP_vector_typeIjLj3EEjjjS8_jjjS8_jjjj
                                        ; -- End function
	.set _ZL13mul_mat_vec_qIL9ggml_type7ELi5ELb0ELb0EEvPKvS2_PKi31ggml_cuda_mm_fusion_args_devicePfj15HIP_vector_typeIjLj3EEjjjS8_jjjS8_jjjj.num_vgpr, 39
	.set _ZL13mul_mat_vec_qIL9ggml_type7ELi5ELb0ELb0EEvPKvS2_PKi31ggml_cuda_mm_fusion_args_devicePfj15HIP_vector_typeIjLj3EEjjjS8_jjjS8_jjjj.num_agpr, 0
	.set _ZL13mul_mat_vec_qIL9ggml_type7ELi5ELb0ELb0EEvPKvS2_PKi31ggml_cuda_mm_fusion_args_devicePfj15HIP_vector_typeIjLj3EEjjjS8_jjjS8_jjjj.numbered_sgpr, 26
	.set _ZL13mul_mat_vec_qIL9ggml_type7ELi5ELb0ELb0EEvPKvS2_PKi31ggml_cuda_mm_fusion_args_devicePfj15HIP_vector_typeIjLj3EEjjjS8_jjjS8_jjjj.num_named_barrier, 0
	.set _ZL13mul_mat_vec_qIL9ggml_type7ELi5ELb0ELb0EEvPKvS2_PKi31ggml_cuda_mm_fusion_args_devicePfj15HIP_vector_typeIjLj3EEjjjS8_jjjS8_jjjj.private_seg_size, 0
	.set _ZL13mul_mat_vec_qIL9ggml_type7ELi5ELb0ELb0EEvPKvS2_PKi31ggml_cuda_mm_fusion_args_devicePfj15HIP_vector_typeIjLj3EEjjjS8_jjjS8_jjjj.uses_vcc, 1
	.set _ZL13mul_mat_vec_qIL9ggml_type7ELi5ELb0ELb0EEvPKvS2_PKi31ggml_cuda_mm_fusion_args_devicePfj15HIP_vector_typeIjLj3EEjjjS8_jjjS8_jjjj.uses_flat_scratch, 0
	.set _ZL13mul_mat_vec_qIL9ggml_type7ELi5ELb0ELb0EEvPKvS2_PKi31ggml_cuda_mm_fusion_args_devicePfj15HIP_vector_typeIjLj3EEjjjS8_jjjS8_jjjj.has_dyn_sized_stack, 0
	.set _ZL13mul_mat_vec_qIL9ggml_type7ELi5ELb0ELb0EEvPKvS2_PKi31ggml_cuda_mm_fusion_args_devicePfj15HIP_vector_typeIjLj3EEjjjS8_jjjS8_jjjj.has_recursion, 0
	.set _ZL13mul_mat_vec_qIL9ggml_type7ELi5ELb0ELb0EEvPKvS2_PKi31ggml_cuda_mm_fusion_args_devicePfj15HIP_vector_typeIjLj3EEjjjS8_jjjS8_jjjj.has_indirect_call, 0
	.section	.AMDGPU.csdata,"",@progbits
; Kernel info:
; codeLenInByte = 3724
; TotalNumSgprs: 30
; NumVgprs: 39
; ScratchSize: 0
; MemoryBound: 0
; FloatMode: 240
; IeeeMode: 1
; LDSByteSize: 0 bytes/workgroup (compile time only)
; SGPRBlocks: 3
; VGPRBlocks: 9
; NumSGPRsForWavesPerEU: 30
; NumVGPRsForWavesPerEU: 39
; Occupancy: 6
; WaveLimiterHint : 0
; COMPUTE_PGM_RSRC2:SCRATCH_EN: 0
; COMPUTE_PGM_RSRC2:USER_SGPR: 6
; COMPUTE_PGM_RSRC2:TRAP_HANDLER: 0
; COMPUTE_PGM_RSRC2:TGID_X_EN: 1
; COMPUTE_PGM_RSRC2:TGID_Y_EN: 1
; COMPUTE_PGM_RSRC2:TGID_Z_EN: 1
; COMPUTE_PGM_RSRC2:TIDIG_COMP_CNT: 1
	.section	.text._ZL13mul_mat_vec_qIL9ggml_type7ELi6ELb0ELb0EEvPKvS2_PKi31ggml_cuda_mm_fusion_args_devicePfj15HIP_vector_typeIjLj3EEjjjS8_jjjS8_jjjj,"axG",@progbits,_ZL13mul_mat_vec_qIL9ggml_type7ELi6ELb0ELb0EEvPKvS2_PKi31ggml_cuda_mm_fusion_args_devicePfj15HIP_vector_typeIjLj3EEjjjS8_jjjS8_jjjj,comdat
	.globl	_ZL13mul_mat_vec_qIL9ggml_type7ELi6ELb0ELb0EEvPKvS2_PKi31ggml_cuda_mm_fusion_args_devicePfj15HIP_vector_typeIjLj3EEjjjS8_jjjS8_jjjj ; -- Begin function _ZL13mul_mat_vec_qIL9ggml_type7ELi6ELb0ELb0EEvPKvS2_PKi31ggml_cuda_mm_fusion_args_devicePfj15HIP_vector_typeIjLj3EEjjjS8_jjjS8_jjjj
	.p2align	8
	.type	_ZL13mul_mat_vec_qIL9ggml_type7ELi6ELb0ELb0EEvPKvS2_PKi31ggml_cuda_mm_fusion_args_devicePfj15HIP_vector_typeIjLj3EEjjjS8_jjjS8_jjjj,@function
_ZL13mul_mat_vec_qIL9ggml_type7ELi6ELb0ELb0EEvPKvS2_PKi31ggml_cuda_mm_fusion_args_devicePfj15HIP_vector_typeIjLj3EEjjjS8_jjjS8_jjjj: ; @_ZL13mul_mat_vec_qIL9ggml_type7ELi6ELb0ELb0EEvPKvS2_PKi31ggml_cuda_mm_fusion_args_devicePfj15HIP_vector_typeIjLj3EEjjjS8_jjjS8_jjjj
; %bb.0:
	s_load_dword s9, s[4:5], 0x40
	s_load_dwordx4 s[0:3], s[4:5], 0x50
	s_load_dword s25, s[4:5], 0x60
	s_load_dwordx4 s[12:15], s[4:5], 0x68
	s_load_dword s24, s[4:5], 0x78
	s_load_dwordx4 s[16:19], s[4:5], 0x80
	v_lshl_or_b32 v2, v1, 6, v0
	s_waitcnt lgkmcnt(0)
	s_lshr_b32 s9, s9, 5
	v_lshrrev_b16_e32 v19, 1, v2
	v_mov_b32_e32 v7, 0
	s_lshl_b32 s6, s6, 1
	v_cmp_gt_u32_e32 vcc, s9, v19
	v_mov_b32_e32 v8, v7
	v_mov_b32_e32 v9, v7
	;; [unrolled: 1-line block ×11, first 2 shown]
	s_and_saveexec_b64 s[10:11], vcc
	s_cbranch_execz .LBB57_4
; %bb.1:
	s_load_dwordx4 s[20:23], s[4:5], 0x0
	s_mul_i32 s17, s17, s8
	s_mul_hi_u32 s19, s17, 36
	s_mul_i32 s17, s17, 36
	s_mul_i32 s13, s13, s7
	s_waitcnt lgkmcnt(0)
	s_add_u32 s17, s22, s17
	s_addc_u32 s19, s23, s19
	s_mul_hi_u32 s23, s13, 36
	s_mul_i32 s13, s13, 36
	s_add_u32 s22, s17, s13
	s_mul_hi_u32 s3, s3, s7
	s_addc_u32 s23, s19, s23
	s_add_i32 s3, s7, s3
	s_lshr_b32 s3, s3, s25
	s_mul_i32 s3, s3, s12
	s_mul_hi_u32 s12, s15, s8
	s_add_i32 s12, s8, s12
	s_lshr_b32 s12, s12, s24
	s_mul_i32 s12, s12, s16
	v_lshlrev_b32_e32 v3, 1, v0
	s_add_i32 s13, s6, 1
	v_and_b32_e32 v4, 2, v3
	s_add_i32 s12, s12, s3
	s_mul_i32 s3, s6, s0
	s_mul_i32 s0, s0, s13
	v_and_b32_e32 v3, 1, v0
	v_lshrrev_b32_e32 v2, 1, v2
	s_add_i32 s3, s12, s3
	s_add_i32 s0, s12, s0
	v_lshlrev_b32_e32 v22, 3, v3
	v_mad_u64_u32 v[2:3], s[12:13], v2, 36, s[22:23]
	v_mov_b32_e32 v7, 0
	v_lshlrev_b32_e32 v20, 2, v4
	v_or_b32_e32 v21, 4, v20
	s_lshl_b32 s15, s1, 1
	s_mul_i32 s16, s1, 3
	s_lshl_b32 s17, s1, 2
	s_mul_i32 s19, s1, 5
	s_mov_b64 s[12:13], 0
	v_lshlrev_b32_e32 v23, 2, v4
	v_mov_b32_e32 v8, v7
	v_mov_b32_e32 v9, v7
	;; [unrolled: 1-line block ×11, first 2 shown]
.LBB57_2:                               ; =>This Inner Loop Header: Depth=1
	v_add_u32_e32 v6, s3, v19
	v_mad_i64_i32 v[24:25], s[24:25], v6, 24, s[20:21]
	v_add_co_u32_e32 v4, vcc, v2, v22
	v_addc_co_u32_e32 v5, vcc, 0, v3, vcc
	global_load_dwordx2 v[30:31], v[4:5], off offset:4
	global_load_dwordx2 v[32:33], v[4:5], off offset:20
	global_load_dword v36, v[2:3], off
	s_nop 0
	global_load_dwordx2 v[4:5], v[24:25], off
	v_add_co_u32_e32 v24, vcc, v24, v23
	v_addc_co_u32_e32 v25, vcc, 0, v25, vcc
	global_load_dwordx2 v[26:27], v[24:25], off offset:8
	s_waitcnt vmcnt(1)
	v_ashrrev_i32_e32 v6, v20, v5
	v_lshlrev_b32_e32 v25, 4, v6
	v_lshlrev_b32_e32 v28, 11, v6
	v_and_b32_e32 v25, 16, v25
	v_and_b32_e32 v28, 0x1000, v28
	s_waitcnt vmcnt(0)
	v_and_b32_e32 v24, 0xf0f0f0f, v26
	v_or3_b32 v24, v25, v24, v28
	v_lshlrev_b32_e32 v25, 18, v6
	v_lshlrev_b32_e32 v28, 25, v6
	v_and_b32_e32 v25, 0x100000, v25
	v_and_b32_e32 v28, 0x10000000, v28
	v_or3_b32 v24, v24, v25, v28
	v_lshrrev_b32_e32 v25, 4, v26
	v_lshrrev_b32_e32 v26, 12, v6
	;; [unrolled: 1-line block ×3, first 2 shown]
	v_lshlrev_b32_e32 v34, 2, v6
	v_and_b32_e32 v26, 16, v26
	v_and_b32_e32 v29, 0x1000, v29
	;; [unrolled: 1-line block ×3, first 2 shown]
	v_lshlrev_b32_e32 v6, 9, v6
	v_and_b32_e32 v25, 0xf0f0f0f, v25
	v_and_b32_e32 v6, 0x10000000, v6
	v_or3_b32 v26, v29, v26, v34
	v_ashrrev_i32_e32 v5, v21, v5
	v_dot4_i32_i8 v28, v24, v30, 0
	v_or3_b32 v25, v26, v6, v25
	v_dot4_i32_i8 v6, v25, v32, v28
	v_lshlrev_b32_e32 v28, 4, v5
	v_lshlrev_b32_e32 v29, 11, v5
	;; [unrolled: 1-line block ×3, first 2 shown]
	v_and_b32_e32 v28, 16, v28
	v_and_b32_e32 v29, 0x1000, v29
	;; [unrolled: 1-line block ×3, first 2 shown]
	v_lshlrev_b32_e32 v35, 25, v5
	v_and_b32_e32 v26, 0xf0f0f0f, v27
	v_and_b32_e32 v35, 0x10000000, v35
	v_or3_b32 v28, v29, v28, v34
	v_or3_b32 v26, v28, v35, v26
	v_lshrrev_b32_e32 v28, 12, v5
	v_lshrrev_b32_e32 v29, 5, v5
	v_lshlrev_b32_e32 v34, 2, v5
	v_lshrrev_b32_e32 v27, 4, v27
	v_and_b32_e32 v28, 16, v28
	v_and_b32_e32 v29, 0x1000, v29
	;; [unrolled: 1-line block ×3, first 2 shown]
	v_lshlrev_b32_e32 v5, 9, v5
	v_and_b32_e32 v27, 0xf0f0f0f, v27
	v_and_b32_e32 v5, 0x10000000, v5
	v_or3_b32 v28, v29, v28, v34
	v_dot4_i32_i8 v6, v26, v31, v6
	v_or3_b32 v27, v28, v5, v27
	v_dot4_i32_i8 v5, v27, v33, v6
	v_pk_mul_f16 v6, v4, v36
	v_cvt_f32_f16_sdwa v28, v6 dst_sel:DWORD dst_unused:UNUSED_PAD src0_sel:WORD_1
	v_cvt_f32_i32_e32 v5, v5
	v_mul_f32_e32 v28, 0.5, v28
	v_fma_mix_f32 v5, v5, v6, v28 op_sel_hi:[0,1,0]
	v_add_f32_e32 v18, v18, v5
	v_add_u32_e32 v5, s0, v19
	v_mad_i64_i32 v[28:29], s[24:25], v5, 24, s[20:21]
	global_load_dwordx2 v[5:6], v[28:29], off
	v_add_co_u32_e32 v28, vcc, v28, v23
	v_addc_co_u32_e32 v29, vcc, 0, v29, vcc
	global_load_dwordx2 v[34:35], v[28:29], off offset:8
	s_waitcnt vmcnt(1)
	v_ashrrev_i32_e32 v29, v20, v6
	v_lshlrev_b32_e32 v37, 4, v29
	v_lshlrev_b32_e32 v38, 11, v29
	v_and_b32_e32 v37, 16, v37
	v_and_b32_e32 v38, 0x1000, v38
	s_waitcnt vmcnt(0)
	v_and_b32_e32 v28, 0xf0f0f0f, v34
	v_or3_b32 v28, v37, v28, v38
	v_lshlrev_b32_e32 v37, 18, v29
	v_lshlrev_b32_e32 v38, 25, v29
	v_and_b32_e32 v37, 0x100000, v37
	v_and_b32_e32 v38, 0x10000000, v38
	v_or3_b32 v28, v28, v37, v38
	v_lshrrev_b32_e32 v37, 12, v29
	v_lshrrev_b32_e32 v38, 5, v29
	v_lshlrev_b32_e32 v39, 2, v29
	v_lshrrev_b32_e32 v34, 4, v34
	v_and_b32_e32 v37, 16, v37
	v_and_b32_e32 v38, 0x1000, v38
	;; [unrolled: 1-line block ×3, first 2 shown]
	v_lshlrev_b32_e32 v29, 9, v29
	v_ashrrev_i32_e32 v6, v21, v6
	v_and_b32_e32 v34, 0xf0f0f0f, v34
	v_and_b32_e32 v29, 0x10000000, v29
	v_or3_b32 v37, v38, v37, v39
	v_or3_b32 v29, v37, v29, v34
	v_lshlrev_b32_e32 v34, 4, v6
	v_lshlrev_b32_e32 v37, 11, v6
	;; [unrolled: 1-line block ×3, first 2 shown]
	v_dot4_i32_i8 v30, v28, v30, 0
	v_and_b32_e32 v34, 16, v34
	v_and_b32_e32 v37, 0x1000, v37
	;; [unrolled: 1-line block ×3, first 2 shown]
	v_lshlrev_b32_e32 v39, 25, v6
	v_dot4_i32_i8 v32, v29, v32, v30
	v_and_b32_e32 v30, 0xf0f0f0f, v35
	v_and_b32_e32 v39, 0x10000000, v39
	v_or3_b32 v34, v37, v34, v38
	v_or3_b32 v30, v34, v39, v30
	v_dot4_i32_i8 v31, v30, v31, v32
	v_lshrrev_b32_e32 v32, 4, v35
	v_lshrrev_b32_e32 v34, 12, v6
	;; [unrolled: 1-line block ×3, first 2 shown]
	v_lshlrev_b32_e32 v37, 2, v6
	v_and_b32_e32 v34, 16, v34
	v_and_b32_e32 v35, 0x1000, v35
	v_and_b32_e32 v37, 0x100000, v37
	v_lshlrev_b32_e32 v6, 9, v6
	v_and_b32_e32 v32, 0xf0f0f0f, v32
	v_and_b32_e32 v6, 0x10000000, v6
	v_or3_b32 v34, v35, v34, v37
	v_or3_b32 v6, v34, v6, v32
	v_pk_mul_f16 v32, v5, v36
	v_dot4_i32_i8 v31, v6, v33, v31
	v_cvt_f32_f16_sdwa v33, v32 dst_sel:DWORD dst_unused:UNUSED_PAD src0_sel:WORD_1
	v_cvt_f32_i32_e32 v31, v31
	v_mul_f32_e32 v33, 0.5, v33
	v_fma_mix_f32 v31, v31, v32, v33 op_sel_hi:[0,1,0]
	v_add_f32_e32 v17, v17, v31
	v_add_u32_e32 v31, s1, v19
	v_mad_u64_u32 v[31:32], s[24:25], v31, 36, s[22:23]
	v_add_co_u32_e32 v33, vcc, v31, v23
	v_addc_co_u32_e32 v34, vcc, 0, v32, vcc
	global_load_dwordx2 v[35:36], v[33:34], off offset:4
	global_load_dwordx2 v[37:38], v[33:34], off offset:20
	global_load_dword v39, v[31:32], off
	s_waitcnt vmcnt(2)
	v_dot4_i32_i8 v31, v24, v35, 0
	s_waitcnt vmcnt(1)
	v_dot4_i32_i8 v31, v25, v37, v31
	v_dot4_i32_i8 v31, v26, v36, v31
	s_waitcnt vmcnt(0)
	v_pk_mul_f16 v32, v4, v39
	v_dot4_i32_i8 v31, v27, v38, v31
	v_cvt_f32_f16_sdwa v33, v32 dst_sel:DWORD dst_unused:UNUSED_PAD src0_sel:WORD_1
	v_cvt_f32_i32_e32 v31, v31
	v_mul_f32_e32 v33, 0.5, v33
	v_fma_mix_f32 v31, v31, v32, v33 op_sel_hi:[0,1,0]
	v_add_f32_e32 v16, v16, v31
	v_dot4_i32_i8 v31, v28, v35, 0
	v_dot4_i32_i8 v31, v29, v37, v31
	v_dot4_i32_i8 v31, v30, v36, v31
	v_pk_mul_f16 v32, v5, v39
	v_dot4_i32_i8 v31, v6, v38, v31
	v_cvt_f32_f16_sdwa v33, v32 dst_sel:DWORD dst_unused:UNUSED_PAD src0_sel:WORD_1
	v_cvt_f32_i32_e32 v31, v31
	v_mul_f32_e32 v33, 0.5, v33
	v_fma_mix_f32 v31, v31, v32, v33 op_sel_hi:[0,1,0]
	v_add_f32_e32 v15, v15, v31
	v_add_u32_e32 v31, s15, v19
	v_mad_u64_u32 v[31:32], s[24:25], v31, 36, s[22:23]
	v_add_co_u32_e32 v33, vcc, v31, v23
	v_addc_co_u32_e32 v34, vcc, 0, v32, vcc
	global_load_dwordx2 v[35:36], v[33:34], off offset:4
	global_load_dwordx2 v[37:38], v[33:34], off offset:20
	global_load_dword v39, v[31:32], off
	s_waitcnt vmcnt(2)
	v_dot4_i32_i8 v31, v24, v35, 0
	s_waitcnt vmcnt(1)
	v_dot4_i32_i8 v31, v25, v37, v31
	v_dot4_i32_i8 v31, v26, v36, v31
	s_waitcnt vmcnt(0)
	v_pk_mul_f16 v32, v4, v39
	v_dot4_i32_i8 v31, v27, v38, v31
	v_cvt_f32_f16_sdwa v33, v32 dst_sel:DWORD dst_unused:UNUSED_PAD src0_sel:WORD_1
	v_cvt_f32_i32_e32 v31, v31
	v_mul_f32_e32 v33, 0.5, v33
	v_fma_mix_f32 v31, v31, v32, v33 op_sel_hi:[0,1,0]
	v_add_f32_e32 v14, v14, v31
	v_dot4_i32_i8 v31, v28, v35, 0
	v_dot4_i32_i8 v31, v29, v37, v31
	v_dot4_i32_i8 v31, v30, v36, v31
	;; [unrolled: 30-line block ×4, first 2 shown]
	v_pk_mul_f16 v32, v5, v39
	v_dot4_i32_i8 v31, v6, v38, v31
	v_cvt_f32_f16_sdwa v33, v32 dst_sel:DWORD dst_unused:UNUSED_PAD src0_sel:WORD_1
	v_cvt_f32_i32_e32 v31, v31
	v_mul_f32_e32 v33, 0.5, v33
	v_fma_mix_f32 v31, v31, v32, v33 op_sel_hi:[0,1,0]
	v_add_f32_e32 v9, v9, v31
	v_add_u32_e32 v31, s19, v19
	v_mad_u64_u32 v[31:32], s[24:25], v31, 36, s[22:23]
	v_add_u32_e32 v19, 32, v19
	v_add_co_u32_e32 v33, vcc, v31, v23
	v_addc_co_u32_e32 v34, vcc, 0, v32, vcc
	global_load_dwordx2 v[35:36], v[33:34], off offset:4
	global_load_dwordx2 v[37:38], v[33:34], off offset:20
	global_load_dword v39, v[31:32], off
	v_add_co_u32_e32 v2, vcc, 0x480, v2
	v_addc_co_u32_e32 v3, vcc, 0, v3, vcc
	v_cmp_le_u32_e32 vcc, s9, v19
	s_or_b64 s[12:13], vcc, s[12:13]
	s_waitcnt vmcnt(2)
	v_dot4_i32_i8 v24, v24, v35, 0
	s_waitcnt vmcnt(1)
	v_dot4_i32_i8 v24, v25, v37, v24
	v_dot4_i32_i8 v24, v26, v36, v24
	s_waitcnt vmcnt(0)
	v_pk_mul_f16 v4, v4, v39
	v_dot4_i32_i8 v24, v27, v38, v24
	v_cvt_f32_f16_sdwa v25, v4 dst_sel:DWORD dst_unused:UNUSED_PAD src0_sel:WORD_1
	v_cvt_f32_i32_e32 v24, v24
	v_pk_mul_f16 v5, v5, v39
	v_mul_f32_e32 v25, 0.5, v25
	v_fma_mix_f32 v4, v24, v4, v25 op_sel_hi:[0,1,0]
	v_add_f32_e32 v8, v8, v4
	v_dot4_i32_i8 v4, v28, v35, 0
	v_dot4_i32_i8 v4, v29, v37, v4
	;; [unrolled: 1-line block ×4, first 2 shown]
	v_cvt_f32_f16_sdwa v6, v5 dst_sel:DWORD dst_unused:UNUSED_PAD src0_sel:WORD_1
	v_cvt_f32_i32_e32 v4, v4
	v_mul_f32_e32 v6, 0.5, v6
	v_fma_mix_f32 v4, v4, v5, v6 op_sel_hi:[0,1,0]
	v_add_f32_e32 v7, v7, v4
	s_andn2_b64 exec, exec, s[12:13]
	s_cbranch_execnz .LBB57_2
; %bb.3:
	s_or_b64 exec, exec, s[12:13]
.LBB57_4:
	s_or_b64 exec, exec, s[10:11]
	s_mov_b32 s1, 0
	v_cmp_eq_u32_e32 vcc, 0, v1
	; wave barrier
	s_and_saveexec_b64 s[10:11], vcc
	s_cbranch_execz .LBB57_17
; %bb.5:
	v_mbcnt_lo_u32_b32 v1, -1, 0
	v_mbcnt_hi_u32_b32 v6, -1, v1
	v_and_b32_e32 v1, 64, v6
	v_add_u32_e32 v19, 64, v1
	v_xor_b32_e32 v1, 32, v6
	v_cmp_lt_i32_e32 vcc, v1, v19
	v_cndmask_b32_e32 v1, v6, v1, vcc
	v_lshlrev_b32_e32 v1, 2, v1
	ds_bpermute_b32 v5, v1, v18
	ds_bpermute_b32 v20, v1, v17
	v_xor_b32_e32 v2, 16, v6
	v_cmp_lt_i32_e32 vcc, v2, v19
	v_cndmask_b32_e32 v2, v6, v2, vcc
	v_lshlrev_b32_e32 v2, 2, v2
	s_waitcnt lgkmcnt(1)
	v_add_f32_e32 v5, v18, v5
	s_waitcnt lgkmcnt(0)
	v_add_f32_e32 v17, v17, v20
	ds_bpermute_b32 v18, v2, v5
	ds_bpermute_b32 v20, v2, v17
	v_xor_b32_e32 v3, 8, v6
	v_cmp_lt_i32_e32 vcc, v3, v19
	v_cndmask_b32_e32 v3, v6, v3, vcc
	v_lshlrev_b32_e32 v3, 2, v3
	s_waitcnt lgkmcnt(1)
	v_add_f32_e32 v18, v5, v18
	s_waitcnt lgkmcnt(0)
	v_add_f32_e32 v17, v17, v20
	;; [unrolled: 10-line block ×3, first 2 shown]
	ds_bpermute_b32 v22, v4, v18
	ds_bpermute_b32 v20, v4, v17
	v_xor_b32_e32 v21, 2, v6
	v_cmp_lt_i32_e32 vcc, v21, v19
	v_cndmask_b32_e32 v21, v6, v21, vcc
	v_lshlrev_b32_e32 v5, 2, v21
	v_xor_b32_e32 v21, 1, v6
	v_cmp_lt_i32_e32 vcc, v21, v19
	s_waitcnt lgkmcnt(1)
	v_add_f32_e32 v19, v18, v22
	s_waitcnt lgkmcnt(0)
	v_add_f32_e32 v17, v17, v20
	v_cndmask_b32_e32 v6, v6, v21, vcc
	ds_bpermute_b32 v21, v5, v19
	ds_bpermute_b32 v20, v5, v17
	s_load_dwordx2 s[4:5], s[4:5], 0x38
	s_mul_i32 s3, s14, s7
	v_lshlrev_b32_e32 v18, 2, v6
	s_waitcnt lgkmcnt(0)
	v_add_f32_e32 v6, v19, v21
	v_add_f32_e32 v17, v17, v20
	s_mul_i32 s0, s18, s8
	s_add_i32 s3, s3, s6
	ds_bpermute_b32 v19, v18, v6
	ds_bpermute_b32 v20, v18, v17
	s_add_i32 s0, s3, s0
	s_lshl_b64 s[0:1], s[0:1], 2
	s_add_u32 s4, s4, s0
	v_add_u32_e32 v21, s6, v0
	s_addc_u32 s5, s5, s1
	v_cmp_gt_u32_e32 vcc, 2, v0
	v_cmp_gt_u32_e64 s[0:1], s2, v21
	s_and_b64 s[0:1], vcc, s[0:1]
	s_waitcnt lgkmcnt(1)
	v_add_f32_e32 v6, v6, v19
	s_waitcnt lgkmcnt(0)
	v_add_f32_e32 v17, v17, v20
	s_and_saveexec_b64 s[6:7], s[0:1]
	s_cbranch_execz .LBB57_7
; %bb.6:
	v_cmp_eq_u32_e32 vcc, 1, v0
	v_cndmask_b32_e32 v19, v6, v17, vcc
	v_cmp_eq_u32_e32 vcc, 2, v0
	v_cndmask_b32_e32 v19, v19, v16, vcc
	;; [unrolled: 2-line block ×11, first 2 shown]
	v_lshlrev_b32_e32 v20, 2, v0
	global_store_dword v20, v19, s[4:5]
.LBB57_7:
	s_or_b64 exec, exec, s[6:7]
	ds_bpermute_b32 v19, v1, v16
	ds_bpermute_b32 v20, v1, v15
	s_waitcnt lgkmcnt(1)
	v_add_f32_e32 v16, v16, v19
	s_waitcnt lgkmcnt(0)
	v_add_f32_e32 v15, v15, v20
	ds_bpermute_b32 v19, v2, v16
	ds_bpermute_b32 v20, v2, v15
	s_waitcnt lgkmcnt(1)
	v_add_f32_e32 v16, v16, v19
	s_waitcnt lgkmcnt(0)
	v_add_f32_e32 v15, v15, v20
	;; [unrolled: 6-line block ×6, first 2 shown]
	s_and_saveexec_b64 s[6:7], s[0:1]
	s_cbranch_execz .LBB57_9
; %bb.8:
	v_add_u32_e32 v19, 2, v0
	v_cmp_eq_u32_e32 vcc, 1, v19
	v_cndmask_b32_e32 v20, v6, v17, vcc
	v_cmp_eq_u32_e32 vcc, 2, v19
	v_cndmask_b32_e32 v20, v20, v16, vcc
	;; [unrolled: 2-line block ×11, first 2 shown]
	v_add_u32_e32 v19, s2, v0
	v_mov_b32_e32 v20, 0
	v_lshlrev_b64 v[19:20], 2, v[19:20]
	v_mov_b32_e32 v22, s5
	v_add_co_u32_e32 v19, vcc, s4, v19
	v_addc_co_u32_e32 v20, vcc, v22, v20, vcc
	global_store_dword v[19:20], v21, off
.LBB57_9:
	s_or_b64 exec, exec, s[6:7]
	ds_bpermute_b32 v19, v1, v14
	ds_bpermute_b32 v20, v1, v13
	s_waitcnt lgkmcnt(1)
	v_add_f32_e32 v14, v14, v19
	s_waitcnt lgkmcnt(0)
	v_add_f32_e32 v13, v13, v20
	ds_bpermute_b32 v19, v2, v14
	ds_bpermute_b32 v20, v2, v13
	s_waitcnt lgkmcnt(1)
	v_add_f32_e32 v14, v14, v19
	s_waitcnt lgkmcnt(0)
	v_add_f32_e32 v13, v13, v20
	;; [unrolled: 6-line block ×6, first 2 shown]
	s_and_saveexec_b64 s[6:7], s[0:1]
	s_cbranch_execz .LBB57_11
; %bb.10:
	v_add_u32_e32 v19, 4, v0
	v_cmp_eq_u32_e32 vcc, 1, v19
	v_cndmask_b32_e32 v20, v6, v17, vcc
	v_cmp_eq_u32_e32 vcc, 2, v19
	v_cndmask_b32_e32 v20, v20, v16, vcc
	;; [unrolled: 2-line block ×11, first 2 shown]
	v_lshl_or_b32 v19, s2, 1, v0
	v_mov_b32_e32 v20, 0
	v_lshlrev_b64 v[19:20], 2, v[19:20]
	v_mov_b32_e32 v22, s5
	v_add_co_u32_e32 v19, vcc, s4, v19
	v_addc_co_u32_e32 v20, vcc, v22, v20, vcc
	global_store_dword v[19:20], v21, off
.LBB57_11:
	s_or_b64 exec, exec, s[6:7]
	ds_bpermute_b32 v19, v1, v12
	ds_bpermute_b32 v20, v1, v11
	s_waitcnt lgkmcnt(1)
	v_add_f32_e32 v12, v12, v19
	s_waitcnt lgkmcnt(0)
	v_add_f32_e32 v11, v11, v20
	ds_bpermute_b32 v19, v2, v12
	ds_bpermute_b32 v20, v2, v11
	s_waitcnt lgkmcnt(1)
	v_add_f32_e32 v12, v12, v19
	s_waitcnt lgkmcnt(0)
	v_add_f32_e32 v11, v11, v20
	;; [unrolled: 6-line block ×6, first 2 shown]
	s_and_saveexec_b64 s[6:7], s[0:1]
	s_cbranch_execz .LBB57_13
; %bb.12:
	v_add_u32_e32 v21, 6, v0
	v_cmp_eq_u32_e32 vcc, 1, v21
	v_cndmask_b32_e32 v19, v6, v17, vcc
	v_cmp_eq_u32_e32 vcc, 2, v21
	v_cndmask_b32_e32 v19, v19, v16, vcc
	;; [unrolled: 2-line block ×10, first 2 shown]
	v_mad_u64_u32 v[19:20], s[8:9], s2, 3, v[0:1]
	v_mov_b32_e32 v20, 0
	v_cmp_eq_u32_e32 vcc, 11, v21
	v_lshlrev_b64 v[19:20], 2, v[19:20]
	v_cndmask_b32_e32 v21, v22, v7, vcc
	v_mov_b32_e32 v22, s5
	v_add_co_u32_e32 v19, vcc, s4, v19
	v_addc_co_u32_e32 v20, vcc, v22, v20, vcc
	global_store_dword v[19:20], v21, off
.LBB57_13:
	s_or_b64 exec, exec, s[6:7]
	ds_bpermute_b32 v19, v1, v10
	ds_bpermute_b32 v20, v1, v9
	s_waitcnt lgkmcnt(1)
	v_add_f32_e32 v10, v10, v19
	s_waitcnt lgkmcnt(0)
	v_add_f32_e32 v9, v9, v20
	ds_bpermute_b32 v19, v2, v10
	ds_bpermute_b32 v20, v2, v9
	s_waitcnt lgkmcnt(1)
	v_add_f32_e32 v10, v10, v19
	s_waitcnt lgkmcnt(0)
	v_add_f32_e32 v9, v9, v20
	;; [unrolled: 6-line block ×6, first 2 shown]
	s_and_saveexec_b64 s[6:7], s[0:1]
	s_cbranch_execz .LBB57_15
; %bb.14:
	v_add_u32_e32 v19, 8, v0
	v_cmp_eq_u32_e32 vcc, 1, v19
	v_cndmask_b32_e32 v20, v6, v17, vcc
	v_cmp_eq_u32_e32 vcc, 2, v19
	v_cndmask_b32_e32 v20, v20, v16, vcc
	;; [unrolled: 2-line block ×11, first 2 shown]
	v_lshl_or_b32 v19, s2, 2, v0
	v_mov_b32_e32 v20, 0
	v_lshlrev_b64 v[19:20], 2, v[19:20]
	v_mov_b32_e32 v22, s5
	v_add_co_u32_e32 v19, vcc, s4, v19
	v_addc_co_u32_e32 v20, vcc, v22, v20, vcc
	global_store_dword v[19:20], v21, off
.LBB57_15:
	s_or_b64 exec, exec, s[6:7]
	ds_bpermute_b32 v19, v1, v8
	ds_bpermute_b32 v1, v1, v7
	s_waitcnt lgkmcnt(1)
	v_add_f32_e32 v8, v8, v19
	s_waitcnt lgkmcnt(0)
	v_add_f32_e32 v1, v7, v1
	ds_bpermute_b32 v7, v2, v8
	ds_bpermute_b32 v2, v2, v1
	s_waitcnt lgkmcnt(1)
	v_add_f32_e32 v7, v8, v7
	s_waitcnt lgkmcnt(0)
	v_add_f32_e32 v1, v1, v2
	;; [unrolled: 6-line block ×5, first 2 shown]
	ds_bpermute_b32 v3, v18, v1
	ds_bpermute_b32 v4, v18, v2
	s_and_b64 exec, exec, s[0:1]
	s_cbranch_execz .LBB57_17
; %bb.16:
	s_waitcnt lgkmcnt(1)
	v_add_f32_e32 v1, v1, v3
	v_add_u32_e32 v3, 10, v0
	v_cmp_eq_u32_e32 vcc, 1, v3
	s_waitcnt lgkmcnt(0)
	v_add_f32_e32 v2, v2, v4
	v_cndmask_b32_e32 v4, v6, v17, vcc
	v_cmp_eq_u32_e32 vcc, 2, v3
	v_cndmask_b32_e32 v4, v4, v16, vcc
	v_cmp_eq_u32_e32 vcc, 3, v3
	;; [unrolled: 2-line block ×9, first 2 shown]
	v_cndmask_b32_e32 v4, v4, v1, vcc
	v_mad_u64_u32 v[0:1], s[0:1], s2, 5, v[0:1]
	v_mov_b32_e32 v1, 0
	v_cmp_eq_u32_e32 vcc, 11, v3
	v_lshlrev_b64 v[0:1], 2, v[0:1]
	v_cndmask_b32_e32 v2, v4, v2, vcc
	v_mov_b32_e32 v3, s5
	v_add_co_u32_e32 v0, vcc, s4, v0
	v_addc_co_u32_e32 v1, vcc, v3, v1, vcc
	global_store_dword v[0:1], v2, off
.LBB57_17:
	s_endpgm
	.section	.rodata,"a",@progbits
	.p2align	6, 0x0
	.amdhsa_kernel _ZL13mul_mat_vec_qIL9ggml_type7ELi6ELb0ELb0EEvPKvS2_PKi31ggml_cuda_mm_fusion_args_devicePfj15HIP_vector_typeIjLj3EEjjjS8_jjjS8_jjjj
		.amdhsa_group_segment_fixed_size 0
		.amdhsa_private_segment_fixed_size 0
		.amdhsa_kernarg_size 144
		.amdhsa_user_sgpr_count 6
		.amdhsa_user_sgpr_private_segment_buffer 1
		.amdhsa_user_sgpr_dispatch_ptr 0
		.amdhsa_user_sgpr_queue_ptr 0
		.amdhsa_user_sgpr_kernarg_segment_ptr 1
		.amdhsa_user_sgpr_dispatch_id 0
		.amdhsa_user_sgpr_flat_scratch_init 0
		.amdhsa_user_sgpr_private_segment_size 0
		.amdhsa_uses_dynamic_stack 0
		.amdhsa_system_sgpr_private_segment_wavefront_offset 0
		.amdhsa_system_sgpr_workgroup_id_x 1
		.amdhsa_system_sgpr_workgroup_id_y 1
		.amdhsa_system_sgpr_workgroup_id_z 1
		.amdhsa_system_sgpr_workgroup_info 0
		.amdhsa_system_vgpr_workitem_id 1
		.amdhsa_next_free_vgpr 40
		.amdhsa_next_free_sgpr 26
		.amdhsa_reserve_vcc 1
		.amdhsa_reserve_flat_scratch 0
		.amdhsa_float_round_mode_32 0
		.amdhsa_float_round_mode_16_64 0
		.amdhsa_float_denorm_mode_32 3
		.amdhsa_float_denorm_mode_16_64 3
		.amdhsa_dx10_clamp 1
		.amdhsa_ieee_mode 1
		.amdhsa_fp16_overflow 0
		.amdhsa_exception_fp_ieee_invalid_op 0
		.amdhsa_exception_fp_denorm_src 0
		.amdhsa_exception_fp_ieee_div_zero 0
		.amdhsa_exception_fp_ieee_overflow 0
		.amdhsa_exception_fp_ieee_underflow 0
		.amdhsa_exception_fp_ieee_inexact 0
		.amdhsa_exception_int_div_zero 0
	.end_amdhsa_kernel
	.section	.text._ZL13mul_mat_vec_qIL9ggml_type7ELi6ELb0ELb0EEvPKvS2_PKi31ggml_cuda_mm_fusion_args_devicePfj15HIP_vector_typeIjLj3EEjjjS8_jjjS8_jjjj,"axG",@progbits,_ZL13mul_mat_vec_qIL9ggml_type7ELi6ELb0ELb0EEvPKvS2_PKi31ggml_cuda_mm_fusion_args_devicePfj15HIP_vector_typeIjLj3EEjjjS8_jjjS8_jjjj,comdat
.Lfunc_end57:
	.size	_ZL13mul_mat_vec_qIL9ggml_type7ELi6ELb0ELb0EEvPKvS2_PKi31ggml_cuda_mm_fusion_args_devicePfj15HIP_vector_typeIjLj3EEjjjS8_jjjS8_jjjj, .Lfunc_end57-_ZL13mul_mat_vec_qIL9ggml_type7ELi6ELb0ELb0EEvPKvS2_PKi31ggml_cuda_mm_fusion_args_devicePfj15HIP_vector_typeIjLj3EEjjjS8_jjjS8_jjjj
                                        ; -- End function
	.set _ZL13mul_mat_vec_qIL9ggml_type7ELi6ELb0ELb0EEvPKvS2_PKi31ggml_cuda_mm_fusion_args_devicePfj15HIP_vector_typeIjLj3EEjjjS8_jjjS8_jjjj.num_vgpr, 40
	.set _ZL13mul_mat_vec_qIL9ggml_type7ELi6ELb0ELb0EEvPKvS2_PKi31ggml_cuda_mm_fusion_args_devicePfj15HIP_vector_typeIjLj3EEjjjS8_jjjS8_jjjj.num_agpr, 0
	.set _ZL13mul_mat_vec_qIL9ggml_type7ELi6ELb0ELb0EEvPKvS2_PKi31ggml_cuda_mm_fusion_args_devicePfj15HIP_vector_typeIjLj3EEjjjS8_jjjS8_jjjj.numbered_sgpr, 26
	.set _ZL13mul_mat_vec_qIL9ggml_type7ELi6ELb0ELb0EEvPKvS2_PKi31ggml_cuda_mm_fusion_args_devicePfj15HIP_vector_typeIjLj3EEjjjS8_jjjS8_jjjj.num_named_barrier, 0
	.set _ZL13mul_mat_vec_qIL9ggml_type7ELi6ELb0ELb0EEvPKvS2_PKi31ggml_cuda_mm_fusion_args_devicePfj15HIP_vector_typeIjLj3EEjjjS8_jjjS8_jjjj.private_seg_size, 0
	.set _ZL13mul_mat_vec_qIL9ggml_type7ELi6ELb0ELb0EEvPKvS2_PKi31ggml_cuda_mm_fusion_args_devicePfj15HIP_vector_typeIjLj3EEjjjS8_jjjS8_jjjj.uses_vcc, 1
	.set _ZL13mul_mat_vec_qIL9ggml_type7ELi6ELb0ELb0EEvPKvS2_PKi31ggml_cuda_mm_fusion_args_devicePfj15HIP_vector_typeIjLj3EEjjjS8_jjjS8_jjjj.uses_flat_scratch, 0
	.set _ZL13mul_mat_vec_qIL9ggml_type7ELi6ELb0ELb0EEvPKvS2_PKi31ggml_cuda_mm_fusion_args_devicePfj15HIP_vector_typeIjLj3EEjjjS8_jjjS8_jjjj.has_dyn_sized_stack, 0
	.set _ZL13mul_mat_vec_qIL9ggml_type7ELi6ELb0ELb0EEvPKvS2_PKi31ggml_cuda_mm_fusion_args_devicePfj15HIP_vector_typeIjLj3EEjjjS8_jjjS8_jjjj.has_recursion, 0
	.set _ZL13mul_mat_vec_qIL9ggml_type7ELi6ELb0ELb0EEvPKvS2_PKi31ggml_cuda_mm_fusion_args_devicePfj15HIP_vector_typeIjLj3EEjjjS8_jjjS8_jjjj.has_indirect_call, 0
	.section	.AMDGPU.csdata,"",@progbits
; Kernel info:
; codeLenInByte = 4352
; TotalNumSgprs: 30
; NumVgprs: 40
; ScratchSize: 0
; MemoryBound: 0
; FloatMode: 240
; IeeeMode: 1
; LDSByteSize: 0 bytes/workgroup (compile time only)
; SGPRBlocks: 3
; VGPRBlocks: 9
; NumSGPRsForWavesPerEU: 30
; NumVGPRsForWavesPerEU: 40
; Occupancy: 6
; WaveLimiterHint : 0
; COMPUTE_PGM_RSRC2:SCRATCH_EN: 0
; COMPUTE_PGM_RSRC2:USER_SGPR: 6
; COMPUTE_PGM_RSRC2:TRAP_HANDLER: 0
; COMPUTE_PGM_RSRC2:TGID_X_EN: 1
; COMPUTE_PGM_RSRC2:TGID_Y_EN: 1
; COMPUTE_PGM_RSRC2:TGID_Z_EN: 1
; COMPUTE_PGM_RSRC2:TIDIG_COMP_CNT: 1
	.section	.text._ZL13mul_mat_vec_qIL9ggml_type7ELi7ELb0ELb0EEvPKvS2_PKi31ggml_cuda_mm_fusion_args_devicePfj15HIP_vector_typeIjLj3EEjjjS8_jjjS8_jjjj,"axG",@progbits,_ZL13mul_mat_vec_qIL9ggml_type7ELi7ELb0ELb0EEvPKvS2_PKi31ggml_cuda_mm_fusion_args_devicePfj15HIP_vector_typeIjLj3EEjjjS8_jjjS8_jjjj,comdat
	.globl	_ZL13mul_mat_vec_qIL9ggml_type7ELi7ELb0ELb0EEvPKvS2_PKi31ggml_cuda_mm_fusion_args_devicePfj15HIP_vector_typeIjLj3EEjjjS8_jjjS8_jjjj ; -- Begin function _ZL13mul_mat_vec_qIL9ggml_type7ELi7ELb0ELb0EEvPKvS2_PKi31ggml_cuda_mm_fusion_args_devicePfj15HIP_vector_typeIjLj3EEjjjS8_jjjS8_jjjj
	.p2align	8
	.type	_ZL13mul_mat_vec_qIL9ggml_type7ELi7ELb0ELb0EEvPKvS2_PKi31ggml_cuda_mm_fusion_args_devicePfj15HIP_vector_typeIjLj3EEjjjS8_jjjS8_jjjj,@function
_ZL13mul_mat_vec_qIL9ggml_type7ELi7ELb0ELb0EEvPKvS2_PKi31ggml_cuda_mm_fusion_args_devicePfj15HIP_vector_typeIjLj3EEjjjS8_jjjS8_jjjj: ; @_ZL13mul_mat_vec_qIL9ggml_type7ELi7ELb0ELb0EEvPKvS2_PKi31ggml_cuda_mm_fusion_args_devicePfj15HIP_vector_typeIjLj3EEjjjS8_jjjS8_jjjj
; %bb.0:
	s_load_dword s9, s[4:5], 0x40
	s_load_dwordx4 s[0:3], s[4:5], 0x50
	s_load_dword s25, s[4:5], 0x60
	s_load_dwordx4 s[12:15], s[4:5], 0x68
	;; [unrolled: 2-line block ×3, first 2 shown]
	v_lshl_or_b32 v2, v1, 6, v0
	s_waitcnt lgkmcnt(0)
	s_lshr_b32 s9, s9, 5
	v_lshrrev_b16_e32 v21, 1, v2
	s_lshl_b32 s6, s6, 1
	v_cmp_gt_u32_e32 vcc, s9, v21
	v_mov_b32_e32 v7, 0
	v_mov_b32_e32 v8, 0
	;; [unrolled: 1-line block ×14, first 2 shown]
	s_and_saveexec_b64 s[10:11], vcc
	s_cbranch_execz .LBB58_4
; %bb.1:
	s_load_dwordx4 s[20:23], s[4:5], 0x0
	s_mul_i32 s17, s17, s8
	s_mul_hi_u32 s19, s17, 36
	s_mul_i32 s17, s17, 36
	s_mul_i32 s13, s13, s7
	s_waitcnt lgkmcnt(0)
	s_add_u32 s17, s22, s17
	s_addc_u32 s19, s23, s19
	s_mul_hi_u32 s23, s13, 36
	s_mul_i32 s13, s13, 36
	s_add_u32 s22, s17, s13
	s_mul_hi_u32 s3, s3, s7
	s_addc_u32 s23, s19, s23
	s_add_i32 s3, s7, s3
	s_lshr_b32 s3, s3, s25
	s_mul_i32 s3, s3, s12
	s_mul_hi_u32 s12, s15, s8
	s_add_i32 s12, s8, s12
	s_lshr_b32 s12, s12, s24
	s_mul_i32 s12, s12, s16
	v_lshlrev_b32_e32 v3, 1, v0
	s_add_i32 s13, s6, 1
	v_and_b32_e32 v4, 2, v3
	s_add_i32 s12, s12, s3
	s_mul_i32 s3, s6, s0
	s_mul_i32 s0, s0, s13
	v_and_b32_e32 v3, 1, v0
	v_lshrrev_b32_e32 v2, 1, v2
	s_add_i32 s3, s12, s3
	s_add_i32 s0, s12, s0
	v_lshlrev_b32_e32 v24, 3, v3
	v_mad_u64_u32 v[2:3], s[12:13], v2, 36, s[22:23]
	v_lshlrev_b32_e32 v22, 2, v4
	v_mov_b32_e32 v7, 0
	v_or_b32_e32 v23, 4, v22
	s_lshl_b32 s15, s1, 1
	s_mul_i32 s16, s1, 3
	s_lshl_b32 s17, s1, 2
	s_mul_i32 s19, s1, 5
	s_mul_i32 s24, s1, 6
	s_mov_b64 s[12:13], 0
	v_lshlrev_b32_e32 v25, 2, v4
	v_mov_b32_e32 v8, 0
	v_mov_b32_e32 v9, 0
	;; [unrolled: 1-line block ×13, first 2 shown]
.LBB58_2:                               ; =>This Inner Loop Header: Depth=1
	v_add_u32_e32 v6, s3, v21
	v_mad_i64_i32 v[26:27], s[26:27], v6, 24, s[20:21]
	v_add_co_u32_e32 v4, vcc, v2, v24
	v_addc_co_u32_e32 v5, vcc, 0, v3, vcc
	global_load_dwordx2 v[32:33], v[4:5], off offset:4
	global_load_dwordx2 v[34:35], v[4:5], off offset:20
	global_load_dword v38, v[2:3], off
	s_nop 0
	global_load_dwordx2 v[4:5], v[26:27], off
	v_add_co_u32_e32 v26, vcc, v26, v25
	v_addc_co_u32_e32 v27, vcc, 0, v27, vcc
	global_load_dwordx2 v[28:29], v[26:27], off offset:8
	s_waitcnt vmcnt(1)
	v_ashrrev_i32_e32 v6, v22, v5
	v_lshlrev_b32_e32 v27, 4, v6
	v_lshlrev_b32_e32 v30, 11, v6
	v_and_b32_e32 v27, 16, v27
	v_and_b32_e32 v30, 0x1000, v30
	s_waitcnt vmcnt(0)
	v_and_b32_e32 v26, 0xf0f0f0f, v28
	v_or3_b32 v26, v27, v26, v30
	v_lshlrev_b32_e32 v27, 18, v6
	v_lshlrev_b32_e32 v30, 25, v6
	v_and_b32_e32 v27, 0x100000, v27
	v_and_b32_e32 v30, 0x10000000, v30
	v_or3_b32 v26, v26, v27, v30
	v_lshrrev_b32_e32 v27, 4, v28
	v_lshrrev_b32_e32 v28, 12, v6
	;; [unrolled: 1-line block ×3, first 2 shown]
	v_lshlrev_b32_e32 v36, 2, v6
	v_and_b32_e32 v28, 16, v28
	v_and_b32_e32 v31, 0x1000, v31
	;; [unrolled: 1-line block ×3, first 2 shown]
	v_lshlrev_b32_e32 v6, 9, v6
	v_and_b32_e32 v27, 0xf0f0f0f, v27
	v_and_b32_e32 v6, 0x10000000, v6
	v_or3_b32 v28, v31, v28, v36
	v_ashrrev_i32_e32 v5, v23, v5
	v_dot4_i32_i8 v30, v26, v32, 0
	v_or3_b32 v27, v28, v6, v27
	v_dot4_i32_i8 v6, v27, v34, v30
	v_lshlrev_b32_e32 v30, 4, v5
	v_lshlrev_b32_e32 v31, 11, v5
	;; [unrolled: 1-line block ×3, first 2 shown]
	v_and_b32_e32 v30, 16, v30
	v_and_b32_e32 v31, 0x1000, v31
	v_and_b32_e32 v36, 0x100000, v36
	v_lshlrev_b32_e32 v37, 25, v5
	v_and_b32_e32 v28, 0xf0f0f0f, v29
	v_and_b32_e32 v37, 0x10000000, v37
	v_or3_b32 v30, v31, v30, v36
	v_or3_b32 v28, v30, v37, v28
	v_lshrrev_b32_e32 v30, 12, v5
	v_lshrrev_b32_e32 v31, 5, v5
	v_lshlrev_b32_e32 v36, 2, v5
	v_lshrrev_b32_e32 v29, 4, v29
	v_and_b32_e32 v30, 16, v30
	v_and_b32_e32 v31, 0x1000, v31
	;; [unrolled: 1-line block ×3, first 2 shown]
	v_lshlrev_b32_e32 v5, 9, v5
	v_and_b32_e32 v29, 0xf0f0f0f, v29
	v_and_b32_e32 v5, 0x10000000, v5
	v_or3_b32 v30, v31, v30, v36
	v_dot4_i32_i8 v6, v28, v33, v6
	v_or3_b32 v29, v30, v5, v29
	v_dot4_i32_i8 v5, v29, v35, v6
	v_pk_mul_f16 v6, v4, v38
	v_cvt_f32_f16_sdwa v30, v6 dst_sel:DWORD dst_unused:UNUSED_PAD src0_sel:WORD_1
	v_cvt_f32_i32_e32 v5, v5
	v_mul_f32_e32 v30, 0.5, v30
	v_fma_mix_f32 v5, v5, v6, v30 op_sel_hi:[0,1,0]
	v_add_f32_e32 v20, v20, v5
	v_add_u32_e32 v5, s0, v21
	v_mad_i64_i32 v[30:31], s[26:27], v5, 24, s[20:21]
	global_load_dwordx2 v[5:6], v[30:31], off
	v_add_co_u32_e32 v30, vcc, v30, v25
	v_addc_co_u32_e32 v31, vcc, 0, v31, vcc
	global_load_dwordx2 v[36:37], v[30:31], off offset:8
	s_waitcnt vmcnt(1)
	v_ashrrev_i32_e32 v31, v22, v6
	v_lshlrev_b32_e32 v39, 4, v31
	v_lshlrev_b32_e32 v40, 11, v31
	v_and_b32_e32 v39, 16, v39
	v_and_b32_e32 v40, 0x1000, v40
	s_waitcnt vmcnt(0)
	v_and_b32_e32 v30, 0xf0f0f0f, v36
	v_or3_b32 v30, v39, v30, v40
	v_lshlrev_b32_e32 v39, 18, v31
	v_lshlrev_b32_e32 v40, 25, v31
	v_and_b32_e32 v39, 0x100000, v39
	v_and_b32_e32 v40, 0x10000000, v40
	v_or3_b32 v30, v30, v39, v40
	v_lshrrev_b32_e32 v39, 12, v31
	v_lshrrev_b32_e32 v40, 5, v31
	v_lshlrev_b32_e32 v41, 2, v31
	v_lshrrev_b32_e32 v36, 4, v36
	v_and_b32_e32 v39, 16, v39
	v_and_b32_e32 v40, 0x1000, v40
	;; [unrolled: 1-line block ×3, first 2 shown]
	v_lshlrev_b32_e32 v31, 9, v31
	v_ashrrev_i32_e32 v6, v23, v6
	v_and_b32_e32 v36, 0xf0f0f0f, v36
	v_and_b32_e32 v31, 0x10000000, v31
	v_or3_b32 v39, v40, v39, v41
	v_or3_b32 v31, v39, v31, v36
	v_lshlrev_b32_e32 v36, 4, v6
	v_lshlrev_b32_e32 v39, 11, v6
	;; [unrolled: 1-line block ×3, first 2 shown]
	v_dot4_i32_i8 v32, v30, v32, 0
	v_and_b32_e32 v36, 16, v36
	v_and_b32_e32 v39, 0x1000, v39
	;; [unrolled: 1-line block ×3, first 2 shown]
	v_lshlrev_b32_e32 v41, 25, v6
	v_dot4_i32_i8 v34, v31, v34, v32
	v_and_b32_e32 v32, 0xf0f0f0f, v37
	v_and_b32_e32 v41, 0x10000000, v41
	v_or3_b32 v36, v39, v36, v40
	v_or3_b32 v32, v36, v41, v32
	v_dot4_i32_i8 v33, v32, v33, v34
	v_lshrrev_b32_e32 v34, 4, v37
	v_lshrrev_b32_e32 v36, 12, v6
	;; [unrolled: 1-line block ×3, first 2 shown]
	v_lshlrev_b32_e32 v39, 2, v6
	v_and_b32_e32 v36, 16, v36
	v_and_b32_e32 v37, 0x1000, v37
	;; [unrolled: 1-line block ×3, first 2 shown]
	v_lshlrev_b32_e32 v6, 9, v6
	v_and_b32_e32 v34, 0xf0f0f0f, v34
	v_and_b32_e32 v6, 0x10000000, v6
	v_or3_b32 v36, v37, v36, v39
	v_or3_b32 v6, v36, v6, v34
	v_pk_mul_f16 v34, v5, v38
	v_dot4_i32_i8 v33, v6, v35, v33
	v_cvt_f32_f16_sdwa v35, v34 dst_sel:DWORD dst_unused:UNUSED_PAD src0_sel:WORD_1
	v_cvt_f32_i32_e32 v33, v33
	v_mul_f32_e32 v35, 0.5, v35
	v_fma_mix_f32 v33, v33, v34, v35 op_sel_hi:[0,1,0]
	v_add_f32_e32 v19, v19, v33
	v_add_u32_e32 v33, s1, v21
	v_mad_u64_u32 v[33:34], s[26:27], v33, 36, s[22:23]
	v_add_co_u32_e32 v35, vcc, v33, v25
	v_addc_co_u32_e32 v36, vcc, 0, v34, vcc
	global_load_dwordx2 v[37:38], v[35:36], off offset:4
	global_load_dwordx2 v[39:40], v[35:36], off offset:20
	global_load_dword v41, v[33:34], off
	s_waitcnt vmcnt(2)
	v_dot4_i32_i8 v33, v26, v37, 0
	s_waitcnt vmcnt(1)
	v_dot4_i32_i8 v33, v27, v39, v33
	v_dot4_i32_i8 v33, v28, v38, v33
	s_waitcnt vmcnt(0)
	v_pk_mul_f16 v34, v4, v41
	v_dot4_i32_i8 v33, v29, v40, v33
	v_cvt_f32_f16_sdwa v35, v34 dst_sel:DWORD dst_unused:UNUSED_PAD src0_sel:WORD_1
	v_cvt_f32_i32_e32 v33, v33
	v_mul_f32_e32 v35, 0.5, v35
	v_fma_mix_f32 v33, v33, v34, v35 op_sel_hi:[0,1,0]
	v_add_f32_e32 v18, v18, v33
	v_dot4_i32_i8 v33, v30, v37, 0
	v_dot4_i32_i8 v33, v31, v39, v33
	v_dot4_i32_i8 v33, v32, v38, v33
	v_pk_mul_f16 v34, v5, v41
	v_dot4_i32_i8 v33, v6, v40, v33
	v_cvt_f32_f16_sdwa v35, v34 dst_sel:DWORD dst_unused:UNUSED_PAD src0_sel:WORD_1
	v_cvt_f32_i32_e32 v33, v33
	v_mul_f32_e32 v35, 0.5, v35
	v_fma_mix_f32 v33, v33, v34, v35 op_sel_hi:[0,1,0]
	v_add_f32_e32 v17, v17, v33
	v_add_u32_e32 v33, s15, v21
	v_mad_u64_u32 v[33:34], s[26:27], v33, 36, s[22:23]
	v_add_co_u32_e32 v35, vcc, v33, v25
	v_addc_co_u32_e32 v36, vcc, 0, v34, vcc
	global_load_dwordx2 v[37:38], v[35:36], off offset:4
	global_load_dwordx2 v[39:40], v[35:36], off offset:20
	global_load_dword v41, v[33:34], off
	s_waitcnt vmcnt(2)
	v_dot4_i32_i8 v33, v26, v37, 0
	s_waitcnt vmcnt(1)
	v_dot4_i32_i8 v33, v27, v39, v33
	v_dot4_i32_i8 v33, v28, v38, v33
	s_waitcnt vmcnt(0)
	v_pk_mul_f16 v34, v4, v41
	v_dot4_i32_i8 v33, v29, v40, v33
	v_cvt_f32_f16_sdwa v35, v34 dst_sel:DWORD dst_unused:UNUSED_PAD src0_sel:WORD_1
	v_cvt_f32_i32_e32 v33, v33
	v_mul_f32_e32 v35, 0.5, v35
	v_fma_mix_f32 v33, v33, v34, v35 op_sel_hi:[0,1,0]
	v_add_f32_e32 v16, v16, v33
	v_dot4_i32_i8 v33, v30, v37, 0
	v_dot4_i32_i8 v33, v31, v39, v33
	v_dot4_i32_i8 v33, v32, v38, v33
	v_pk_mul_f16 v34, v5, v41
	v_dot4_i32_i8 v33, v6, v40, v33
	v_cvt_f32_f16_sdwa v35, v34 dst_sel:DWORD dst_unused:UNUSED_PAD src0_sel:WORD_1
	v_cvt_f32_i32_e32 v33, v33
	v_mul_f32_e32 v35, 0.5, v35
	v_fma_mix_f32 v33, v33, v34, v35 op_sel_hi:[0,1,0]
	v_add_f32_e32 v15, v15, v33
	v_add_u32_e32 v33, s16, v21
	v_mad_u64_u32 v[33:34], s[26:27], v33, 36, s[22:23]
	v_add_co_u32_e32 v35, vcc, v33, v25
	v_addc_co_u32_e32 v36, vcc, 0, v34, vcc
	global_load_dwordx2 v[37:38], v[35:36], off offset:4
	global_load_dwordx2 v[39:40], v[35:36], off offset:20
	global_load_dword v41, v[33:34], off
	s_waitcnt vmcnt(2)
	v_dot4_i32_i8 v33, v26, v37, 0
	s_waitcnt vmcnt(1)
	v_dot4_i32_i8 v33, v27, v39, v33
	v_dot4_i32_i8 v33, v28, v38, v33
	s_waitcnt vmcnt(0)
	v_pk_mul_f16 v34, v4, v41
	v_dot4_i32_i8 v33, v29, v40, v33
	v_cvt_f32_f16_sdwa v35, v34 dst_sel:DWORD dst_unused:UNUSED_PAD src0_sel:WORD_1
	v_cvt_f32_i32_e32 v33, v33
	v_mul_f32_e32 v35, 0.5, v35
	v_fma_mix_f32 v33, v33, v34, v35 op_sel_hi:[0,1,0]
	v_add_f32_e32 v14, v14, v33
	v_dot4_i32_i8 v33, v30, v37, 0
	v_dot4_i32_i8 v33, v31, v39, v33
	v_dot4_i32_i8 v33, v32, v38, v33
	v_pk_mul_f16 v34, v5, v41
	v_dot4_i32_i8 v33, v6, v40, v33
	v_cvt_f32_f16_sdwa v35, v34 dst_sel:DWORD dst_unused:UNUSED_PAD src0_sel:WORD_1
	v_cvt_f32_i32_e32 v33, v33
	v_mul_f32_e32 v35, 0.5, v35
	v_fma_mix_f32 v33, v33, v34, v35 op_sel_hi:[0,1,0]
	v_add_f32_e32 v13, v13, v33
	v_add_u32_e32 v33, s17, v21
	v_mad_u64_u32 v[33:34], s[26:27], v33, 36, s[22:23]
	v_add_co_u32_e32 v35, vcc, v33, v25
	v_addc_co_u32_e32 v36, vcc, 0, v34, vcc
	global_load_dwordx2 v[37:38], v[35:36], off offset:4
	global_load_dwordx2 v[39:40], v[35:36], off offset:20
	global_load_dword v41, v[33:34], off
	s_waitcnt vmcnt(2)
	v_dot4_i32_i8 v33, v26, v37, 0
	s_waitcnt vmcnt(1)
	v_dot4_i32_i8 v33, v27, v39, v33
	v_dot4_i32_i8 v33, v28, v38, v33
	s_waitcnt vmcnt(0)
	v_pk_mul_f16 v34, v4, v41
	v_dot4_i32_i8 v33, v29, v40, v33
	v_cvt_f32_f16_sdwa v35, v34 dst_sel:DWORD dst_unused:UNUSED_PAD src0_sel:WORD_1
	v_cvt_f32_i32_e32 v33, v33
	v_mul_f32_e32 v35, 0.5, v35
	v_fma_mix_f32 v33, v33, v34, v35 op_sel_hi:[0,1,0]
	v_add_f32_e32 v12, v12, v33
	v_dot4_i32_i8 v33, v30, v37, 0
	v_dot4_i32_i8 v33, v31, v39, v33
	v_dot4_i32_i8 v33, v32, v38, v33
	v_pk_mul_f16 v34, v5, v41
	v_dot4_i32_i8 v33, v6, v40, v33
	v_cvt_f32_f16_sdwa v35, v34 dst_sel:DWORD dst_unused:UNUSED_PAD src0_sel:WORD_1
	v_cvt_f32_i32_e32 v33, v33
	v_mul_f32_e32 v35, 0.5, v35
	v_fma_mix_f32 v33, v33, v34, v35 op_sel_hi:[0,1,0]
	v_add_f32_e32 v11, v11, v33
	v_add_u32_e32 v33, s19, v21
	v_mad_u64_u32 v[33:34], s[26:27], v33, 36, s[22:23]
	v_add_co_u32_e32 v35, vcc, v33, v25
	v_addc_co_u32_e32 v36, vcc, 0, v34, vcc
	global_load_dwordx2 v[37:38], v[35:36], off offset:4
	global_load_dwordx2 v[39:40], v[35:36], off offset:20
	global_load_dword v41, v[33:34], off
	s_waitcnt vmcnt(2)
	v_dot4_i32_i8 v33, v26, v37, 0
	s_waitcnt vmcnt(1)
	v_dot4_i32_i8 v33, v27, v39, v33
	v_dot4_i32_i8 v33, v28, v38, v33
	s_waitcnt vmcnt(0)
	v_pk_mul_f16 v34, v4, v41
	v_dot4_i32_i8 v33, v29, v40, v33
	v_cvt_f32_f16_sdwa v35, v34 dst_sel:DWORD dst_unused:UNUSED_PAD src0_sel:WORD_1
	v_cvt_f32_i32_e32 v33, v33
	v_mul_f32_e32 v35, 0.5, v35
	v_fma_mix_f32 v33, v33, v34, v35 op_sel_hi:[0,1,0]
	v_add_f32_e32 v10, v10, v33
	v_dot4_i32_i8 v33, v30, v37, 0
	v_dot4_i32_i8 v33, v31, v39, v33
	v_dot4_i32_i8 v33, v32, v38, v33
	v_pk_mul_f16 v34, v5, v41
	v_dot4_i32_i8 v33, v6, v40, v33
	v_cvt_f32_f16_sdwa v35, v34 dst_sel:DWORD dst_unused:UNUSED_PAD src0_sel:WORD_1
	v_cvt_f32_i32_e32 v33, v33
	v_mul_f32_e32 v35, 0.5, v35
	v_fma_mix_f32 v33, v33, v34, v35 op_sel_hi:[0,1,0]
	v_add_f32_e32 v9, v9, v33
	v_add_u32_e32 v33, s24, v21
	v_mad_u64_u32 v[33:34], s[26:27], v33, 36, s[22:23]
	v_add_u32_e32 v21, 32, v21
	v_add_co_u32_e32 v35, vcc, v33, v25
	v_addc_co_u32_e32 v36, vcc, 0, v34, vcc
	global_load_dwordx2 v[37:38], v[35:36], off offset:4
	global_load_dwordx2 v[39:40], v[35:36], off offset:20
	global_load_dword v41, v[33:34], off
	v_add_co_u32_e32 v2, vcc, 0x480, v2
	v_addc_co_u32_e32 v3, vcc, 0, v3, vcc
	v_cmp_le_u32_e32 vcc, s9, v21
	s_or_b64 s[12:13], vcc, s[12:13]
	s_waitcnt vmcnt(2)
	v_dot4_i32_i8 v26, v26, v37, 0
	s_waitcnt vmcnt(1)
	v_dot4_i32_i8 v26, v27, v39, v26
	v_dot4_i32_i8 v26, v28, v38, v26
	s_waitcnt vmcnt(0)
	v_pk_mul_f16 v4, v4, v41
	v_dot4_i32_i8 v26, v29, v40, v26
	v_cvt_f32_f16_sdwa v27, v4 dst_sel:DWORD dst_unused:UNUSED_PAD src0_sel:WORD_1
	v_cvt_f32_i32_e32 v26, v26
	v_pk_mul_f16 v5, v5, v41
	v_mul_f32_e32 v27, 0.5, v27
	v_fma_mix_f32 v4, v26, v4, v27 op_sel_hi:[0,1,0]
	v_add_f32_e32 v8, v8, v4
	v_dot4_i32_i8 v4, v30, v37, 0
	v_dot4_i32_i8 v4, v31, v39, v4
	;; [unrolled: 1-line block ×4, first 2 shown]
	v_cvt_f32_f16_sdwa v6, v5 dst_sel:DWORD dst_unused:UNUSED_PAD src0_sel:WORD_1
	v_cvt_f32_i32_e32 v4, v4
	v_mul_f32_e32 v6, 0.5, v6
	v_fma_mix_f32 v4, v4, v5, v6 op_sel_hi:[0,1,0]
	v_add_f32_e32 v7, v7, v4
	s_andn2_b64 exec, exec, s[12:13]
	s_cbranch_execnz .LBB58_2
; %bb.3:
	s_or_b64 exec, exec, s[12:13]
.LBB58_4:
	s_or_b64 exec, exec, s[10:11]
	s_mov_b32 s1, 0
	v_cmp_eq_u32_e32 vcc, 0, v1
	; wave barrier
	s_and_saveexec_b64 s[10:11], vcc
	s_cbranch_execz .LBB58_19
; %bb.5:
	v_mbcnt_lo_u32_b32 v1, -1, 0
	v_mbcnt_hi_u32_b32 v6, -1, v1
	v_and_b32_e32 v1, 64, v6
	v_add_u32_e32 v21, 64, v1
	v_xor_b32_e32 v1, 32, v6
	v_cmp_lt_i32_e32 vcc, v1, v21
	v_cndmask_b32_e32 v1, v6, v1, vcc
	v_lshlrev_b32_e32 v1, 2, v1
	ds_bpermute_b32 v5, v1, v20
	ds_bpermute_b32 v22, v1, v19
	v_xor_b32_e32 v2, 16, v6
	v_cmp_lt_i32_e32 vcc, v2, v21
	v_cndmask_b32_e32 v2, v6, v2, vcc
	v_lshlrev_b32_e32 v2, 2, v2
	s_waitcnt lgkmcnt(1)
	v_add_f32_e32 v5, v20, v5
	s_waitcnt lgkmcnt(0)
	v_add_f32_e32 v19, v19, v22
	ds_bpermute_b32 v20, v2, v5
	ds_bpermute_b32 v22, v2, v19
	v_xor_b32_e32 v3, 8, v6
	v_cmp_lt_i32_e32 vcc, v3, v21
	v_cndmask_b32_e32 v3, v6, v3, vcc
	v_lshlrev_b32_e32 v3, 2, v3
	s_waitcnt lgkmcnt(1)
	v_add_f32_e32 v20, v5, v20
	s_waitcnt lgkmcnt(0)
	v_add_f32_e32 v19, v19, v22
	;; [unrolled: 10-line block ×3, first 2 shown]
	ds_bpermute_b32 v24, v4, v20
	ds_bpermute_b32 v22, v4, v19
	v_xor_b32_e32 v23, 2, v6
	v_cmp_lt_i32_e32 vcc, v23, v21
	v_cndmask_b32_e32 v23, v6, v23, vcc
	v_lshlrev_b32_e32 v5, 2, v23
	v_xor_b32_e32 v23, 1, v6
	v_cmp_lt_i32_e32 vcc, v23, v21
	s_waitcnt lgkmcnt(1)
	v_add_f32_e32 v21, v20, v24
	s_waitcnt lgkmcnt(0)
	v_add_f32_e32 v19, v19, v22
	v_cndmask_b32_e32 v6, v6, v23, vcc
	ds_bpermute_b32 v23, v5, v21
	ds_bpermute_b32 v22, v5, v19
	s_load_dwordx2 s[4:5], s[4:5], 0x38
	s_mul_i32 s3, s14, s7
	v_lshlrev_b32_e32 v20, 2, v6
	s_waitcnt lgkmcnt(0)
	v_add_f32_e32 v6, v21, v23
	v_add_f32_e32 v19, v19, v22
	s_mul_i32 s0, s18, s8
	s_add_i32 s3, s3, s6
	ds_bpermute_b32 v21, v20, v6
	ds_bpermute_b32 v22, v20, v19
	s_add_i32 s0, s3, s0
	s_lshl_b64 s[0:1], s[0:1], 2
	s_add_u32 s4, s4, s0
	v_add_u32_e32 v23, s6, v0
	s_addc_u32 s5, s5, s1
	v_cmp_gt_u32_e32 vcc, 2, v0
	v_cmp_gt_u32_e64 s[0:1], s2, v23
	s_and_b64 s[0:1], vcc, s[0:1]
	s_waitcnt lgkmcnt(1)
	v_add_f32_e32 v6, v6, v21
	s_waitcnt lgkmcnt(0)
	v_add_f32_e32 v19, v19, v22
	s_and_saveexec_b64 s[6:7], s[0:1]
	s_cbranch_execz .LBB58_7
; %bb.6:
	v_cmp_eq_u32_e32 vcc, 1, v0
	v_cndmask_b32_e32 v21, v6, v19, vcc
	v_cmp_eq_u32_e32 vcc, 2, v0
	v_cndmask_b32_e32 v21, v21, v18, vcc
	;; [unrolled: 2-line block ×13, first 2 shown]
	v_lshlrev_b32_e32 v22, 2, v0
	global_store_dword v22, v21, s[4:5]
.LBB58_7:
	s_or_b64 exec, exec, s[6:7]
	ds_bpermute_b32 v21, v1, v18
	ds_bpermute_b32 v22, v1, v17
	s_waitcnt lgkmcnt(1)
	v_add_f32_e32 v18, v18, v21
	s_waitcnt lgkmcnt(0)
	v_add_f32_e32 v17, v17, v22
	ds_bpermute_b32 v21, v2, v18
	ds_bpermute_b32 v22, v2, v17
	s_waitcnt lgkmcnt(1)
	v_add_f32_e32 v18, v18, v21
	s_waitcnt lgkmcnt(0)
	v_add_f32_e32 v17, v17, v22
	;; [unrolled: 6-line block ×6, first 2 shown]
	s_and_saveexec_b64 s[6:7], s[0:1]
	s_cbranch_execz .LBB58_9
; %bb.8:
	v_add_u32_e32 v21, 2, v0
	v_cmp_eq_u32_e32 vcc, 1, v21
	v_cndmask_b32_e32 v22, v6, v19, vcc
	v_cmp_eq_u32_e32 vcc, 2, v21
	v_cndmask_b32_e32 v22, v22, v18, vcc
	;; [unrolled: 2-line block ×13, first 2 shown]
	v_add_u32_e32 v21, s2, v0
	v_mov_b32_e32 v22, 0
	v_lshlrev_b64 v[21:22], 2, v[21:22]
	v_mov_b32_e32 v24, s5
	v_add_co_u32_e32 v21, vcc, s4, v21
	v_addc_co_u32_e32 v22, vcc, v24, v22, vcc
	global_store_dword v[21:22], v23, off
.LBB58_9:
	s_or_b64 exec, exec, s[6:7]
	ds_bpermute_b32 v21, v1, v16
	ds_bpermute_b32 v22, v1, v15
	s_waitcnt lgkmcnt(1)
	v_add_f32_e32 v16, v16, v21
	s_waitcnt lgkmcnt(0)
	v_add_f32_e32 v15, v15, v22
	ds_bpermute_b32 v21, v2, v16
	ds_bpermute_b32 v22, v2, v15
	s_waitcnt lgkmcnt(1)
	v_add_f32_e32 v16, v16, v21
	s_waitcnt lgkmcnt(0)
	v_add_f32_e32 v15, v15, v22
	;; [unrolled: 6-line block ×6, first 2 shown]
	s_and_saveexec_b64 s[6:7], s[0:1]
	s_cbranch_execz .LBB58_11
; %bb.10:
	v_add_u32_e32 v21, 4, v0
	v_cmp_eq_u32_e32 vcc, 1, v21
	v_cndmask_b32_e32 v22, v6, v19, vcc
	v_cmp_eq_u32_e32 vcc, 2, v21
	v_cndmask_b32_e32 v22, v22, v18, vcc
	;; [unrolled: 2-line block ×13, first 2 shown]
	v_lshl_or_b32 v21, s2, 1, v0
	v_mov_b32_e32 v22, 0
	v_lshlrev_b64 v[21:22], 2, v[21:22]
	v_mov_b32_e32 v24, s5
	v_add_co_u32_e32 v21, vcc, s4, v21
	v_addc_co_u32_e32 v22, vcc, v24, v22, vcc
	global_store_dword v[21:22], v23, off
.LBB58_11:
	s_or_b64 exec, exec, s[6:7]
	ds_bpermute_b32 v21, v1, v14
	ds_bpermute_b32 v22, v1, v13
	s_waitcnt lgkmcnt(1)
	v_add_f32_e32 v14, v14, v21
	s_waitcnt lgkmcnt(0)
	v_add_f32_e32 v13, v13, v22
	ds_bpermute_b32 v21, v2, v14
	ds_bpermute_b32 v22, v2, v13
	s_waitcnt lgkmcnt(1)
	v_add_f32_e32 v14, v14, v21
	s_waitcnt lgkmcnt(0)
	v_add_f32_e32 v13, v13, v22
	;; [unrolled: 6-line block ×6, first 2 shown]
	s_and_saveexec_b64 s[6:7], s[0:1]
	s_cbranch_execz .LBB58_13
; %bb.12:
	v_add_u32_e32 v23, 6, v0
	v_cmp_eq_u32_e32 vcc, 1, v23
	v_cndmask_b32_e32 v21, v6, v19, vcc
	v_cmp_eq_u32_e32 vcc, 2, v23
	v_cndmask_b32_e32 v21, v21, v18, vcc
	;; [unrolled: 2-line block ×12, first 2 shown]
	v_mad_u64_u32 v[21:22], s[8:9], s2, 3, v[0:1]
	v_mov_b32_e32 v22, 0
	v_cmp_eq_u32_e32 vcc, 13, v23
	v_lshlrev_b64 v[21:22], 2, v[21:22]
	v_cndmask_b32_e32 v23, v24, v7, vcc
	v_mov_b32_e32 v24, s5
	v_add_co_u32_e32 v21, vcc, s4, v21
	v_addc_co_u32_e32 v22, vcc, v24, v22, vcc
	global_store_dword v[21:22], v23, off
.LBB58_13:
	s_or_b64 exec, exec, s[6:7]
	ds_bpermute_b32 v21, v1, v12
	ds_bpermute_b32 v22, v1, v11
	s_waitcnt lgkmcnt(1)
	v_add_f32_e32 v12, v12, v21
	s_waitcnt lgkmcnt(0)
	v_add_f32_e32 v11, v11, v22
	ds_bpermute_b32 v21, v2, v12
	ds_bpermute_b32 v22, v2, v11
	s_waitcnt lgkmcnt(1)
	v_add_f32_e32 v12, v12, v21
	s_waitcnt lgkmcnt(0)
	v_add_f32_e32 v11, v11, v22
	;; [unrolled: 6-line block ×6, first 2 shown]
	s_and_saveexec_b64 s[6:7], s[0:1]
	s_cbranch_execz .LBB58_15
; %bb.14:
	v_add_u32_e32 v21, 8, v0
	v_cmp_eq_u32_e32 vcc, 1, v21
	v_cndmask_b32_e32 v22, v6, v19, vcc
	v_cmp_eq_u32_e32 vcc, 2, v21
	v_cndmask_b32_e32 v22, v22, v18, vcc
	;; [unrolled: 2-line block ×13, first 2 shown]
	v_lshl_or_b32 v21, s2, 2, v0
	v_mov_b32_e32 v22, 0
	v_lshlrev_b64 v[21:22], 2, v[21:22]
	v_mov_b32_e32 v24, s5
	v_add_co_u32_e32 v21, vcc, s4, v21
	v_addc_co_u32_e32 v22, vcc, v24, v22, vcc
	global_store_dword v[21:22], v23, off
.LBB58_15:
	s_or_b64 exec, exec, s[6:7]
	ds_bpermute_b32 v21, v1, v10
	ds_bpermute_b32 v22, v1, v9
	s_waitcnt lgkmcnt(1)
	v_add_f32_e32 v10, v10, v21
	s_waitcnt lgkmcnt(0)
	v_add_f32_e32 v9, v9, v22
	ds_bpermute_b32 v21, v2, v10
	ds_bpermute_b32 v22, v2, v9
	s_waitcnt lgkmcnt(1)
	v_add_f32_e32 v10, v10, v21
	s_waitcnt lgkmcnt(0)
	v_add_f32_e32 v9, v9, v22
	;; [unrolled: 6-line block ×6, first 2 shown]
	s_and_saveexec_b64 s[6:7], s[0:1]
	s_cbranch_execz .LBB58_17
; %bb.16:
	v_add_u32_e32 v23, 10, v0
	v_cmp_eq_u32_e32 vcc, 1, v23
	v_cndmask_b32_e32 v21, v6, v19, vcc
	v_cmp_eq_u32_e32 vcc, 2, v23
	v_cndmask_b32_e32 v21, v21, v18, vcc
	;; [unrolled: 2-line block ×12, first 2 shown]
	v_mad_u64_u32 v[21:22], s[8:9], s2, 5, v[0:1]
	v_mov_b32_e32 v22, 0
	v_cmp_eq_u32_e32 vcc, 13, v23
	v_lshlrev_b64 v[21:22], 2, v[21:22]
	v_cndmask_b32_e32 v23, v24, v7, vcc
	v_mov_b32_e32 v24, s5
	v_add_co_u32_e32 v21, vcc, s4, v21
	v_addc_co_u32_e32 v22, vcc, v24, v22, vcc
	global_store_dword v[21:22], v23, off
.LBB58_17:
	s_or_b64 exec, exec, s[6:7]
	ds_bpermute_b32 v21, v1, v8
	ds_bpermute_b32 v1, v1, v7
	s_waitcnt lgkmcnt(1)
	v_add_f32_e32 v8, v8, v21
	s_waitcnt lgkmcnt(0)
	v_add_f32_e32 v1, v7, v1
	ds_bpermute_b32 v7, v2, v8
	ds_bpermute_b32 v2, v2, v1
	s_waitcnt lgkmcnt(1)
	v_add_f32_e32 v7, v8, v7
	s_waitcnt lgkmcnt(0)
	v_add_f32_e32 v1, v1, v2
	;; [unrolled: 6-line block ×5, first 2 shown]
	ds_bpermute_b32 v3, v20, v1
	ds_bpermute_b32 v4, v20, v2
	s_and_b64 exec, exec, s[0:1]
	s_cbranch_execz .LBB58_19
; %bb.18:
	s_waitcnt lgkmcnt(1)
	v_add_f32_e32 v1, v1, v3
	v_add_u32_e32 v3, 12, v0
	v_cmp_eq_u32_e32 vcc, 1, v3
	s_waitcnt lgkmcnt(0)
	v_add_f32_e32 v2, v2, v4
	v_cndmask_b32_e32 v4, v6, v19, vcc
	v_cmp_eq_u32_e32 vcc, 2, v3
	v_cndmask_b32_e32 v4, v4, v18, vcc
	v_cmp_eq_u32_e32 vcc, 3, v3
	;; [unrolled: 2-line block ×12, first 2 shown]
	s_mul_i32 s0, s2, 6
	v_cndmask_b32_e32 v2, v1, v2, vcc
	v_or_b32_e32 v0, s0, v0
	v_mov_b32_e32 v1, 0
	v_lshlrev_b64 v[0:1], 2, v[0:1]
	v_mov_b32_e32 v3, s5
	v_add_co_u32_e32 v0, vcc, s4, v0
	v_addc_co_u32_e32 v1, vcc, v3, v1, vcc
	global_store_dword v[0:1], v2, off
.LBB58_19:
	s_endpgm
	.section	.rodata,"a",@progbits
	.p2align	6, 0x0
	.amdhsa_kernel _ZL13mul_mat_vec_qIL9ggml_type7ELi7ELb0ELb0EEvPKvS2_PKi31ggml_cuda_mm_fusion_args_devicePfj15HIP_vector_typeIjLj3EEjjjS8_jjjS8_jjjj
		.amdhsa_group_segment_fixed_size 0
		.amdhsa_private_segment_fixed_size 0
		.amdhsa_kernarg_size 144
		.amdhsa_user_sgpr_count 6
		.amdhsa_user_sgpr_private_segment_buffer 1
		.amdhsa_user_sgpr_dispatch_ptr 0
		.amdhsa_user_sgpr_queue_ptr 0
		.amdhsa_user_sgpr_kernarg_segment_ptr 1
		.amdhsa_user_sgpr_dispatch_id 0
		.amdhsa_user_sgpr_flat_scratch_init 0
		.amdhsa_user_sgpr_private_segment_size 0
		.amdhsa_uses_dynamic_stack 0
		.amdhsa_system_sgpr_private_segment_wavefront_offset 0
		.amdhsa_system_sgpr_workgroup_id_x 1
		.amdhsa_system_sgpr_workgroup_id_y 1
		.amdhsa_system_sgpr_workgroup_id_z 1
		.amdhsa_system_sgpr_workgroup_info 0
		.amdhsa_system_vgpr_workitem_id 1
		.amdhsa_next_free_vgpr 42
		.amdhsa_next_free_sgpr 28
		.amdhsa_reserve_vcc 1
		.amdhsa_reserve_flat_scratch 0
		.amdhsa_float_round_mode_32 0
		.amdhsa_float_round_mode_16_64 0
		.amdhsa_float_denorm_mode_32 3
		.amdhsa_float_denorm_mode_16_64 3
		.amdhsa_dx10_clamp 1
		.amdhsa_ieee_mode 1
		.amdhsa_fp16_overflow 0
		.amdhsa_exception_fp_ieee_invalid_op 0
		.amdhsa_exception_fp_denorm_src 0
		.amdhsa_exception_fp_ieee_div_zero 0
		.amdhsa_exception_fp_ieee_overflow 0
		.amdhsa_exception_fp_ieee_underflow 0
		.amdhsa_exception_fp_ieee_inexact 0
		.amdhsa_exception_int_div_zero 0
	.end_amdhsa_kernel
	.section	.text._ZL13mul_mat_vec_qIL9ggml_type7ELi7ELb0ELb0EEvPKvS2_PKi31ggml_cuda_mm_fusion_args_devicePfj15HIP_vector_typeIjLj3EEjjjS8_jjjS8_jjjj,"axG",@progbits,_ZL13mul_mat_vec_qIL9ggml_type7ELi7ELb0ELb0EEvPKvS2_PKi31ggml_cuda_mm_fusion_args_devicePfj15HIP_vector_typeIjLj3EEjjjS8_jjjS8_jjjj,comdat
.Lfunc_end58:
	.size	_ZL13mul_mat_vec_qIL9ggml_type7ELi7ELb0ELb0EEvPKvS2_PKi31ggml_cuda_mm_fusion_args_devicePfj15HIP_vector_typeIjLj3EEjjjS8_jjjS8_jjjj, .Lfunc_end58-_ZL13mul_mat_vec_qIL9ggml_type7ELi7ELb0ELb0EEvPKvS2_PKi31ggml_cuda_mm_fusion_args_devicePfj15HIP_vector_typeIjLj3EEjjjS8_jjjS8_jjjj
                                        ; -- End function
	.set _ZL13mul_mat_vec_qIL9ggml_type7ELi7ELb0ELb0EEvPKvS2_PKi31ggml_cuda_mm_fusion_args_devicePfj15HIP_vector_typeIjLj3EEjjjS8_jjjS8_jjjj.num_vgpr, 42
	.set _ZL13mul_mat_vec_qIL9ggml_type7ELi7ELb0ELb0EEvPKvS2_PKi31ggml_cuda_mm_fusion_args_devicePfj15HIP_vector_typeIjLj3EEjjjS8_jjjS8_jjjj.num_agpr, 0
	.set _ZL13mul_mat_vec_qIL9ggml_type7ELi7ELb0ELb0EEvPKvS2_PKi31ggml_cuda_mm_fusion_args_devicePfj15HIP_vector_typeIjLj3EEjjjS8_jjjS8_jjjj.numbered_sgpr, 28
	.set _ZL13mul_mat_vec_qIL9ggml_type7ELi7ELb0ELb0EEvPKvS2_PKi31ggml_cuda_mm_fusion_args_devicePfj15HIP_vector_typeIjLj3EEjjjS8_jjjS8_jjjj.num_named_barrier, 0
	.set _ZL13mul_mat_vec_qIL9ggml_type7ELi7ELb0ELb0EEvPKvS2_PKi31ggml_cuda_mm_fusion_args_devicePfj15HIP_vector_typeIjLj3EEjjjS8_jjjS8_jjjj.private_seg_size, 0
	.set _ZL13mul_mat_vec_qIL9ggml_type7ELi7ELb0ELb0EEvPKvS2_PKi31ggml_cuda_mm_fusion_args_devicePfj15HIP_vector_typeIjLj3EEjjjS8_jjjS8_jjjj.uses_vcc, 1
	.set _ZL13mul_mat_vec_qIL9ggml_type7ELi7ELb0ELb0EEvPKvS2_PKi31ggml_cuda_mm_fusion_args_devicePfj15HIP_vector_typeIjLj3EEjjjS8_jjjS8_jjjj.uses_flat_scratch, 0
	.set _ZL13mul_mat_vec_qIL9ggml_type7ELi7ELb0ELb0EEvPKvS2_PKi31ggml_cuda_mm_fusion_args_devicePfj15HIP_vector_typeIjLj3EEjjjS8_jjjS8_jjjj.has_dyn_sized_stack, 0
	.set _ZL13mul_mat_vec_qIL9ggml_type7ELi7ELb0ELb0EEvPKvS2_PKi31ggml_cuda_mm_fusion_args_devicePfj15HIP_vector_typeIjLj3EEjjjS8_jjjS8_jjjj.has_recursion, 0
	.set _ZL13mul_mat_vec_qIL9ggml_type7ELi7ELb0ELb0EEvPKvS2_PKi31ggml_cuda_mm_fusion_args_devicePfj15HIP_vector_typeIjLj3EEjjjS8_jjjS8_jjjj.has_indirect_call, 0
	.section	.AMDGPU.csdata,"",@progbits
; Kernel info:
; codeLenInByte = 5012
; TotalNumSgprs: 32
; NumVgprs: 42
; ScratchSize: 0
; MemoryBound: 0
; FloatMode: 240
; IeeeMode: 1
; LDSByteSize: 0 bytes/workgroup (compile time only)
; SGPRBlocks: 3
; VGPRBlocks: 10
; NumSGPRsForWavesPerEU: 32
; NumVGPRsForWavesPerEU: 42
; Occupancy: 5
; WaveLimiterHint : 0
; COMPUTE_PGM_RSRC2:SCRATCH_EN: 0
; COMPUTE_PGM_RSRC2:USER_SGPR: 6
; COMPUTE_PGM_RSRC2:TRAP_HANDLER: 0
; COMPUTE_PGM_RSRC2:TGID_X_EN: 1
; COMPUTE_PGM_RSRC2:TGID_Y_EN: 1
; COMPUTE_PGM_RSRC2:TGID_Z_EN: 1
; COMPUTE_PGM_RSRC2:TIDIG_COMP_CNT: 1
	.section	.text._ZL13mul_mat_vec_qIL9ggml_type7ELi8ELb0ELb0EEvPKvS2_PKi31ggml_cuda_mm_fusion_args_devicePfj15HIP_vector_typeIjLj3EEjjjS8_jjjS8_jjjj,"axG",@progbits,_ZL13mul_mat_vec_qIL9ggml_type7ELi8ELb0ELb0EEvPKvS2_PKi31ggml_cuda_mm_fusion_args_devicePfj15HIP_vector_typeIjLj3EEjjjS8_jjjS8_jjjj,comdat
	.globl	_ZL13mul_mat_vec_qIL9ggml_type7ELi8ELb0ELb0EEvPKvS2_PKi31ggml_cuda_mm_fusion_args_devicePfj15HIP_vector_typeIjLj3EEjjjS8_jjjS8_jjjj ; -- Begin function _ZL13mul_mat_vec_qIL9ggml_type7ELi8ELb0ELb0EEvPKvS2_PKi31ggml_cuda_mm_fusion_args_devicePfj15HIP_vector_typeIjLj3EEjjjS8_jjjS8_jjjj
	.p2align	8
	.type	_ZL13mul_mat_vec_qIL9ggml_type7ELi8ELb0ELb0EEvPKvS2_PKi31ggml_cuda_mm_fusion_args_devicePfj15HIP_vector_typeIjLj3EEjjjS8_jjjS8_jjjj,@function
_ZL13mul_mat_vec_qIL9ggml_type7ELi8ELb0ELb0EEvPKvS2_PKi31ggml_cuda_mm_fusion_args_devicePfj15HIP_vector_typeIjLj3EEjjjS8_jjjS8_jjjj: ; @_ZL13mul_mat_vec_qIL9ggml_type7ELi8ELb0ELb0EEvPKvS2_PKi31ggml_cuda_mm_fusion_args_devicePfj15HIP_vector_typeIjLj3EEjjjS8_jjjS8_jjjj
; %bb.0:
	s_load_dword s9, s[4:5], 0x40
	s_load_dwordx4 s[0:3], s[4:5], 0x50
	s_load_dword s25, s[4:5], 0x60
	s_load_dwordx4 s[12:15], s[4:5], 0x68
	;; [unrolled: 2-line block ×3, first 2 shown]
	v_lshl_or_b32 v2, v1, 6, v0
	s_waitcnt lgkmcnt(0)
	s_lshr_b32 s9, s9, 5
	v_lshrrev_b16_e32 v27, 1, v2
	v_mov_b32_e32 v11, 0
	s_lshl_b32 s6, s6, 1
	v_cmp_gt_u32_e32 vcc, s9, v27
	v_mov_b32_e32 v12, v11
	v_mov_b32_e32 v13, v11
	;; [unrolled: 1-line block ×15, first 2 shown]
	s_and_saveexec_b64 s[10:11], vcc
	s_cbranch_execz .LBB59_4
; %bb.1:
	s_load_dwordx4 s[20:23], s[4:5], 0x0
	s_mul_i32 s17, s17, s8
	s_mul_hi_u32 s19, s17, 36
	s_mul_i32 s17, s17, 36
	s_mul_i32 s13, s13, s7
	s_waitcnt lgkmcnt(0)
	s_add_u32 s17, s22, s17
	s_addc_u32 s19, s23, s19
	s_mul_hi_u32 s23, s13, 36
	s_mul_i32 s13, s13, 36
	s_add_u32 s22, s17, s13
	s_mul_hi_u32 s3, s3, s7
	s_addc_u32 s23, s19, s23
	s_add_i32 s3, s7, s3
	s_lshr_b32 s3, s3, s25
	s_mul_i32 s3, s3, s12
	s_mul_hi_u32 s12, s15, s8
	s_add_i32 s12, s8, s12
	s_lshr_b32 s12, s12, s24
	s_mul_i32 s12, s12, s16
	v_lshlrev_b32_e32 v3, 1, v0
	s_add_i32 s13, s6, 1
	v_and_b32_e32 v4, 2, v3
	s_add_i32 s12, s12, s3
	s_mul_i32 s3, s6, s0
	s_mul_i32 s0, s0, s13
	v_and_b32_e32 v3, 1, v0
	v_lshrrev_b32_e32 v2, 1, v2
	s_add_i32 s3, s12, s3
	s_add_i32 s0, s12, s0
	v_lshlrev_b32_e32 v30, 3, v3
	v_mad_u64_u32 v[2:3], s[12:13], v2, 36, s[22:23]
	v_mov_b32_e32 v11, 0
	v_lshlrev_b32_e32 v28, 2, v4
	v_or_b32_e32 v29, 4, v28
	s_lshl_b32 s15, s1, 1
	s_mul_i32 s16, s1, 3
	s_lshl_b32 s17, s1, 2
	s_mul_i32 s19, s1, 5
	s_mul_i32 s24, s1, 6
	;; [unrolled: 1-line block ×3, first 2 shown]
	s_mov_b64 s[12:13], 0
	v_lshlrev_b32_e32 v31, 2, v4
	v_mov_b32_e32 v12, v11
	v_mov_b32_e32 v13, v11
	;; [unrolled: 1-line block ×15, first 2 shown]
.LBB59_2:                               ; =>This Inner Loop Header: Depth=1
	v_add_u32_e32 v6, s3, v27
	v_mad_i64_i32 v[32:33], s[26:27], v6, 24, s[20:21]
	v_add_co_u32_e32 v4, vcc, v2, v30
	v_addc_co_u32_e32 v5, vcc, 0, v3, vcc
	global_load_dwordx2 v[9:10], v[4:5], off offset:4
	global_load_dwordx2 v[7:8], v[4:5], off offset:20
	global_load_dword v37, v[2:3], off
	s_nop 0
	global_load_dwordx2 v[4:5], v[32:33], off
	v_add_co_u32_e32 v32, vcc, v32, v31
	v_addc_co_u32_e32 v33, vcc, 0, v33, vcc
	global_load_dwordx2 v[34:35], v[32:33], off offset:8
	s_waitcnt vmcnt(1)
	v_ashrrev_i32_e32 v6, v28, v5
	v_lshlrev_b32_e32 v33, 4, v6
	v_lshlrev_b32_e32 v36, 11, v6
	v_and_b32_e32 v33, 16, v33
	v_and_b32_e32 v36, 0x1000, v36
	s_waitcnt vmcnt(0)
	v_and_b32_e32 v32, 0xf0f0f0f, v34
	v_or3_b32 v32, v33, v32, v36
	v_lshlrev_b32_e32 v33, 18, v6
	v_lshlrev_b32_e32 v36, 25, v6
	v_and_b32_e32 v33, 0x100000, v33
	v_and_b32_e32 v36, 0x10000000, v36
	v_or3_b32 v32, v32, v33, v36
	v_lshrrev_b32_e32 v33, 4, v34
	v_lshrrev_b32_e32 v34, 12, v6
	;; [unrolled: 1-line block ×3, first 2 shown]
	v_lshlrev_b32_e32 v39, 2, v6
	v_and_b32_e32 v34, 16, v34
	v_and_b32_e32 v38, 0x1000, v38
	;; [unrolled: 1-line block ×3, first 2 shown]
	v_lshlrev_b32_e32 v6, 9, v6
	v_and_b32_e32 v33, 0xf0f0f0f, v33
	v_and_b32_e32 v6, 0x10000000, v6
	v_or3_b32 v34, v38, v34, v39
	v_ashrrev_i32_e32 v5, v29, v5
	v_dot4_i32_i8 v36, v32, v9, 0
	v_or3_b32 v33, v34, v6, v33
	v_dot4_i32_i8 v6, v33, v7, v36
	v_lshlrev_b32_e32 v36, 4, v5
	v_lshlrev_b32_e32 v38, 11, v5
	;; [unrolled: 1-line block ×3, first 2 shown]
	v_and_b32_e32 v36, 16, v36
	v_and_b32_e32 v38, 0x1000, v38
	v_and_b32_e32 v39, 0x100000, v39
	v_lshlrev_b32_e32 v40, 25, v5
	v_and_b32_e32 v34, 0xf0f0f0f, v35
	v_and_b32_e32 v40, 0x10000000, v40
	v_or3_b32 v36, v38, v36, v39
	v_or3_b32 v34, v36, v40, v34
	v_lshrrev_b32_e32 v36, 12, v5
	v_lshrrev_b32_e32 v38, 5, v5
	v_lshlrev_b32_e32 v39, 2, v5
	v_lshrrev_b32_e32 v35, 4, v35
	v_and_b32_e32 v36, 16, v36
	v_and_b32_e32 v38, 0x1000, v38
	;; [unrolled: 1-line block ×3, first 2 shown]
	v_lshlrev_b32_e32 v5, 9, v5
	v_and_b32_e32 v35, 0xf0f0f0f, v35
	v_and_b32_e32 v5, 0x10000000, v5
	v_or3_b32 v36, v38, v36, v39
	v_dot4_i32_i8 v6, v34, v10, v6
	v_or3_b32 v35, v36, v5, v35
	v_dot4_i32_i8 v5, v35, v8, v6
	v_pk_mul_f16 v6, v4, v37
	v_cvt_f32_f16_sdwa v36, v6 dst_sel:DWORD dst_unused:UNUSED_PAD src0_sel:WORD_1
	v_cvt_f32_i32_e32 v5, v5
	v_mul_f32_e32 v36, 0.5, v36
	v_fma_mix_f32 v5, v5, v6, v36 op_sel_hi:[0,1,0]
	v_add_f32_e32 v26, v26, v5
	v_add_u32_e32 v5, s0, v27
	v_mad_i64_i32 v[38:39], s[26:27], v5, 24, s[20:21]
	global_load_dwordx2 v[5:6], v[38:39], off
	v_add_co_u32_e32 v38, vcc, v38, v31
	v_addc_co_u32_e32 v39, vcc, 0, v39, vcc
	global_load_dwordx2 v[38:39], v[38:39], off offset:8
	s_waitcnt vmcnt(1)
	v_ashrrev_i32_e32 v36, v28, v6
	v_lshlrev_b32_e32 v41, 4, v36
	v_lshlrev_b32_e32 v42, 11, v36
	v_ashrrev_i32_e32 v40, v29, v6
	v_and_b32_e32 v41, 16, v41
	s_waitcnt vmcnt(0)
	v_and_b32_e32 v6, 0xf0f0f0f, v38
	v_and_b32_e32 v42, 0x1000, v42
	v_or3_b32 v6, v41, v6, v42
	v_lshlrev_b32_e32 v41, 18, v36
	v_lshlrev_b32_e32 v42, 25, v36
	v_and_b32_e32 v41, 0x100000, v41
	v_and_b32_e32 v42, 0x10000000, v42
	v_or3_b32 v6, v6, v41, v42
	v_dot4_i32_i8 v41, v6, v9, 0
	v_lshrrev_b32_e32 v9, 4, v38
	v_lshrrev_b32_e32 v38, 12, v36
	;; [unrolled: 1-line block ×3, first 2 shown]
	v_lshlrev_b32_e32 v43, 2, v36
	v_and_b32_e32 v38, 16, v38
	v_and_b32_e32 v42, 0x1000, v42
	v_and_b32_e32 v43, 0x100000, v43
	v_lshlrev_b32_e32 v36, 9, v36
	v_and_b32_e32 v9, 0xf0f0f0f, v9
	v_and_b32_e32 v36, 0x10000000, v36
	v_or3_b32 v38, v42, v38, v43
	v_or3_b32 v9, v38, v36, v9
	v_dot4_i32_i8 v7, v9, v7, v41
	v_lshlrev_b32_e32 v38, 4, v40
	v_lshlrev_b32_e32 v41, 11, v40
	;; [unrolled: 1-line block ×3, first 2 shown]
	v_and_b32_e32 v38, 16, v38
	v_and_b32_e32 v41, 0x1000, v41
	;; [unrolled: 1-line block ×3, first 2 shown]
	v_lshlrev_b32_e32 v43, 25, v40
	v_and_b32_e32 v36, 0xf0f0f0f, v39
	v_and_b32_e32 v43, 0x10000000, v43
	v_or3_b32 v38, v41, v38, v42
	v_or3_b32 v36, v38, v43, v36
	v_dot4_i32_i8 v10, v36, v10, v7
	v_lshrrev_b32_e32 v7, 4, v39
	v_lshrrev_b32_e32 v38, 12, v40
	;; [unrolled: 1-line block ×3, first 2 shown]
	v_lshlrev_b32_e32 v41, 2, v40
	v_and_b32_e32 v38, 16, v38
	v_and_b32_e32 v39, 0x1000, v39
	;; [unrolled: 1-line block ×3, first 2 shown]
	v_lshlrev_b32_e32 v40, 9, v40
	v_and_b32_e32 v7, 0xf0f0f0f, v7
	v_and_b32_e32 v40, 0x10000000, v40
	v_or3_b32 v38, v39, v38, v41
	v_or3_b32 v7, v38, v40, v7
	v_dot4_i32_i8 v8, v7, v8, v10
	v_pk_mul_f16 v10, v5, v37
	v_cvt_f32_f16_sdwa v37, v10 dst_sel:DWORD dst_unused:UNUSED_PAD src0_sel:WORD_1
	v_cvt_f32_i32_e32 v8, v8
	v_mul_f32_e32 v37, 0.5, v37
	v_fma_mix_f32 v8, v8, v10, v37 op_sel_hi:[0,1,0]
	v_add_f32_e32 v25, v25, v8
	v_add_u32_e32 v8, s1, v27
	v_mad_u64_u32 v[37:38], s[26:27], v8, 36, s[22:23]
	v_add_co_u32_e32 v39, vcc, v37, v31
	v_addc_co_u32_e32 v40, vcc, 0, v38, vcc
	global_load_dwordx2 v[41:42], v[39:40], off offset:4
	global_load_dwordx2 v[43:44], v[39:40], off offset:20
	global_load_dword v8, v[37:38], off
	s_waitcnt vmcnt(2)
	v_dot4_i32_i8 v10, v32, v41, 0
	s_waitcnt vmcnt(1)
	v_dot4_i32_i8 v10, v33, v43, v10
	v_dot4_i32_i8 v10, v34, v42, v10
	s_waitcnt vmcnt(0)
	v_pk_mul_f16 v37, v4, v8
	v_dot4_i32_i8 v10, v35, v44, v10
	v_cvt_f32_f16_sdwa v38, v37 dst_sel:DWORD dst_unused:UNUSED_PAD src0_sel:WORD_1
	v_cvt_f32_i32_e32 v10, v10
	v_pk_mul_f16 v8, v5, v8
	v_mul_f32_e32 v38, 0.5, v38
	v_fma_mix_f32 v10, v10, v37, v38 op_sel_hi:[0,1,0]
	v_add_f32_e32 v24, v24, v10
	v_dot4_i32_i8 v10, v6, v41, 0
	v_dot4_i32_i8 v10, v9, v43, v10
	v_dot4_i32_i8 v10, v36, v42, v10
	v_dot4_i32_i8 v10, v7, v44, v10
	v_cvt_f32_f16_sdwa v37, v8 dst_sel:DWORD dst_unused:UNUSED_PAD src0_sel:WORD_1
	v_cvt_f32_i32_e32 v10, v10
	v_mul_f32_e32 v37, 0.5, v37
	v_fma_mix_f32 v8, v10, v8, v37 op_sel_hi:[0,1,0]
	v_add_f32_e32 v23, v23, v8
	v_add_u32_e32 v8, s15, v27
	v_mad_u64_u32 v[37:38], s[26:27], v8, 36, s[22:23]
	v_add_co_u32_e32 v39, vcc, v37, v31
	v_addc_co_u32_e32 v40, vcc, 0, v38, vcc
	global_load_dwordx2 v[41:42], v[39:40], off offset:4
	global_load_dwordx2 v[43:44], v[39:40], off offset:20
	global_load_dword v8, v[37:38], off
	s_waitcnt vmcnt(2)
	v_dot4_i32_i8 v10, v32, v41, 0
	s_waitcnt vmcnt(1)
	v_dot4_i32_i8 v10, v33, v43, v10
	v_dot4_i32_i8 v10, v34, v42, v10
	s_waitcnt vmcnt(0)
	v_pk_mul_f16 v37, v4, v8
	v_dot4_i32_i8 v10, v35, v44, v10
	v_cvt_f32_f16_sdwa v38, v37 dst_sel:DWORD dst_unused:UNUSED_PAD src0_sel:WORD_1
	v_cvt_f32_i32_e32 v10, v10
	v_pk_mul_f16 v8, v5, v8
	v_mul_f32_e32 v38, 0.5, v38
	v_fma_mix_f32 v10, v10, v37, v38 op_sel_hi:[0,1,0]
	v_add_f32_e32 v22, v22, v10
	v_dot4_i32_i8 v10, v6, v41, 0
	v_dot4_i32_i8 v10, v9, v43, v10
	v_dot4_i32_i8 v10, v36, v42, v10
	v_dot4_i32_i8 v10, v7, v44, v10
	;; [unrolled: 30-line block ×6, first 2 shown]
	v_cvt_f32_f16_sdwa v37, v8 dst_sel:DWORD dst_unused:UNUSED_PAD src0_sel:WORD_1
	v_cvt_f32_i32_e32 v10, v10
	v_mul_f32_e32 v37, 0.5, v37
	v_fma_mix_f32 v8, v10, v8, v37 op_sel_hi:[0,1,0]
	v_add_f32_e32 v13, v13, v8
	v_add_u32_e32 v8, s25, v27
	v_mad_u64_u32 v[37:38], s[26:27], v8, 36, s[22:23]
	v_add_u32_e32 v27, 32, v27
	v_add_co_u32_e32 v39, vcc, v37, v31
	v_addc_co_u32_e32 v40, vcc, 0, v38, vcc
	global_load_dwordx2 v[41:42], v[39:40], off offset:4
	global_load_dwordx2 v[43:44], v[39:40], off offset:20
	global_load_dword v8, v[37:38], off
	v_add_co_u32_e32 v2, vcc, 0x480, v2
	v_addc_co_u32_e32 v3, vcc, 0, v3, vcc
	v_cmp_le_u32_e32 vcc, s9, v27
	s_or_b64 s[12:13], vcc, s[12:13]
	s_waitcnt vmcnt(2)
	v_dot4_i32_i8 v10, v32, v41, 0
	s_waitcnt vmcnt(1)
	v_dot4_i32_i8 v10, v33, v43, v10
	v_dot4_i32_i8 v10, v34, v42, v10
	s_waitcnt vmcnt(0)
	v_pk_mul_f16 v4, v4, v8
	v_dot4_i32_i8 v10, v35, v44, v10
	v_cvt_f32_f16_sdwa v32, v4 dst_sel:DWORD dst_unused:UNUSED_PAD src0_sel:WORD_1
	v_cvt_f32_i32_e32 v10, v10
	v_pk_mul_f16 v5, v5, v8
	v_mul_f32_e32 v32, 0.5, v32
	v_fma_mix_f32 v4, v10, v4, v32 op_sel_hi:[0,1,0]
	v_add_f32_e32 v12, v12, v4
	v_dot4_i32_i8 v4, v6, v41, 0
	v_dot4_i32_i8 v4, v9, v43, v4
	;; [unrolled: 1-line block ×4, first 2 shown]
	v_cvt_f32_f16_sdwa v6, v5 dst_sel:DWORD dst_unused:UNUSED_PAD src0_sel:WORD_1
	v_cvt_f32_i32_e32 v4, v4
	v_mul_f32_e32 v6, 0.5, v6
	v_fma_mix_f32 v4, v4, v5, v6 op_sel_hi:[0,1,0]
	v_add_f32_e32 v11, v11, v4
	s_andn2_b64 exec, exec, s[12:13]
	s_cbranch_execnz .LBB59_2
; %bb.3:
	s_or_b64 exec, exec, s[12:13]
.LBB59_4:
	s_or_b64 exec, exec, s[10:11]
	s_mov_b32 s1, 0
	v_cmp_eq_u32_e32 vcc, 0, v1
	; wave barrier
	s_and_saveexec_b64 s[10:11], vcc
	s_cbranch_execz .LBB59_21
; %bb.5:
	v_mbcnt_lo_u32_b32 v1, -1, 0
	v_mbcnt_hi_u32_b32 v6, -1, v1
	v_and_b32_e32 v1, 64, v6
	v_add_u32_e32 v7, 64, v1
	v_xor_b32_e32 v1, 32, v6
	v_cmp_lt_i32_e32 vcc, v1, v7
	v_cndmask_b32_e32 v1, v6, v1, vcc
	v_lshlrev_b32_e32 v1, 2, v1
	ds_bpermute_b32 v5, v1, v26
	ds_bpermute_b32 v8, v1, v25
	v_xor_b32_e32 v2, 16, v6
	v_cmp_lt_i32_e32 vcc, v2, v7
	v_cndmask_b32_e32 v2, v6, v2, vcc
	v_lshlrev_b32_e32 v2, 2, v2
	s_waitcnt lgkmcnt(1)
	v_add_f32_e32 v5, v26, v5
	s_waitcnt lgkmcnt(0)
	v_add_f32_e32 v8, v25, v8
	ds_bpermute_b32 v10, v2, v5
	ds_bpermute_b32 v25, v2, v8
	v_xor_b32_e32 v3, 8, v6
	v_cmp_lt_i32_e32 vcc, v3, v7
	v_cndmask_b32_e32 v3, v6, v3, vcc
	v_lshlrev_b32_e32 v3, 2, v3
	s_waitcnt lgkmcnt(1)
	v_add_f32_e32 v10, v5, v10
	s_waitcnt lgkmcnt(0)
	v_add_f32_e32 v8, v8, v25
	;; [unrolled: 10-line block ×3, first 2 shown]
	ds_bpermute_b32 v26, v4, v10
	ds_bpermute_b32 v25, v4, v8
	v_xor_b32_e32 v9, 2, v6
	v_cmp_lt_i32_e32 vcc, v9, v7
	v_cndmask_b32_e32 v9, v6, v9, vcc
	v_lshlrev_b32_e32 v5, 2, v9
	v_xor_b32_e32 v9, 1, v6
	v_cmp_lt_i32_e32 vcc, v9, v7
	s_waitcnt lgkmcnt(1)
	v_add_f32_e32 v7, v10, v26
	s_waitcnt lgkmcnt(0)
	v_add_f32_e32 v10, v8, v25
	v_cndmask_b32_e32 v6, v6, v9, vcc
	ds_bpermute_b32 v9, v5, v7
	ds_bpermute_b32 v25, v5, v10
	s_load_dwordx2 s[4:5], s[4:5], 0x38
	s_mul_i32 s3, s14, s7
	v_lshlrev_b32_e32 v8, 2, v6
	s_waitcnt lgkmcnt(0)
	v_add_f32_e32 v6, v7, v9
	v_add_f32_e32 v9, v10, v25
	s_mul_i32 s0, s18, s8
	s_add_i32 s3, s3, s6
	ds_bpermute_b32 v7, v8, v6
	ds_bpermute_b32 v10, v8, v9
	s_add_i32 s0, s3, s0
	s_lshl_b64 s[0:1], s[0:1], 2
	s_add_u32 s4, s4, s0
	v_add_u32_e32 v25, s6, v0
	s_addc_u32 s5, s5, s1
	v_cmp_gt_u32_e32 vcc, 2, v0
	v_cmp_gt_u32_e64 s[0:1], s2, v25
	s_and_b64 s[0:1], vcc, s[0:1]
	s_waitcnt lgkmcnt(1)
	v_add_f32_e32 v6, v6, v7
	s_waitcnt lgkmcnt(0)
	v_add_f32_e32 v7, v9, v10
	s_and_saveexec_b64 s[6:7], s[0:1]
	s_cbranch_execz .LBB59_7
; %bb.6:
	v_cmp_eq_u32_e32 vcc, 1, v0
	v_cndmask_b32_e32 v9, v6, v7, vcc
	v_cmp_eq_u32_e32 vcc, 2, v0
	v_cndmask_b32_e32 v9, v9, v24, vcc
	;; [unrolled: 2-line block ×15, first 2 shown]
	v_lshlrev_b32_e32 v10, 2, v0
	global_store_dword v10, v9, s[4:5]
.LBB59_7:
	s_or_b64 exec, exec, s[6:7]
	ds_bpermute_b32 v9, v1, v24
	ds_bpermute_b32 v10, v1, v23
	s_waitcnt lgkmcnt(1)
	v_add_f32_e32 v9, v24, v9
	s_waitcnt lgkmcnt(0)
	v_add_f32_e32 v10, v23, v10
	ds_bpermute_b32 v23, v2, v9
	ds_bpermute_b32 v24, v2, v10
	s_waitcnt lgkmcnt(1)
	v_add_f32_e32 v9, v9, v23
	s_waitcnt lgkmcnt(0)
	v_add_f32_e32 v10, v10, v24
	;; [unrolled: 6-line block ×6, first 2 shown]
	s_and_saveexec_b64 s[6:7], s[0:1]
	s_cbranch_execz .LBB59_9
; %bb.8:
	v_add_u32_e32 v23, 2, v0
	v_cmp_eq_u32_e32 vcc, 1, v23
	v_cndmask_b32_e32 v24, v6, v7, vcc
	v_cmp_eq_u32_e32 vcc, 2, v23
	v_cndmask_b32_e32 v24, v24, v10, vcc
	;; [unrolled: 2-line block ×15, first 2 shown]
	v_add_u32_e32 v23, s2, v0
	v_mov_b32_e32 v24, 0
	v_lshlrev_b64 v[23:24], 2, v[23:24]
	v_mov_b32_e32 v26, s5
	v_add_co_u32_e32 v23, vcc, s4, v23
	v_addc_co_u32_e32 v24, vcc, v26, v24, vcc
	global_store_dword v[23:24], v25, off
.LBB59_9:
	s_or_b64 exec, exec, s[6:7]
	ds_bpermute_b32 v23, v1, v22
	ds_bpermute_b32 v24, v1, v21
	s_waitcnt lgkmcnt(1)
	v_add_f32_e32 v22, v22, v23
	s_waitcnt lgkmcnt(0)
	v_add_f32_e32 v21, v21, v24
	ds_bpermute_b32 v23, v2, v22
	ds_bpermute_b32 v24, v2, v21
	s_waitcnt lgkmcnt(1)
	v_add_f32_e32 v22, v22, v23
	s_waitcnt lgkmcnt(0)
	v_add_f32_e32 v21, v21, v24
	;; [unrolled: 6-line block ×6, first 2 shown]
	s_and_saveexec_b64 s[6:7], s[0:1]
	s_cbranch_execz .LBB59_11
; %bb.10:
	v_add_u32_e32 v23, 4, v0
	v_cmp_eq_u32_e32 vcc, 1, v23
	v_cndmask_b32_e32 v24, v6, v7, vcc
	v_cmp_eq_u32_e32 vcc, 2, v23
	v_cndmask_b32_e32 v24, v24, v10, vcc
	;; [unrolled: 2-line block ×15, first 2 shown]
	v_lshl_or_b32 v23, s2, 1, v0
	v_mov_b32_e32 v24, 0
	v_lshlrev_b64 v[23:24], 2, v[23:24]
	v_mov_b32_e32 v26, s5
	v_add_co_u32_e32 v23, vcc, s4, v23
	v_addc_co_u32_e32 v24, vcc, v26, v24, vcc
	global_store_dword v[23:24], v25, off
.LBB59_11:
	s_or_b64 exec, exec, s[6:7]
	ds_bpermute_b32 v23, v1, v20
	ds_bpermute_b32 v24, v1, v19
	s_waitcnt lgkmcnt(1)
	v_add_f32_e32 v20, v20, v23
	s_waitcnt lgkmcnt(0)
	v_add_f32_e32 v19, v19, v24
	ds_bpermute_b32 v23, v2, v20
	ds_bpermute_b32 v24, v2, v19
	s_waitcnt lgkmcnt(1)
	v_add_f32_e32 v20, v20, v23
	s_waitcnt lgkmcnt(0)
	v_add_f32_e32 v19, v19, v24
	;; [unrolled: 6-line block ×6, first 2 shown]
	s_and_saveexec_b64 s[6:7], s[0:1]
	s_cbranch_execz .LBB59_13
; %bb.12:
	v_add_u32_e32 v25, 6, v0
	v_cmp_eq_u32_e32 vcc, 1, v25
	v_cndmask_b32_e32 v23, v6, v7, vcc
	v_cmp_eq_u32_e32 vcc, 2, v25
	v_cndmask_b32_e32 v23, v23, v10, vcc
	;; [unrolled: 2-line block ×14, first 2 shown]
	v_mad_u64_u32 v[23:24], s[8:9], s2, 3, v[0:1]
	v_mov_b32_e32 v24, 0
	v_cmp_eq_u32_e32 vcc, 15, v25
	v_lshlrev_b64 v[23:24], 2, v[23:24]
	v_cndmask_b32_e32 v25, v26, v11, vcc
	v_mov_b32_e32 v26, s5
	v_add_co_u32_e32 v23, vcc, s4, v23
	v_addc_co_u32_e32 v24, vcc, v26, v24, vcc
	global_store_dword v[23:24], v25, off
.LBB59_13:
	s_or_b64 exec, exec, s[6:7]
	ds_bpermute_b32 v23, v1, v18
	ds_bpermute_b32 v24, v1, v17
	s_waitcnt lgkmcnt(1)
	v_add_f32_e32 v18, v18, v23
	s_waitcnt lgkmcnt(0)
	v_add_f32_e32 v17, v17, v24
	ds_bpermute_b32 v23, v2, v18
	ds_bpermute_b32 v24, v2, v17
	s_waitcnt lgkmcnt(1)
	v_add_f32_e32 v18, v18, v23
	s_waitcnt lgkmcnt(0)
	v_add_f32_e32 v17, v17, v24
	;; [unrolled: 6-line block ×6, first 2 shown]
	s_and_saveexec_b64 s[6:7], s[0:1]
	s_cbranch_execz .LBB59_15
; %bb.14:
	v_add_u32_e32 v23, 8, v0
	v_cmp_eq_u32_e32 vcc, 1, v23
	v_cndmask_b32_e32 v24, v6, v7, vcc
	v_cmp_eq_u32_e32 vcc, 2, v23
	v_cndmask_b32_e32 v24, v24, v10, vcc
	;; [unrolled: 2-line block ×15, first 2 shown]
	v_lshl_or_b32 v23, s2, 2, v0
	v_mov_b32_e32 v24, 0
	v_lshlrev_b64 v[23:24], 2, v[23:24]
	v_mov_b32_e32 v26, s5
	v_add_co_u32_e32 v23, vcc, s4, v23
	v_addc_co_u32_e32 v24, vcc, v26, v24, vcc
	global_store_dword v[23:24], v25, off
.LBB59_15:
	s_or_b64 exec, exec, s[6:7]
	ds_bpermute_b32 v23, v1, v16
	ds_bpermute_b32 v24, v1, v15
	s_waitcnt lgkmcnt(1)
	v_add_f32_e32 v16, v16, v23
	s_waitcnt lgkmcnt(0)
	v_add_f32_e32 v15, v15, v24
	ds_bpermute_b32 v23, v2, v16
	ds_bpermute_b32 v24, v2, v15
	s_waitcnt lgkmcnt(1)
	v_add_f32_e32 v16, v16, v23
	s_waitcnt lgkmcnt(0)
	v_add_f32_e32 v15, v15, v24
	;; [unrolled: 6-line block ×6, first 2 shown]
	s_and_saveexec_b64 s[6:7], s[0:1]
	s_cbranch_execz .LBB59_17
; %bb.16:
	v_add_u32_e32 v25, 10, v0
	v_cmp_eq_u32_e32 vcc, 1, v25
	v_cndmask_b32_e32 v23, v6, v7, vcc
	v_cmp_eq_u32_e32 vcc, 2, v25
	v_cndmask_b32_e32 v23, v23, v10, vcc
	;; [unrolled: 2-line block ×14, first 2 shown]
	v_mad_u64_u32 v[23:24], s[8:9], s2, 5, v[0:1]
	v_mov_b32_e32 v24, 0
	v_cmp_eq_u32_e32 vcc, 15, v25
	v_lshlrev_b64 v[23:24], 2, v[23:24]
	v_cndmask_b32_e32 v25, v26, v11, vcc
	v_mov_b32_e32 v26, s5
	v_add_co_u32_e32 v23, vcc, s4, v23
	v_addc_co_u32_e32 v24, vcc, v26, v24, vcc
	global_store_dword v[23:24], v25, off
.LBB59_17:
	s_or_b64 exec, exec, s[6:7]
	ds_bpermute_b32 v23, v1, v14
	ds_bpermute_b32 v24, v1, v13
	s_waitcnt lgkmcnt(1)
	v_add_f32_e32 v14, v14, v23
	s_waitcnt lgkmcnt(0)
	v_add_f32_e32 v13, v13, v24
	ds_bpermute_b32 v23, v2, v14
	ds_bpermute_b32 v24, v2, v13
	s_waitcnt lgkmcnt(1)
	v_add_f32_e32 v14, v14, v23
	s_waitcnt lgkmcnt(0)
	v_add_f32_e32 v13, v13, v24
	;; [unrolled: 6-line block ×6, first 2 shown]
	s_and_saveexec_b64 s[6:7], s[0:1]
	s_cbranch_execz .LBB59_19
; %bb.18:
	v_add_u32_e32 v23, 12, v0
	v_cmp_eq_u32_e32 vcc, 1, v23
	v_cndmask_b32_e32 v24, v6, v7, vcc
	v_cmp_eq_u32_e32 vcc, 2, v23
	v_cndmask_b32_e32 v24, v24, v10, vcc
	;; [unrolled: 2-line block ×14, first 2 shown]
	v_cmp_eq_u32_e32 vcc, 15, v23
	s_mul_i32 s3, s2, 6
	v_cndmask_b32_e32 v25, v24, v11, vcc
	v_or_b32_e32 v23, s3, v0
	v_mov_b32_e32 v24, 0
	v_lshlrev_b64 v[23:24], 2, v[23:24]
	v_mov_b32_e32 v26, s5
	v_add_co_u32_e32 v23, vcc, s4, v23
	v_addc_co_u32_e32 v24, vcc, v26, v24, vcc
	global_store_dword v[23:24], v25, off
.LBB59_19:
	s_or_b64 exec, exec, s[6:7]
	ds_bpermute_b32 v23, v1, v12
	ds_bpermute_b32 v1, v1, v11
	s_waitcnt lgkmcnt(1)
	v_add_f32_e32 v12, v12, v23
	s_waitcnt lgkmcnt(0)
	v_add_f32_e32 v1, v11, v1
	ds_bpermute_b32 v11, v2, v12
	ds_bpermute_b32 v2, v2, v1
	s_waitcnt lgkmcnt(1)
	v_add_f32_e32 v11, v12, v11
	s_waitcnt lgkmcnt(0)
	v_add_f32_e32 v1, v1, v2
	;; [unrolled: 6-line block ×5, first 2 shown]
	ds_bpermute_b32 v3, v8, v1
	ds_bpermute_b32 v4, v8, v2
	s_and_b64 exec, exec, s[0:1]
	s_cbranch_execz .LBB59_21
; %bb.20:
	s_waitcnt lgkmcnt(1)
	v_add_f32_e32 v1, v1, v3
	v_add_u32_e32 v3, 14, v0
	v_cmp_eq_u32_e32 vcc, 1, v3
	s_waitcnt lgkmcnt(0)
	v_add_f32_e32 v2, v2, v4
	v_cndmask_b32_e32 v4, v6, v7, vcc
	v_cmp_eq_u32_e32 vcc, 2, v3
	v_cndmask_b32_e32 v4, v4, v10, vcc
	v_cmp_eq_u32_e32 vcc, 3, v3
	;; [unrolled: 2-line block ×13, first 2 shown]
	v_cndmask_b32_e32 v4, v4, v1, vcc
	v_mad_u64_u32 v[0:1], s[0:1], s2, 7, v[0:1]
	v_mov_b32_e32 v1, 0
	v_cmp_eq_u32_e32 vcc, 15, v3
	v_lshlrev_b64 v[0:1], 2, v[0:1]
	v_cndmask_b32_e32 v2, v4, v2, vcc
	v_mov_b32_e32 v3, s5
	v_add_co_u32_e32 v0, vcc, s4, v0
	v_addc_co_u32_e32 v1, vcc, v3, v1, vcc
	global_store_dword v[0:1], v2, off
.LBB59_21:
	s_endpgm
	.section	.rodata,"a",@progbits
	.p2align	6, 0x0
	.amdhsa_kernel _ZL13mul_mat_vec_qIL9ggml_type7ELi8ELb0ELb0EEvPKvS2_PKi31ggml_cuda_mm_fusion_args_devicePfj15HIP_vector_typeIjLj3EEjjjS8_jjjS8_jjjj
		.amdhsa_group_segment_fixed_size 0
		.amdhsa_private_segment_fixed_size 0
		.amdhsa_kernarg_size 144
		.amdhsa_user_sgpr_count 6
		.amdhsa_user_sgpr_private_segment_buffer 1
		.amdhsa_user_sgpr_dispatch_ptr 0
		.amdhsa_user_sgpr_queue_ptr 0
		.amdhsa_user_sgpr_kernarg_segment_ptr 1
		.amdhsa_user_sgpr_dispatch_id 0
		.amdhsa_user_sgpr_flat_scratch_init 0
		.amdhsa_user_sgpr_private_segment_size 0
		.amdhsa_uses_dynamic_stack 0
		.amdhsa_system_sgpr_private_segment_wavefront_offset 0
		.amdhsa_system_sgpr_workgroup_id_x 1
		.amdhsa_system_sgpr_workgroup_id_y 1
		.amdhsa_system_sgpr_workgroup_id_z 1
		.amdhsa_system_sgpr_workgroup_info 0
		.amdhsa_system_vgpr_workitem_id 1
		.amdhsa_next_free_vgpr 45
		.amdhsa_next_free_sgpr 28
		.amdhsa_reserve_vcc 1
		.amdhsa_reserve_flat_scratch 0
		.amdhsa_float_round_mode_32 0
		.amdhsa_float_round_mode_16_64 0
		.amdhsa_float_denorm_mode_32 3
		.amdhsa_float_denorm_mode_16_64 3
		.amdhsa_dx10_clamp 1
		.amdhsa_ieee_mode 1
		.amdhsa_fp16_overflow 0
		.amdhsa_exception_fp_ieee_invalid_op 0
		.amdhsa_exception_fp_denorm_src 0
		.amdhsa_exception_fp_ieee_div_zero 0
		.amdhsa_exception_fp_ieee_overflow 0
		.amdhsa_exception_fp_ieee_underflow 0
		.amdhsa_exception_fp_ieee_inexact 0
		.amdhsa_exception_int_div_zero 0
	.end_amdhsa_kernel
	.section	.text._ZL13mul_mat_vec_qIL9ggml_type7ELi8ELb0ELb0EEvPKvS2_PKi31ggml_cuda_mm_fusion_args_devicePfj15HIP_vector_typeIjLj3EEjjjS8_jjjS8_jjjj,"axG",@progbits,_ZL13mul_mat_vec_qIL9ggml_type7ELi8ELb0ELb0EEvPKvS2_PKi31ggml_cuda_mm_fusion_args_devicePfj15HIP_vector_typeIjLj3EEjjjS8_jjjS8_jjjj,comdat
.Lfunc_end59:
	.size	_ZL13mul_mat_vec_qIL9ggml_type7ELi8ELb0ELb0EEvPKvS2_PKi31ggml_cuda_mm_fusion_args_devicePfj15HIP_vector_typeIjLj3EEjjjS8_jjjS8_jjjj, .Lfunc_end59-_ZL13mul_mat_vec_qIL9ggml_type7ELi8ELb0ELb0EEvPKvS2_PKi31ggml_cuda_mm_fusion_args_devicePfj15HIP_vector_typeIjLj3EEjjjS8_jjjS8_jjjj
                                        ; -- End function
	.set _ZL13mul_mat_vec_qIL9ggml_type7ELi8ELb0ELb0EEvPKvS2_PKi31ggml_cuda_mm_fusion_args_devicePfj15HIP_vector_typeIjLj3EEjjjS8_jjjS8_jjjj.num_vgpr, 45
	.set _ZL13mul_mat_vec_qIL9ggml_type7ELi8ELb0ELb0EEvPKvS2_PKi31ggml_cuda_mm_fusion_args_devicePfj15HIP_vector_typeIjLj3EEjjjS8_jjjS8_jjjj.num_agpr, 0
	.set _ZL13mul_mat_vec_qIL9ggml_type7ELi8ELb0ELb0EEvPKvS2_PKi31ggml_cuda_mm_fusion_args_devicePfj15HIP_vector_typeIjLj3EEjjjS8_jjjS8_jjjj.numbered_sgpr, 28
	.set _ZL13mul_mat_vec_qIL9ggml_type7ELi8ELb0ELb0EEvPKvS2_PKi31ggml_cuda_mm_fusion_args_devicePfj15HIP_vector_typeIjLj3EEjjjS8_jjjS8_jjjj.num_named_barrier, 0
	.set _ZL13mul_mat_vec_qIL9ggml_type7ELi8ELb0ELb0EEvPKvS2_PKi31ggml_cuda_mm_fusion_args_devicePfj15HIP_vector_typeIjLj3EEjjjS8_jjjS8_jjjj.private_seg_size, 0
	.set _ZL13mul_mat_vec_qIL9ggml_type7ELi8ELb0ELb0EEvPKvS2_PKi31ggml_cuda_mm_fusion_args_devicePfj15HIP_vector_typeIjLj3EEjjjS8_jjjS8_jjjj.uses_vcc, 1
	.set _ZL13mul_mat_vec_qIL9ggml_type7ELi8ELb0ELb0EEvPKvS2_PKi31ggml_cuda_mm_fusion_args_devicePfj15HIP_vector_typeIjLj3EEjjjS8_jjjS8_jjjj.uses_flat_scratch, 0
	.set _ZL13mul_mat_vec_qIL9ggml_type7ELi8ELb0ELb0EEvPKvS2_PKi31ggml_cuda_mm_fusion_args_devicePfj15HIP_vector_typeIjLj3EEjjjS8_jjjS8_jjjj.has_dyn_sized_stack, 0
	.set _ZL13mul_mat_vec_qIL9ggml_type7ELi8ELb0ELb0EEvPKvS2_PKi31ggml_cuda_mm_fusion_args_devicePfj15HIP_vector_typeIjLj3EEjjjS8_jjjS8_jjjj.has_recursion, 0
	.set _ZL13mul_mat_vec_qIL9ggml_type7ELi8ELb0ELb0EEvPKvS2_PKi31ggml_cuda_mm_fusion_args_devicePfj15HIP_vector_typeIjLj3EEjjjS8_jjjS8_jjjj.has_indirect_call, 0
	.section	.AMDGPU.csdata,"",@progbits
; Kernel info:
; codeLenInByte = 5704
; TotalNumSgprs: 32
; NumVgprs: 45
; ScratchSize: 0
; MemoryBound: 0
; FloatMode: 240
; IeeeMode: 1
; LDSByteSize: 0 bytes/workgroup (compile time only)
; SGPRBlocks: 3
; VGPRBlocks: 11
; NumSGPRsForWavesPerEU: 32
; NumVGPRsForWavesPerEU: 45
; Occupancy: 5
; WaveLimiterHint : 0
; COMPUTE_PGM_RSRC2:SCRATCH_EN: 0
; COMPUTE_PGM_RSRC2:USER_SGPR: 6
; COMPUTE_PGM_RSRC2:TRAP_HANDLER: 0
; COMPUTE_PGM_RSRC2:TGID_X_EN: 1
; COMPUTE_PGM_RSRC2:TGID_Y_EN: 1
; COMPUTE_PGM_RSRC2:TGID_Z_EN: 1
; COMPUTE_PGM_RSRC2:TIDIG_COMP_CNT: 1
	.section	.text._ZL17mul_mat_vec_q_moeIL9ggml_type8ELi2EEvPKvS2_PKiPfj15HIP_vector_typeIjLj3EEjjjjjjjjj,"axG",@progbits,_ZL17mul_mat_vec_q_moeIL9ggml_type8ELi2EEvPKvS2_PKiPfj15HIP_vector_typeIjLj3EEjjjjjjjjj,comdat
	.globl	_ZL17mul_mat_vec_q_moeIL9ggml_type8ELi2EEvPKvS2_PKiPfj15HIP_vector_typeIjLj3EEjjjjjjjjj ; -- Begin function _ZL17mul_mat_vec_q_moeIL9ggml_type8ELi2EEvPKvS2_PKiPfj15HIP_vector_typeIjLj3EEjjjjjjjjj
	.p2align	8
	.type	_ZL17mul_mat_vec_q_moeIL9ggml_type8ELi2EEvPKvS2_PKiPfj15HIP_vector_typeIjLj3EEjjjjjjjjj,@function
_ZL17mul_mat_vec_q_moeIL9ggml_type8ELi2EEvPKvS2_PKiPfj15HIP_vector_typeIjLj3EEjjjjjjjjj: ; @_ZL17mul_mat_vec_q_moeIL9ggml_type8ELi2EEvPKvS2_PKiPfj15HIP_vector_typeIjLj3EEjjjjjjjjj
; %bb.0:
	s_load_dwordx8 s[8:15], s[4:5], 0x30
	s_waitcnt lgkmcnt(0)
	v_cmp_gt_u32_e32 vcc, s15, v1
	s_and_saveexec_b64 s[0:1], vcc
	s_cbranch_execz .LBB60_7
; %bb.1:
	s_load_dword s0, s[4:5], 0x20
	s_load_dword s2, s[4:5], 0x50
	s_load_dwordx8 s[16:23], s[4:5], 0x0
	v_lshrrev_b32_e32 v6, 2, v0
	s_lshl_b32 s6, s6, 1
	s_waitcnt lgkmcnt(0)
	s_lshr_b32 s15, s0, 5
	v_cmp_gt_u32_e32 vcc, s15, v6
	v_mov_b32_e32 v2, 0
	v_mov_b32_e32 v3, 0
	s_and_saveexec_b64 s[0:1], vcc
	s_cbranch_execz .LBB60_5
; %bb.2:
	v_mul_lo_u32 v2, s2, v1
	v_mov_b32_e32 v3, 0
	v_mov_b32_e32 v7, s21
	s_load_dwordx4 s[24:27], s[4:5], 0x24
	v_add_u32_e32 v2, s7, v2
	v_lshlrev_b64 v[4:5], 2, v[2:3]
	s_add_i32 s4, s6, 1
	v_add_co_u32_e32 v4, vcc, s20, v4
	v_addc_co_u32_e32 v5, vcc, v7, v5, vcc
	global_load_dword v2, v[4:5], off
	v_mul_lo_u32 v4, s10, v1
	v_lshlrev_b32_e32 v5, 2, v0
	v_and_b32_e32 v5, 12, v5
	s_mul_i32 s10, s6, s9
	s_mul_i32 s9, s9, s4
	v_lshlrev_b32_e32 v8, 1, v5
	v_mad_u64_u32 v[4:5], s[4:5], v4, 36, 0
	s_waitcnt lgkmcnt(0)
	s_mul_hi_u32 s4, s24, s7
	s_add_i32 s4, s7, s4
	v_lshrrev_b32_e32 v9, 2, v0
	s_lshr_b32 s4, s4, s25
	s_mul_i32 s20, s4, s26
	v_mad_u64_u32 v[4:5], s[4:5], v9, 36, v[4:5]
	s_sub_i32 s4, s7, s20
	s_mul_i32 s4, s4, s13
	s_mul_hi_u32 s5, s4, 36
	s_mul_i32 s4, s4, 36
	s_add_u32 s4, s18, s4
	s_addc_u32 s5, s19, s5
	v_and_b32_e32 v7, 3, v0
	v_mov_b32_e32 v9, s5
	v_add_co_u32_e32 v4, vcc, s4, v4
	s_mov_b64 s[2:3], 0
	v_lshlrev_b32_e32 v7, 3, v7
	v_addc_co_u32_e32 v5, vcc, v9, v5, vcc
	s_waitcnt vmcnt(0)
	v_mul_lo_u32 v2, v2, s12
	v_add_u32_e32 v9, s10, v2
	v_add_u32_e32 v10, s9, v2
	v_mov_b32_e32 v2, v3
.LBB60_3:                               ; =>This Inner Loop Header: Depth=1
	v_add_u32_e32 v13, v10, v6
	v_mad_i64_i32 v[13:14], s[4:5], v13, 34, s[16:17]
	v_add_u32_e32 v15, v9, v6
	v_add_co_u32_e32 v11, vcc, v4, v7
	v_mad_i64_i32 v[15:16], s[4:5], v15, 34, s[16:17]
	v_addc_co_u32_e32 v12, vcc, 0, v5, vcc
	v_add_co_u32_e32 v17, vcc, v13, v8
	v_addc_co_u32_e32 v18, vcc, 0, v14, vcc
	global_load_ushort v24, v[13:14], off
	v_add_co_u32_e32 v13, vcc, v15, v8
	global_load_dword v23, v[4:5], off
	v_addc_co_u32_e32 v14, vcc, 0, v16, vcc
	global_load_dwordx2 v[11:12], v[11:12], off offset:4
	s_nop 0
	global_load_dwordx2 v[19:20], v[13:14], off offset:2
	global_load_dwordx2 v[21:22], v[17:18], off offset:2
	global_load_ushort v25, v[15:16], off
	v_add_co_u32_e32 v4, vcc, 0x240, v4
	v_add_u32_e32 v6, 16, v6
	v_addc_co_u32_e32 v5, vcc, 0, v5, vcc
	v_cmp_le_u32_e32 vcc, s15, v6
	s_or_b64 s[2:3], vcc, s[2:3]
	s_waitcnt vmcnt(5)
	v_cvt_f32_f16_e32 v16, v24
	s_waitcnt vmcnt(4)
	v_cvt_f32_f16_e32 v13, v23
	s_waitcnt vmcnt(2)
	v_dot4_i32_i8 v15, v19, v11, 0
	s_waitcnt vmcnt(1)
	v_dot4_i32_i8 v11, v21, v11, 0
	s_waitcnt vmcnt(0)
	v_cvt_f32_f16_e32 v14, v25
	v_dot4_i32_i8 v15, v20, v12, v15
	v_dot4_i32_i8 v11, v22, v12, v11
	v_cvt_f32_i32_e32 v12, v15
	v_cvt_f32_i32_e32 v11, v11
	v_mul_f32_e32 v14, v14, v13
	v_mul_f32_e32 v13, v16, v13
	v_fmac_f32_e32 v3, v14, v12
	v_fmac_f32_e32 v2, v13, v11
	s_andn2_b64 exec, exec, s[2:3]
	s_cbranch_execnz .LBB60_3
; %bb.4:
	s_or_b64 exec, exec, s[2:3]
.LBB60_5:
	s_or_b64 exec, exec, s[0:1]
	v_mbcnt_lo_u32_b32 v4, -1, 0
	v_mbcnt_hi_u32_b32 v4, -1, v4
	v_and_b32_e32 v5, 64, v4
	v_add_u32_e32 v5, 64, v5
	v_xor_b32_e32 v6, 32, v4
	v_cmp_lt_i32_e32 vcc, v6, v5
	v_cndmask_b32_e32 v6, v4, v6, vcc
	v_lshlrev_b32_e32 v6, 2, v6
	ds_bpermute_b32 v9, v6, v3
	ds_bpermute_b32 v6, v6, v2
	v_xor_b32_e32 v7, 16, v4
	v_cmp_lt_i32_e32 vcc, v7, v5
	v_cndmask_b32_e32 v7, v4, v7, vcc
	v_lshlrev_b32_e32 v7, 2, v7
	s_waitcnt lgkmcnt(1)
	v_add_f32_e32 v3, v3, v9
	s_waitcnt lgkmcnt(0)
	v_add_f32_e32 v2, v2, v6
	ds_bpermute_b32 v9, v7, v3
	ds_bpermute_b32 v6, v7, v2
	v_xor_b32_e32 v8, 8, v4
	v_cmp_lt_i32_e32 vcc, v8, v5
	v_cndmask_b32_e32 v8, v4, v8, vcc
	v_lshlrev_b32_e32 v8, 2, v8
	s_waitcnt lgkmcnt(1)
	v_add_f32_e32 v3, v3, v9
	s_waitcnt lgkmcnt(0)
	v_add_f32_e32 v2, v2, v6
	ds_bpermute_b32 v9, v8, v3
	ds_bpermute_b32 v6, v8, v2
	v_xor_b32_e32 v10, 4, v4
	v_cmp_lt_i32_e32 vcc, v10, v5
	v_cndmask_b32_e32 v10, v4, v10, vcc
	v_lshlrev_b32_e32 v7, 2, v10
	s_waitcnt lgkmcnt(1)
	v_add_f32_e32 v3, v3, v9
	s_waitcnt lgkmcnt(0)
	v_add_f32_e32 v2, v2, v6
	ds_bpermute_b32 v9, v7, v3
	ds_bpermute_b32 v6, v7, v2
	v_xor_b32_e32 v10, 2, v4
	v_cmp_lt_i32_e32 vcc, v10, v5
	v_cndmask_b32_e32 v8, v4, v10, vcc
	v_lshlrev_b32_e32 v7, 2, v8
	s_waitcnt lgkmcnt(1)
	v_add_f32_e32 v3, v3, v9
	s_waitcnt lgkmcnt(0)
	v_add_f32_e32 v6, v2, v6
	ds_bpermute_b32 v9, v7, v3
	ds_bpermute_b32 v7, v7, v6
	v_xor_b32_e32 v8, 1, v4
	v_cmp_lt_i32_e32 vcc, v8, v5
	v_cndmask_b32_e32 v2, v4, v8, vcc
	v_lshlrev_b32_e32 v5, 2, v2
	s_waitcnt lgkmcnt(1)
	v_add_f32_e32 v2, v3, v9
	s_waitcnt lgkmcnt(0)
	v_add_f32_e32 v4, v6, v7
	ds_bpermute_b32 v3, v5, v2
	ds_bpermute_b32 v5, v5, v4
	v_add_u32_e32 v6, s6, v0
	v_cmp_gt_u32_e32 vcc, 2, v0
	v_cmp_gt_u32_e64 s[0:1], s8, v6
	s_and_b64 s[0:1], vcc, s[0:1]
	s_and_b64 exec, exec, s[0:1]
	s_cbranch_execz .LBB60_7
; %bb.6:
	v_mul_lo_u32 v1, s11, v1
	v_cmp_eq_u32_e32 vcc, 1, v0
	s_mul_i32 s0, s14, s7
	v_or_b32_e32 v0, s6, v0
	v_add3_u32 v0, v0, v1, s0
	v_mov_b32_e32 v1, 0
	v_lshlrev_b64 v[0:1], 2, v[0:1]
	s_waitcnt lgkmcnt(1)
	v_add_f32_e32 v2, v2, v3
	s_waitcnt lgkmcnt(0)
	v_add_f32_e32 v3, v4, v5
	v_cndmask_b32_e32 v2, v2, v3, vcc
	v_mov_b32_e32 v3, s23
	v_add_co_u32_e32 v0, vcc, s22, v0
	v_addc_co_u32_e32 v1, vcc, v3, v1, vcc
	global_store_dword v[0:1], v2, off
.LBB60_7:
	s_endpgm
	.section	.rodata,"a",@progbits
	.p2align	6, 0x0
	.amdhsa_kernel _ZL17mul_mat_vec_q_moeIL9ggml_type8ELi2EEvPKvS2_PKiPfj15HIP_vector_typeIjLj3EEjjjjjjjjj
		.amdhsa_group_segment_fixed_size 0
		.amdhsa_private_segment_fixed_size 0
		.amdhsa_kernarg_size 84
		.amdhsa_user_sgpr_count 6
		.amdhsa_user_sgpr_private_segment_buffer 1
		.amdhsa_user_sgpr_dispatch_ptr 0
		.amdhsa_user_sgpr_queue_ptr 0
		.amdhsa_user_sgpr_kernarg_segment_ptr 1
		.amdhsa_user_sgpr_dispatch_id 0
		.amdhsa_user_sgpr_flat_scratch_init 0
		.amdhsa_user_sgpr_private_segment_size 0
		.amdhsa_uses_dynamic_stack 0
		.amdhsa_system_sgpr_private_segment_wavefront_offset 0
		.amdhsa_system_sgpr_workgroup_id_x 1
		.amdhsa_system_sgpr_workgroup_id_y 1
		.amdhsa_system_sgpr_workgroup_id_z 0
		.amdhsa_system_sgpr_workgroup_info 0
		.amdhsa_system_vgpr_workitem_id 1
		.amdhsa_next_free_vgpr 26
		.amdhsa_next_free_sgpr 28
		.amdhsa_reserve_vcc 1
		.amdhsa_reserve_flat_scratch 0
		.amdhsa_float_round_mode_32 0
		.amdhsa_float_round_mode_16_64 0
		.amdhsa_float_denorm_mode_32 3
		.amdhsa_float_denorm_mode_16_64 3
		.amdhsa_dx10_clamp 1
		.amdhsa_ieee_mode 1
		.amdhsa_fp16_overflow 0
		.amdhsa_exception_fp_ieee_invalid_op 0
		.amdhsa_exception_fp_denorm_src 0
		.amdhsa_exception_fp_ieee_div_zero 0
		.amdhsa_exception_fp_ieee_overflow 0
		.amdhsa_exception_fp_ieee_underflow 0
		.amdhsa_exception_fp_ieee_inexact 0
		.amdhsa_exception_int_div_zero 0
	.end_amdhsa_kernel
	.section	.text._ZL17mul_mat_vec_q_moeIL9ggml_type8ELi2EEvPKvS2_PKiPfj15HIP_vector_typeIjLj3EEjjjjjjjjj,"axG",@progbits,_ZL17mul_mat_vec_q_moeIL9ggml_type8ELi2EEvPKvS2_PKiPfj15HIP_vector_typeIjLj3EEjjjjjjjjj,comdat
.Lfunc_end60:
	.size	_ZL17mul_mat_vec_q_moeIL9ggml_type8ELi2EEvPKvS2_PKiPfj15HIP_vector_typeIjLj3EEjjjjjjjjj, .Lfunc_end60-_ZL17mul_mat_vec_q_moeIL9ggml_type8ELi2EEvPKvS2_PKiPfj15HIP_vector_typeIjLj3EEjjjjjjjjj
                                        ; -- End function
	.set _ZL17mul_mat_vec_q_moeIL9ggml_type8ELi2EEvPKvS2_PKiPfj15HIP_vector_typeIjLj3EEjjjjjjjjj.num_vgpr, 26
	.set _ZL17mul_mat_vec_q_moeIL9ggml_type8ELi2EEvPKvS2_PKiPfj15HIP_vector_typeIjLj3EEjjjjjjjjj.num_agpr, 0
	.set _ZL17mul_mat_vec_q_moeIL9ggml_type8ELi2EEvPKvS2_PKiPfj15HIP_vector_typeIjLj3EEjjjjjjjjj.numbered_sgpr, 28
	.set _ZL17mul_mat_vec_q_moeIL9ggml_type8ELi2EEvPKvS2_PKiPfj15HIP_vector_typeIjLj3EEjjjjjjjjj.num_named_barrier, 0
	.set _ZL17mul_mat_vec_q_moeIL9ggml_type8ELi2EEvPKvS2_PKiPfj15HIP_vector_typeIjLj3EEjjjjjjjjj.private_seg_size, 0
	.set _ZL17mul_mat_vec_q_moeIL9ggml_type8ELi2EEvPKvS2_PKiPfj15HIP_vector_typeIjLj3EEjjjjjjjjj.uses_vcc, 1
	.set _ZL17mul_mat_vec_q_moeIL9ggml_type8ELi2EEvPKvS2_PKiPfj15HIP_vector_typeIjLj3EEjjjjjjjjj.uses_flat_scratch, 0
	.set _ZL17mul_mat_vec_q_moeIL9ggml_type8ELi2EEvPKvS2_PKiPfj15HIP_vector_typeIjLj3EEjjjjjjjjj.has_dyn_sized_stack, 0
	.set _ZL17mul_mat_vec_q_moeIL9ggml_type8ELi2EEvPKvS2_PKiPfj15HIP_vector_typeIjLj3EEjjjjjjjjj.has_recursion, 0
	.set _ZL17mul_mat_vec_q_moeIL9ggml_type8ELi2EEvPKvS2_PKiPfj15HIP_vector_typeIjLj3EEjjjjjjjjj.has_indirect_call, 0
	.section	.AMDGPU.csdata,"",@progbits
; Kernel info:
; codeLenInByte = 916
; TotalNumSgprs: 32
; NumVgprs: 26
; ScratchSize: 0
; MemoryBound: 0
; FloatMode: 240
; IeeeMode: 1
; LDSByteSize: 0 bytes/workgroup (compile time only)
; SGPRBlocks: 3
; VGPRBlocks: 6
; NumSGPRsForWavesPerEU: 32
; NumVGPRsForWavesPerEU: 26
; Occupancy: 9
; WaveLimiterHint : 1
; COMPUTE_PGM_RSRC2:SCRATCH_EN: 0
; COMPUTE_PGM_RSRC2:USER_SGPR: 6
; COMPUTE_PGM_RSRC2:TRAP_HANDLER: 0
; COMPUTE_PGM_RSRC2:TGID_X_EN: 1
; COMPUTE_PGM_RSRC2:TGID_Y_EN: 1
; COMPUTE_PGM_RSRC2:TGID_Z_EN: 0
; COMPUTE_PGM_RSRC2:TIDIG_COMP_CNT: 1
	.section	.text._ZL13mul_mat_vec_qIL9ggml_type8ELi1ELb1ELb1EEvPKvS2_PKi31ggml_cuda_mm_fusion_args_devicePfj15HIP_vector_typeIjLj3EEjjjS8_jjjS8_jjjj,"axG",@progbits,_ZL13mul_mat_vec_qIL9ggml_type8ELi1ELb1ELb1EEvPKvS2_PKi31ggml_cuda_mm_fusion_args_devicePfj15HIP_vector_typeIjLj3EEjjjS8_jjjS8_jjjj,comdat
	.globl	_ZL13mul_mat_vec_qIL9ggml_type8ELi1ELb1ELb1EEvPKvS2_PKi31ggml_cuda_mm_fusion_args_devicePfj15HIP_vector_typeIjLj3EEjjjS8_jjjS8_jjjj ; -- Begin function _ZL13mul_mat_vec_qIL9ggml_type8ELi1ELb1ELb1EEvPKvS2_PKi31ggml_cuda_mm_fusion_args_devicePfj15HIP_vector_typeIjLj3EEjjjS8_jjjS8_jjjj
	.p2align	8
	.type	_ZL13mul_mat_vec_qIL9ggml_type8ELi1ELb1ELb1EEvPKvS2_PKi31ggml_cuda_mm_fusion_args_devicePfj15HIP_vector_typeIjLj3EEjjjS8_jjjS8_jjjj,@function
_ZL13mul_mat_vec_qIL9ggml_type8ELi1ELb1ELb1EEvPKvS2_PKi31ggml_cuda_mm_fusion_args_devicePfj15HIP_vector_typeIjLj3EEjjjS8_jjjS8_jjjj: ; @_ZL13mul_mat_vec_qIL9ggml_type8ELi1ELb1ELb1EEvPKvS2_PKi31ggml_cuda_mm_fusion_args_devicePfj15HIP_vector_typeIjLj3EEjjjS8_jjjS8_jjjj
; %bb.0:
	s_load_dwordx8 s[12:19], s[4:5], 0x0
	s_load_dwordx4 s[28:31], s[4:5], 0x20
	s_load_dwordx4 s[36:39], s[4:5], 0x40
	;; [unrolled: 1-line block ×3, first 2 shown]
	s_mov_b32 s34, s7
	s_waitcnt lgkmcnt(0)
	s_cmp_lg_u64 s[16:17], 0
	s_cselect_b64 s[0:1], -1, 0
	s_cmp_eq_u64 s[16:17], 0
	s_mov_b64 s[2:3], 0
	s_cbranch_scc1 .LBB61_5
; %bb.1:
	s_mov_b32 s35, 0
	s_lshl_b64 s[10:11], s[34:35], 2
	s_add_u32 s10, s16, s10
	s_addc_u32 s11, s17, s11
	s_load_dword s35, s[10:11], 0x0
	s_load_dword s33, s[4:5], 0x50
	;; [unrolled: 1-line block ×3, first 2 shown]
	s_andn2_b64 vcc, exec, s[2:3]
	s_cbranch_vccnz .LBB61_3
.LBB61_2:
	s_load_dwordx2 s[2:3], s[4:5], 0x5c
	s_waitcnt lgkmcnt(0)
	s_mul_hi_u32 s2, s2, s34
	s_add_i32 s2, s34, s2
	s_lshr_b32 s35, s2, s3
.LBB61_3:
	s_andn2_b64 vcc, exec, s[0:1]
	s_cbranch_vccnz .LBB61_6
; %bb.4:
	s_mul_hi_u32 s0, s37, s34
	s_add_i32 s0, s34, s0
	s_lshr_b32 s0, s0, s38
	s_mul_i32 s0, s0, s39
	s_sub_i32 s37, s34, s0
	s_waitcnt lgkmcnt(0)
	s_mov_b32 s43, s35
	s_branch .LBB61_7
.LBB61_5:
                                        ; implicit-def: $sgpr35
	s_load_dword s33, s[4:5], 0x50
	s_load_dword s42, s[4:5], 0x78
	s_branch .LBB61_2
.LBB61_6:
	s_mov_b32 s43, s34
	s_mov_b32 s37, s34
.LBB61_7:
	s_load_dword s9, s[4:5], 0x58
	s_load_dwordx4 s[24:27], s[4:5], 0x80
	s_lshl_b32 s16, s6, 1
	s_cmp_eq_u64 s[18:19], 0
	s_cselect_b64 s[0:1], -1, 0
	v_mov_b32_e32 v15, 0
	s_and_b64 vcc, exec, s[0:1]
	v_cmp_gt_u32_e64 s[2:3], 2, v0
	v_cmp_eq_u32_e64 s[6:7], 0, v1
	v_add_u32_e32 v14, s16, v0
	v_mov_b32_e32 v16, 0
	s_cbranch_vccnz .LBB61_11
; %bb.8:
	s_waitcnt lgkmcnt(0)
	v_cmp_gt_u32_e32 vcc, s9, v14
	s_and_b64 s[2:3], s[2:3], vcc
	s_mov_b32 s11, 0
	s_and_b64 s[6:7], s[2:3], s[6:7]
	v_mov_b32_e32 v16, 0
	s_and_saveexec_b64 s[2:3], s[6:7]
	s_cbranch_execz .LBB61_10
; %bb.9:
	s_mul_i32 s10, s26, s8
	s_lshl_b64 s[6:7], s[10:11], 2
	s_add_u32 s17, s18, s6
	s_mul_i32 s10, s43, s22
	s_addc_u32 s18, s19, s7
	s_lshl_b64 s[6:7], s[10:11], 2
	s_add_u32 s10, s17, s6
	s_addc_u32 s11, s18, s7
	s_ashr_i32 s17, s16, 31
	s_lshl_b64 s[6:7], s[16:17], 2
	s_add_u32 s6, s10, s6
	s_addc_u32 s7, s11, s7
	v_lshlrev_b32_e32 v2, 2, v0
	global_load_dword v16, v2, s[6:7]
.LBB61_10:
	s_or_b64 exec, exec, s[2:3]
.LBB61_11:
	s_cmp_lg_u64 s[28:29], 0
	s_cselect_b64 s[38:39], -1, 0
	s_cmp_eq_u64 s[28:29], 0
	s_cselect_b64 s[18:19], -1, 0
	s_cmp_lg_u64 s[30:31], 0
	s_cselect_b64 s[2:3], -1, 0
	s_and_b64 s[6:7], s[2:3], s[38:39]
	s_andn2_b64 vcc, exec, s[6:7]
	s_waitcnt lgkmcnt(0)
	v_cmp_gt_u32_e64 s[6:7], s9, v14
	s_cbranch_vccnz .LBB61_15
; %bb.12:
	v_cmp_gt_u32_e32 vcc, 2, v0
	v_cmp_eq_u32_e64 s[10:11], 0, v1
	s_and_b64 s[6:7], vcc, s[6:7]
	s_mov_b32 s41, 0
	s_and_b64 s[10:11], s[6:7], s[10:11]
	v_mov_b32_e32 v15, 0
	s_and_saveexec_b64 s[6:7], s[10:11]
	s_cbranch_execz .LBB61_14
; %bb.13:
	s_mul_i32 s40, s26, s8
	s_lshl_b64 s[10:11], s[40:41], 2
	s_add_u32 s17, s30, s10
	s_mul_i32 s40, s43, s22
	s_addc_u32 s27, s31, s11
	s_lshl_b64 s[10:11], s[40:41], 2
	s_add_u32 s30, s17, s10
	s_addc_u32 s27, s27, s11
	s_ashr_i32 s17, s16, 31
	s_lshl_b64 s[10:11], s[16:17], 2
	s_add_u32 s10, s30, s10
	s_addc_u32 s11, s27, s11
	v_lshlrev_b32_e32 v2, 2, v0
	global_load_dword v15, v2, s[10:11]
.LBB61_14:
	s_or_b64 exec, exec, s[6:7]
.LBB61_15:
	v_lshl_add_u32 v6, v1, 6, v0
	v_mov_b32_e32 v4, 0
	v_cndmask_b32_e64 v2, 0, 1, s[38:39]
	s_lshr_b32 s17, s36, 5
	v_lshrrev_b32_e32 v18, 2, v6
	v_mov_b32_e32 v5, v4
	v_cmp_ne_u32_e64 s[6:7], 1, v2
	v_mov_b32_e32 v2, v4
	v_cmp_gt_u32_e32 vcc, s17, v18
	v_lshlrev_b32_e32 v13, 2, v0
	v_mov_b32_e32 v17, v4
	v_mov_b32_e32 v3, v5
	s_and_saveexec_b64 s[30:31], vcc
	s_cbranch_execz .LBB61_23
; %bb.16:
	s_mul_i32 s11, s37, s21
	s_mul_hi_u32 s21, s23, s8
	s_add_i32 s21, s8, s21
	s_lshr_b32 s21, s21, s42
	s_mul_i32 s20, s35, s20
	s_mul_i32 s21, s21, s24
	s_add_i32 s23, s16, 1
	s_mul_i32 s10, s25, s8
	s_add_i32 s21, s20, s21
	s_mul_i32 s20, s16, s33
	s_mul_i32 s33, s33, s23
	s_add_i32 s20, s21, s20
	s_add_i32 s21, s21, s33
	s_mul_hi_u32 s24, s10, 36
	s_mul_i32 s10, s10, 36
	s_add_u32 s10, s14, s10
	s_mul_hi_u32 s23, s11, 36
	s_mul_i32 s11, s11, 36
	s_addc_u32 s14, s15, s24
	v_and_b32_e32 v3, 3, v0
	s_add_u32 s10, s10, s11
	v_lshlrev_b32_e32 v19, 3, v3
	v_lshrrev_b32_e32 v3, 2, v6
	s_addc_u32 s11, s14, s23
	v_mad_u64_u32 v[5:6], s[10:11], v3, 36, s[10:11]
	v_and_b32_e32 v4, 12, v13
	v_mov_b32_e32 v2, 0
	v_mov_b32_e32 v3, v2
	s_mov_b64 s[14:15], 0
	v_lshlrev_b32_e32 v20, 1, v4
	v_mov_b32_e32 v17, v2
	v_mov_b32_e32 v4, v2
	s_branch .LBB61_18
.LBB61_17:                              ;   in Loop: Header=BB61_18 Depth=1
	s_waitcnt vmcnt(3)
	v_dot4_i32_i8 v9, v9, v7, 0
	s_waitcnt vmcnt(2)
	v_cvt_f32_f16_e32 v22, v22
	v_dot4_i32_i8 v9, v10, v8, v9
	s_waitcnt vmcnt(1)
	v_dot4_i32_i8 v7, v11, v7, 0
	v_cvt_f32_i32_e32 v9, v9
	s_waitcnt vmcnt(0)
	v_cvt_f32_f16_e32 v10, v23
	v_dot4_i32_i8 v7, v12, v8, v7
	v_cvt_f32_i32_e32 v7, v7
	v_mul_f32_e32 v8, v22, v21
	v_add_u32_e32 v18, 32, v18
	v_fmac_f32_e32 v17, v8, v9
	v_mul_f32_e32 v8, v10, v21
	v_add_co_u32_e32 v5, vcc, 0x480, v5
	v_cmp_le_u32_e64 s[10:11], s17, v18
	v_fmac_f32_e32 v4, v8, v7
	s_or_b64 s[14:15], s[10:11], s[14:15]
	v_addc_co_u32_e32 v6, vcc, 0, v6, vcc
	s_andn2_b64 exec, exec, s[14:15]
	s_cbranch_execz .LBB61_22
.LBB61_18:                              ; =>This Inner Loop Header: Depth=1
	v_add_u32_e32 v11, s20, v18
	v_add_co_u32_e32 v9, vcc, v5, v19
	v_mad_i64_i32 v[23:24], s[10:11], v11, 34, s[12:13]
	v_addc_co_u32_e32 v10, vcc, 0, v6, vcc
	global_load_dwordx2 v[7:8], v[9:10], off offset:4
	global_load_dword v12, v[5:6], off
	v_add_co_u32_e32 v25, vcc, v23, v20
	v_addc_co_u32_e32 v26, vcc, 0, v24, vcc
	global_load_dwordx2 v[9:10], v[25:26], off offset:2
	global_load_ushort v22, v[23:24], off
	s_and_b64 vcc, exec, s[6:7]
	s_waitcnt vmcnt(2)
	v_cvt_f32_f16_e32 v21, v12
	s_cbranch_vccnz .LBB61_20
; %bb.19:                               ;   in Loop: Header=BB61_18 Depth=1
	v_mad_i64_i32 v[11:12], s[10:11], v11, 34, s[28:29]
	v_add_co_u32_e32 v23, vcc, v11, v20
	v_addc_co_u32_e32 v24, vcc, 0, v12, vcc
	global_load_ushort v27, v[11:12], off
	global_load_dwordx2 v[25:26], v[23:24], off offset:2
	s_waitcnt vmcnt(1)
	v_cvt_f32_f16_e32 v11, v27
	s_waitcnt vmcnt(0)
	v_dot4_i32_i8 v12, v25, v7, 0
	v_dot4_i32_i8 v12, v26, v8, v12
	v_cvt_f32_i32_e32 v12, v12
	v_mul_f32_e32 v11, v21, v11
	v_fma_f32 v2, v11, v12, v2
.LBB61_20:                              ;   in Loop: Header=BB61_18 Depth=1
	v_add_u32_e32 v24, s21, v18
	v_mad_i64_i32 v[25:26], s[10:11], v24, 34, s[12:13]
	v_add_co_u32_e32 v27, vcc, v25, v20
	v_addc_co_u32_e32 v28, vcc, 0, v26, vcc
	global_load_dwordx2 v[11:12], v[27:28], off offset:2
	global_load_ushort v23, v[25:26], off
	s_and_b64 vcc, exec, s[6:7]
	s_cbranch_vccnz .LBB61_17
; %bb.21:                               ;   in Loop: Header=BB61_18 Depth=1
	v_mad_i64_i32 v[24:25], s[10:11], v24, 34, s[28:29]
	v_add_co_u32_e32 v26, vcc, v24, v20
	v_addc_co_u32_e32 v27, vcc, 0, v25, vcc
	global_load_ushort v30, v[24:25], off
	global_load_dwordx2 v[28:29], v[26:27], off offset:2
	s_waitcnt vmcnt(1)
	v_cvt_f32_f16_e32 v24, v30
	s_waitcnt vmcnt(0)
	v_dot4_i32_i8 v25, v28, v7, 0
	v_dot4_i32_i8 v25, v29, v8, v25
	v_cvt_f32_i32_e32 v25, v25
	v_mul_f32_e32 v24, v21, v24
	v_fma_f32 v3, v24, v25, v3
	s_branch .LBB61_17
.LBB61_22:
	s_or_b64 exec, exec, s[14:15]
.LBB61_23:
	s_or_b64 exec, exec, s[30:31]
	s_load_dword s17, s[4:5], 0x30
	v_cmp_eq_u32_e64 s[10:11], 0, v1
	v_cmp_ne_u32_e32 vcc, 0, v1
	s_and_saveexec_b64 s[12:13], vcc
	s_cbranch_execz .LBB61_28
; %bb.24:
	v_lshl_or_b32 v1, v1, 9, v13
	v_add_u32_e32 v5, 0xfffffe00, v1
	s_mov_b64 s[14:15], -1
	s_and_b64 vcc, exec, s[18:19]
	ds_write_b32 v5, v17
	s_cbranch_vccz .LBB61_26
; %bb.25:
	ds_write_b32 v5, v4 offset:256
	s_mov_b64 s[14:15], 0
.LBB61_26:
	s_andn2_b64 vcc, exec, s[14:15]
	s_cbranch_vccnz .LBB61_28
; %bb.27:
	ds_write_b32 v5, v4 offset:256
	ds_write2st64_b32 v1, v2, v3 offset1:1
.LBB61_28:
	s_or_b64 exec, exec, s[12:13]
	s_waitcnt vmcnt(0) lgkmcnt(0)
	s_barrier
	s_and_saveexec_b64 s[12:13], s[10:11]
	s_cbranch_execz .LBB61_61
; %bb.29:
	ds_read_b32 v6, v13
	s_and_b64 vcc, exec, s[6:7]
	v_or_b32_e32 v5, 0x200, v13
	s_cbranch_vccnz .LBB61_31
; %bb.30:
	ds_read_b32 v1, v5
	s_waitcnt lgkmcnt(0)
	v_add_f32_e32 v2, v2, v1
.LBB61_31:
	v_mbcnt_lo_u32_b32 v1, -1, 0
	v_mbcnt_hi_u32_b32 v7, -1, v1
	v_and_b32_e32 v1, 64, v7
	v_add_u32_e32 v12, 64, v1
	v_xor_b32_e32 v1, 32, v7
	v_cmp_lt_i32_e32 vcc, v1, v12
	v_cndmask_b32_e32 v1, v7, v1, vcc
	v_lshlrev_b32_e32 v1, 2, v1
	s_waitcnt lgkmcnt(0)
	v_add_f32_e32 v6, v17, v6
	ds_bpermute_b32 v9, v1, v6
	v_xor_b32_e32 v8, 16, v7
	v_cmp_lt_i32_e32 vcc, v8, v12
	v_cndmask_b32_e32 v8, v7, v8, vcc
	v_lshlrev_b32_e32 v8, 2, v8
	s_waitcnt lgkmcnt(0)
	v_add_f32_e32 v6, v6, v9
	ds_bpermute_b32 v10, v8, v6
	v_xor_b32_e32 v9, 8, v7
	v_cmp_lt_i32_e32 vcc, v9, v12
	v_cndmask_b32_e32 v9, v7, v9, vcc
	v_lshlrev_b32_e32 v9, 2, v9
	s_waitcnt lgkmcnt(0)
	v_add_f32_e32 v6, v6, v10
	ds_bpermute_b32 v11, v9, v6
	v_xor_b32_e32 v10, 4, v7
	v_cmp_lt_i32_e32 vcc, v10, v12
	v_cndmask_b32_e32 v10, v7, v10, vcc
	v_lshlrev_b32_e32 v10, 2, v10
	s_waitcnt lgkmcnt(0)
	v_add_f32_e32 v6, v6, v11
	ds_bpermute_b32 v17, v10, v6
	v_xor_b32_e32 v11, 2, v7
	v_cmp_lt_i32_e32 vcc, v11, v12
	v_cndmask_b32_e32 v11, v7, v11, vcc
	v_lshlrev_b32_e32 v11, 2, v11
	s_waitcnt lgkmcnt(0)
	v_add_f32_e32 v6, v6, v17
	ds_bpermute_b32 v17, v11, v6
	v_xor_b32_e32 v18, 1, v7
	v_cmp_lt_i32_e32 vcc, v18, v12
	v_cndmask_b32_e32 v7, v7, v18, vcc
	v_lshlrev_b32_e32 v12, 2, v7
	s_waitcnt lgkmcnt(0)
	v_add_f32_e32 v6, v6, v17
	ds_bpermute_b32 v7, v12, v6
	s_and_b64 vcc, exec, s[6:7]
	s_cbranch_vccnz .LBB61_33
; %bb.32:
	ds_bpermute_b32 v17, v1, v2
	s_waitcnt lgkmcnt(0)
	v_add_f32_e32 v2, v2, v17
	ds_bpermute_b32 v17, v8, v2
	s_waitcnt lgkmcnt(0)
	v_add_f32_e32 v2, v2, v17
	;; [unrolled: 3-line block ×6, first 2 shown]
.LBB61_33:
	ds_read_b32 v17, v13 offset:256
	s_and_b64 vcc, exec, s[6:7]
	s_cbranch_vccnz .LBB61_35
; %bb.34:
	ds_read_b32 v5, v5 offset:256
	s_waitcnt lgkmcnt(0)
	v_add_f32_e32 v3, v3, v5
.LBB61_35:
	s_waitcnt lgkmcnt(0)
	v_add_f32_e32 v4, v4, v17
	ds_bpermute_b32 v5, v1, v4
	s_and_b64 vcc, exec, s[6:7]
	s_waitcnt lgkmcnt(0)
	v_add_f32_e32 v4, v4, v5
	ds_bpermute_b32 v5, v8, v4
	s_waitcnt lgkmcnt(0)
	v_add_f32_e32 v4, v4, v5
	ds_bpermute_b32 v5, v9, v4
	s_waitcnt lgkmcnt(0)
	v_add_f32_e32 v4, v4, v5
	ds_bpermute_b32 v5, v10, v4
	s_waitcnt lgkmcnt(0)
	v_add_f32_e32 v4, v4, v5
	ds_bpermute_b32 v5, v11, v4
	s_waitcnt lgkmcnt(0)
	v_add_f32_e32 v4, v4, v5
	ds_bpermute_b32 v5, v12, v4
	s_cbranch_vccnz .LBB61_37
; %bb.36:
	ds_bpermute_b32 v1, v1, v3
	s_waitcnt lgkmcnt(0)
	v_add_f32_e32 v1, v3, v1
	ds_bpermute_b32 v3, v8, v1
	s_waitcnt lgkmcnt(0)
	v_add_f32_e32 v1, v1, v3
	;; [unrolled: 3-line block ×6, first 2 shown]
.LBB61_37:
	v_cmp_gt_u32_e32 vcc, s9, v14
	v_cmp_gt_u32_e64 s[10:11], 2, v0
	s_and_b64 s[10:11], s[10:11], vcc
	s_and_b64 exec, exec, s[10:11]
	s_cbranch_execz .LBB61_61
; %bb.38:
	v_add_f32_e32 v1, v6, v7
	s_waitcnt lgkmcnt(0)
	v_add_f32_e32 v4, v4, v5
	v_cmp_eq_u32_e64 s[10:11], 1, v0
	v_cndmask_b32_e64 v0, v1, v4, s[10:11]
	v_add_f32_e32 v1, v16, v0
	s_and_b64 vcc, exec, s[6:7]
	v_cndmask_b32_e64 v0, v1, v0, s[0:1]
	s_cbranch_vccnz .LBB61_60
; %bb.39:
	v_cndmask_b32_e64 v1, v2, v3, s[10:11]
	v_add_f32_e32 v2, v15, v1
	v_cndmask_b32_e64 v1, v1, v2, s[2:3]
	s_cmp_lt_i32 s17, 2
	s_mov_b64 s[0:1], 0
	s_cbranch_scc1 .LBB61_43
; %bb.40:
	s_cmp_gt_i32 s17, 2
	s_cbranch_scc0 .LBB61_44
; %bb.41:
	s_cmp_eq_u32 s17, 3
	s_cbranch_scc0 .LBB61_45
; %bb.42:
	v_max_f32_e32 v2, v1, v1
	v_min_f32_e32 v2, 0x40e00000, v2
	v_mul_f32_e32 v3, 0xbfd9db23, v2
	s_mov_b32 s2, 0x3fb8aa3b
	v_mul_f32_e32 v4, 0x3fb8aa3b, v3
	v_fma_f32 v5, v3, s2, -v4
	v_rndne_f32_e32 v6, v4
	v_fmac_f32_e32 v5, 0x32a5705f, v3
	v_sub_f32_e32 v4, v4, v6
	v_add_f32_e32 v4, v4, v5
	v_exp_f32_e32 v4, v4
	v_cvt_i32_f32_e32 v5, v6
	s_mov_b32 s2, 0xc2ce8ed0
	v_cmp_ngt_f32_e32 vcc, s2, v3
	s_mov_b32 s2, 0x42b17218
	v_ldexp_f32 v4, v4, v5
	v_cndmask_b32_e32 v4, 0, v4, vcc
	v_mov_b32_e32 v5, 0x7f800000
	v_cmp_nlt_f32_e32 vcc, s2, v3
	v_cndmask_b32_e32 v3, v5, v4, vcc
	v_add_f32_e32 v3, 1.0, v3
	v_div_scale_f32 v4, s[2:3], v3, v3, v2
	v_div_scale_f32 v5, vcc, v2, v3, v2
	s_mov_b64 s[2:3], 0
	v_rcp_f32_e32 v6, v4
	v_fma_f32 v7, -v4, v6, 1.0
	v_fmac_f32_e32 v6, v7, v6
	v_mul_f32_e32 v7, v5, v6
	v_fma_f32 v8, -v4, v7, v5
	v_fmac_f32_e32 v7, v8, v6
	v_fma_f32 v4, -v4, v7, v5
	v_div_fmas_f32 v4, v4, v6, v7
	v_max_f32_e32 v5, v0, v0
	v_min_f32_e32 v5, 0x40e00000, v5
	v_max_f32_e32 v5, 0xc0e00000, v5
	v_add_f32_e32 v5, 1.0, v5
	v_div_fixup_f32 v2, v4, v3, v2
	v_mul_f32_e32 v2, v5, v2
	s_branch .LBB61_46
.LBB61_43:
                                        ; implicit-def: $vgpr2
	s_mov_b64 s[2:3], 0
	s_cbranch_execnz .LBB61_50
	s_branch .LBB61_51
.LBB61_44:
	s_mov_b64 s[6:7], -1
	s_mov_b64 s[2:3], 0
                                        ; implicit-def: $vgpr2
	s_branch .LBB61_47
.LBB61_45:
	s_mov_b64 s[2:3], -1
                                        ; implicit-def: $vgpr2
.LBB61_46:
	s_mov_b64 s[6:7], 0
.LBB61_47:
	s_and_b64 vcc, exec, s[6:7]
	s_cbranch_vccz .LBB61_49
; %bb.48:
	v_mul_f32_e32 v2, 0xbfb8aa3b, v1
	s_mov_b32 s6, 0xbfb8aa3b
	v_rndne_f32_e32 v3, v2
	v_sub_f32_e32 v4, v2, v3
	v_fma_f32 v2, v1, s6, -v2
	v_fmac_f32_e32 v2, 0xb2a5705f, v1
	v_add_f32_e32 v2, v4, v2
	v_exp_f32_e32 v2, v2
	v_cvt_i32_f32_e32 v3, v3
	s_mov_b32 s6, 0x42ce8ed0
	v_cmp_nlt_f32_e32 vcc, s6, v1
	s_mov_b32 s6, 0xc2b17218
	v_ldexp_f32 v2, v2, v3
	v_cndmask_b32_e32 v2, 0, v2, vcc
	v_mov_b32_e32 v3, 0x7f800000
	v_cmp_ngt_f32_e32 vcc, s6, v1
	v_cndmask_b32_e32 v2, v3, v2, vcc
	v_add_f32_e32 v2, 1.0, v2
	v_div_scale_f32 v3, s[6:7], v2, v2, v1
	v_div_scale_f32 v4, vcc, v1, v2, v1
	v_rcp_f32_e32 v5, v3
	v_fma_f32 v6, -v3, v5, 1.0
	v_fmac_f32_e32 v5, v6, v5
	v_mul_f32_e32 v6, v4, v5
	v_fma_f32 v7, -v3, v6, v4
	v_fmac_f32_e32 v6, v7, v5
	v_fma_f32 v3, -v3, v6, v4
	v_div_fmas_f32 v3, v3, v5, v6
	v_div_fixup_f32 v2, v3, v2, v1
	v_mul_f32_e32 v2, v0, v2
.LBB61_49:
	s_branch .LBB61_51
.LBB61_50:
	s_cmp_lg_u32 s17, 1
	s_mov_b64 s[0:1], -1
	s_cselect_b64 s[2:3], -1, 0
.LBB61_51:
	s_andn2_b64 vcc, exec, s[2:3]
	s_cbranch_vccz .LBB61_53
; %bb.52:
	s_andn2_b64 vcc, exec, s[0:1]
	s_cbranch_vccz .LBB61_54
	s_branch .LBB61_59
.LBB61_53:
	v_mul_f32_e32 v2, v1, v0
	s_cbranch_execnz .LBB61_59
.LBB61_54:
	v_mul_f32_e32 v3, 0x3d372713, v1
	v_mul_f32_e32 v2, 0x3f4c422a, v1
	v_fma_f32 v3, v1, v3, 1.0
	v_mul_f32_e32 v2, v2, v3
	s_mov_b32 s0, 0x3f200000
	v_cmp_nlt_f32_e64 s[0:1], |v2|, s0
                                        ; implicit-def: $vgpr3
	s_and_saveexec_b64 s[2:3], s[0:1]
	s_xor_b64 s[0:1], exec, s[2:3]
	s_cbranch_execz .LBB61_56
; %bb.55:
	v_add_f32_e64 v3, |v2|, |v2|
	v_mul_f32_e32 v4, 0x3fb8aa3b, v3
	s_mov_b32 s2, 0x3fb8aa3b
	v_rndne_f32_e32 v5, v4
	v_sub_f32_e32 v6, v4, v5
	v_fma_f32 v4, v3, s2, -v4
	v_fmac_f32_e32 v4, 0x32a5705f, v3
	v_add_f32_e32 v4, v6, v4
	v_exp_f32_e32 v4, v4
	v_cvt_i32_f32_e32 v5, v5
	s_mov_b32 s2, 0xc2ce8ed0
	v_cmp_ngt_f32_e32 vcc, s2, v3
	s_mov_b32 s2, 0x42b17218
	v_ldexp_f32 v4, v4, v5
	v_cndmask_b32_e32 v4, 0, v4, vcc
	v_mov_b32_e32 v5, 0x7f800000
	v_cmp_nlt_f32_e32 vcc, s2, v3
	v_cndmask_b32_e32 v3, v5, v4, vcc
	v_add_f32_e32 v3, 1.0, v3
	v_rcp_f32_e32 v3, v3
	v_fma_f32 v3, v3, -2.0, 1.0
.LBB61_56:
	s_andn2_saveexec_b64 s[0:1], s[0:1]
	s_cbranch_execz .LBB61_58
; %bb.57:
	v_mul_f32_e32 v3, v2, v2
	v_mov_b32_e32 v4, 0x3ca908c9
	v_fmac_f32_e32 v4, 0xbbbac73d, v3
	v_mov_b32_e32 v5, 0xbd5c1c4e
	v_fmac_f32_e32 v5, v3, v4
	;; [unrolled: 2-line block ×4, first 2 shown]
	v_mul_f32_e64 v4, |v2|, v5
	v_fma_f32 v3, v3, v4, |v2|
.LBB61_58:
	s_or_b64 exec, exec, s[0:1]
	s_brev_b32 s0, -2
	v_bfi_b32 v2, s0, v3, v2
	v_mul_f32_e32 v1, 0.5, v1
	v_add_f32_e32 v2, 1.0, v2
	v_mul_f32_e32 v1, v1, v2
	v_mul_f32_e32 v2, v0, v1
.LBB61_59:
	v_mov_b32_e32 v0, v2
.LBB61_60:
	s_load_dwordx2 s[0:1], s[4:5], 0x38
	s_mul_i32 s3, s22, s34
	s_mul_i32 s2, s26, s8
	s_add_i32 s3, s3, s16
	s_add_i32 s2, s3, s2
	s_mov_b32 s3, 0
	s_lshl_b64 s[2:3], s[2:3], 2
	s_waitcnt lgkmcnt(0)
	s_add_u32 s0, s0, s2
	s_addc_u32 s1, s1, s3
	global_store_dword v13, v0, s[0:1]
.LBB61_61:
	s_endpgm
	.section	.rodata,"a",@progbits
	.p2align	6, 0x0
	.amdhsa_kernel _ZL13mul_mat_vec_qIL9ggml_type8ELi1ELb1ELb1EEvPKvS2_PKi31ggml_cuda_mm_fusion_args_devicePfj15HIP_vector_typeIjLj3EEjjjS8_jjjS8_jjjj
		.amdhsa_group_segment_fixed_size 1024
		.amdhsa_private_segment_fixed_size 0
		.amdhsa_kernarg_size 144
		.amdhsa_user_sgpr_count 6
		.amdhsa_user_sgpr_private_segment_buffer 1
		.amdhsa_user_sgpr_dispatch_ptr 0
		.amdhsa_user_sgpr_queue_ptr 0
		.amdhsa_user_sgpr_kernarg_segment_ptr 1
		.amdhsa_user_sgpr_dispatch_id 0
		.amdhsa_user_sgpr_flat_scratch_init 0
		.amdhsa_user_sgpr_private_segment_size 0
		.amdhsa_uses_dynamic_stack 0
		.amdhsa_system_sgpr_private_segment_wavefront_offset 0
		.amdhsa_system_sgpr_workgroup_id_x 1
		.amdhsa_system_sgpr_workgroup_id_y 1
		.amdhsa_system_sgpr_workgroup_id_z 1
		.amdhsa_system_sgpr_workgroup_info 0
		.amdhsa_system_vgpr_workitem_id 1
		.amdhsa_next_free_vgpr 31
		.amdhsa_next_free_sgpr 44
		.amdhsa_reserve_vcc 1
		.amdhsa_reserve_flat_scratch 0
		.amdhsa_float_round_mode_32 0
		.amdhsa_float_round_mode_16_64 0
		.amdhsa_float_denorm_mode_32 3
		.amdhsa_float_denorm_mode_16_64 3
		.amdhsa_dx10_clamp 1
		.amdhsa_ieee_mode 1
		.amdhsa_fp16_overflow 0
		.amdhsa_exception_fp_ieee_invalid_op 0
		.amdhsa_exception_fp_denorm_src 0
		.amdhsa_exception_fp_ieee_div_zero 0
		.amdhsa_exception_fp_ieee_overflow 0
		.amdhsa_exception_fp_ieee_underflow 0
		.amdhsa_exception_fp_ieee_inexact 0
		.amdhsa_exception_int_div_zero 0
	.end_amdhsa_kernel
	.section	.text._ZL13mul_mat_vec_qIL9ggml_type8ELi1ELb1ELb1EEvPKvS2_PKi31ggml_cuda_mm_fusion_args_devicePfj15HIP_vector_typeIjLj3EEjjjS8_jjjS8_jjjj,"axG",@progbits,_ZL13mul_mat_vec_qIL9ggml_type8ELi1ELb1ELb1EEvPKvS2_PKi31ggml_cuda_mm_fusion_args_devicePfj15HIP_vector_typeIjLj3EEjjjS8_jjjS8_jjjj,comdat
.Lfunc_end61:
	.size	_ZL13mul_mat_vec_qIL9ggml_type8ELi1ELb1ELb1EEvPKvS2_PKi31ggml_cuda_mm_fusion_args_devicePfj15HIP_vector_typeIjLj3EEjjjS8_jjjS8_jjjj, .Lfunc_end61-_ZL13mul_mat_vec_qIL9ggml_type8ELi1ELb1ELb1EEvPKvS2_PKi31ggml_cuda_mm_fusion_args_devicePfj15HIP_vector_typeIjLj3EEjjjS8_jjjS8_jjjj
                                        ; -- End function
	.set _ZL13mul_mat_vec_qIL9ggml_type8ELi1ELb1ELb1EEvPKvS2_PKi31ggml_cuda_mm_fusion_args_devicePfj15HIP_vector_typeIjLj3EEjjjS8_jjjS8_jjjj.num_vgpr, 31
	.set _ZL13mul_mat_vec_qIL9ggml_type8ELi1ELb1ELb1EEvPKvS2_PKi31ggml_cuda_mm_fusion_args_devicePfj15HIP_vector_typeIjLj3EEjjjS8_jjjS8_jjjj.num_agpr, 0
	.set _ZL13mul_mat_vec_qIL9ggml_type8ELi1ELb1ELb1EEvPKvS2_PKi31ggml_cuda_mm_fusion_args_devicePfj15HIP_vector_typeIjLj3EEjjjS8_jjjS8_jjjj.numbered_sgpr, 44
	.set _ZL13mul_mat_vec_qIL9ggml_type8ELi1ELb1ELb1EEvPKvS2_PKi31ggml_cuda_mm_fusion_args_devicePfj15HIP_vector_typeIjLj3EEjjjS8_jjjS8_jjjj.num_named_barrier, 0
	.set _ZL13mul_mat_vec_qIL9ggml_type8ELi1ELb1ELb1EEvPKvS2_PKi31ggml_cuda_mm_fusion_args_devicePfj15HIP_vector_typeIjLj3EEjjjS8_jjjS8_jjjj.private_seg_size, 0
	.set _ZL13mul_mat_vec_qIL9ggml_type8ELi1ELb1ELb1EEvPKvS2_PKi31ggml_cuda_mm_fusion_args_devicePfj15HIP_vector_typeIjLj3EEjjjS8_jjjS8_jjjj.uses_vcc, 1
	.set _ZL13mul_mat_vec_qIL9ggml_type8ELi1ELb1ELb1EEvPKvS2_PKi31ggml_cuda_mm_fusion_args_devicePfj15HIP_vector_typeIjLj3EEjjjS8_jjjS8_jjjj.uses_flat_scratch, 0
	.set _ZL13mul_mat_vec_qIL9ggml_type8ELi1ELb1ELb1EEvPKvS2_PKi31ggml_cuda_mm_fusion_args_devicePfj15HIP_vector_typeIjLj3EEjjjS8_jjjS8_jjjj.has_dyn_sized_stack, 0
	.set _ZL13mul_mat_vec_qIL9ggml_type8ELi1ELb1ELb1EEvPKvS2_PKi31ggml_cuda_mm_fusion_args_devicePfj15HIP_vector_typeIjLj3EEjjjS8_jjjS8_jjjj.has_recursion, 0
	.set _ZL13mul_mat_vec_qIL9ggml_type8ELi1ELb1ELb1EEvPKvS2_PKi31ggml_cuda_mm_fusion_args_devicePfj15HIP_vector_typeIjLj3EEjjjS8_jjjS8_jjjj.has_indirect_call, 0
	.section	.AMDGPU.csdata,"",@progbits
; Kernel info:
; codeLenInByte = 2792
; TotalNumSgprs: 48
; NumVgprs: 31
; ScratchSize: 0
; MemoryBound: 0
; FloatMode: 240
; IeeeMode: 1
; LDSByteSize: 1024 bytes/workgroup (compile time only)
; SGPRBlocks: 5
; VGPRBlocks: 7
; NumSGPRsForWavesPerEU: 48
; NumVGPRsForWavesPerEU: 31
; Occupancy: 8
; WaveLimiterHint : 0
; COMPUTE_PGM_RSRC2:SCRATCH_EN: 0
; COMPUTE_PGM_RSRC2:USER_SGPR: 6
; COMPUTE_PGM_RSRC2:TRAP_HANDLER: 0
; COMPUTE_PGM_RSRC2:TGID_X_EN: 1
; COMPUTE_PGM_RSRC2:TGID_Y_EN: 1
; COMPUTE_PGM_RSRC2:TGID_Z_EN: 1
; COMPUTE_PGM_RSRC2:TIDIG_COMP_CNT: 1
	.section	.text._ZL13mul_mat_vec_qIL9ggml_type8ELi1ELb0ELb1EEvPKvS2_PKi31ggml_cuda_mm_fusion_args_devicePfj15HIP_vector_typeIjLj3EEjjjS8_jjjS8_jjjj,"axG",@progbits,_ZL13mul_mat_vec_qIL9ggml_type8ELi1ELb0ELb1EEvPKvS2_PKi31ggml_cuda_mm_fusion_args_devicePfj15HIP_vector_typeIjLj3EEjjjS8_jjjS8_jjjj,comdat
	.globl	_ZL13mul_mat_vec_qIL9ggml_type8ELi1ELb0ELb1EEvPKvS2_PKi31ggml_cuda_mm_fusion_args_devicePfj15HIP_vector_typeIjLj3EEjjjS8_jjjS8_jjjj ; -- Begin function _ZL13mul_mat_vec_qIL9ggml_type8ELi1ELb0ELb1EEvPKvS2_PKi31ggml_cuda_mm_fusion_args_devicePfj15HIP_vector_typeIjLj3EEjjjS8_jjjS8_jjjj
	.p2align	8
	.type	_ZL13mul_mat_vec_qIL9ggml_type8ELi1ELb0ELb1EEvPKvS2_PKi31ggml_cuda_mm_fusion_args_devicePfj15HIP_vector_typeIjLj3EEjjjS8_jjjS8_jjjj,@function
_ZL13mul_mat_vec_qIL9ggml_type8ELi1ELb0ELb1EEvPKvS2_PKi31ggml_cuda_mm_fusion_args_devicePfj15HIP_vector_typeIjLj3EEjjjS8_jjjS8_jjjj: ; @_ZL13mul_mat_vec_qIL9ggml_type8ELi1ELb0ELb1EEvPKvS2_PKi31ggml_cuda_mm_fusion_args_devicePfj15HIP_vector_typeIjLj3EEjjjS8_jjjS8_jjjj
; %bb.0:
	s_load_dwordx2 s[0:1], s[4:5], 0x10
	s_load_dwordx4 s[16:19], s[4:5], 0x40
	s_mov_b32 s10, s7
	s_mov_b64 s[14:15], 0
	s_waitcnt lgkmcnt(0)
	s_cmp_lg_u64 s[0:1], 0
	s_cselect_b64 s[12:13], -1, 0
	s_cmp_eq_u64 s[0:1], 0
	s_cbranch_scc1 .LBB62_5
; %bb.1:
	s_mov_b32 s11, 0
	s_lshl_b64 s[2:3], s[10:11], 2
	s_add_u32 s0, s0, s2
	s_addc_u32 s1, s1, s3
	s_load_dword s21, s[0:1], 0x0
	s_nop 0
	s_load_dwordx4 s[0:3], s[4:5], 0x68
	s_load_dword s20, s[4:5], 0x50
	s_andn2_b64 vcc, exec, s[14:15]
	s_cbranch_vccnz .LBB62_3
.LBB62_2:
	s_load_dwordx2 s[14:15], s[4:5], 0x5c
	s_waitcnt lgkmcnt(0)
	s_mul_hi_u32 s7, s14, s10
	s_add_i32 s7, s10, s7
	s_lshr_b32 s21, s7, s15
.LBB62_3:
	s_load_dword s22, s[4:5], 0x78
	s_andn2_b64 vcc, exec, s[12:13]
	s_cbranch_vccnz .LBB62_6
; %bb.4:
	s_mul_hi_u32 s7, s17, s10
	s_add_i32 s7, s10, s7
	s_lshr_b32 s7, s7, s18
	s_mul_i32 s7, s7, s19
	s_sub_i32 s23, s10, s7
	s_branch .LBB62_7
.LBB62_5:
                                        ; implicit-def: $sgpr21
	s_load_dwordx4 s[0:3], s[4:5], 0x68
	s_load_dword s20, s[4:5], 0x50
	s_branch .LBB62_2
.LBB62_6:
	s_mov_b32 s23, s10
.LBB62_7:
	s_load_dwordx4 s[12:15], s[4:5], 0x80
	v_lshl_add_u32 v2, v1, 6, v0
	s_lshr_b32 s11, s16, 5
	v_lshrrev_b32_e32 v7, 2, v2
	s_lshl_b32 s9, s6, 1
	v_cmp_gt_u32_e32 vcc, s11, v7
	v_mov_b32_e32 v6, 0
	v_lshlrev_b32_e32 v4, 2, v0
	v_mov_b32_e32 v5, 0
	s_and_saveexec_b64 s[6:7], vcc
	s_cbranch_execz .LBB62_11
; %bb.8:
	s_waitcnt lgkmcnt(0)
	s_mul_hi_u32 s3, s3, s8
	s_add_i32 s3, s8, s3
	s_lshr_b32 s3, s3, s22
	s_load_dwordx4 s[16:19], s[4:5], 0x0
	s_mul_i32 s0, s21, s0
	s_mul_i32 s3, s3, s12
	s_add_i32 s12, s0, s3
	s_mul_i32 s0, s9, s20
	s_add_i32 s3, s12, s0
	s_add_i32 s0, s9, 1
	s_mul_i32 s13, s13, s8
	s_mul_i32 s20, s20, s0
	s_add_i32 s12, s12, s20
	s_mul_hi_u32 s0, s13, 36
	s_mul_i32 s13, s13, 36
	s_mul_i32 s1, s23, s1
	s_waitcnt lgkmcnt(0)
	s_add_u32 s13, s18, s13
	s_mul_hi_u32 s15, s1, 36
	s_mul_i32 s1, s1, 36
	s_addc_u32 s18, s19, s0
	s_add_u32 s0, s13, s1
	v_and_b32_e32 v3, 3, v0
	v_lshrrev_b32_e32 v2, 2, v2
	s_addc_u32 s1, s18, s15
	v_lshlrev_b32_e32 v8, 3, v3
	v_mad_u64_u32 v[2:3], s[0:1], v2, 36, s[0:1]
	v_and_b32_e32 v6, 12, v4
	v_mov_b32_e32 v5, 0
	s_mov_b64 s[0:1], 0
	v_lshlrev_b32_e32 v9, 1, v6
	v_mov_b32_e32 v6, 0
.LBB62_9:                               ; =>This Inner Loop Header: Depth=1
	v_add_u32_e32 v12, s3, v7
	v_mad_i64_i32 v[12:13], s[18:19], v12, 34, s[16:17]
	v_add_u32_e32 v14, s12, v7
	v_add_co_u32_e32 v10, vcc, v2, v8
	v_mad_i64_i32 v[14:15], s[18:19], v14, 34, s[16:17]
	v_addc_co_u32_e32 v11, vcc, 0, v3, vcc
	v_add_co_u32_e32 v16, vcc, v12, v9
	v_addc_co_u32_e32 v17, vcc, 0, v13, vcc
	global_load_dword v22, v[2:3], off
	v_add_co_u32_e32 v18, vcc, v14, v9
	global_load_dwordx2 v[10:11], v[10:11], off offset:4
	v_addc_co_u32_e32 v19, vcc, 0, v15, vcc
	global_load_dwordx2 v[16:17], v[16:17], off offset:2
	s_nop 0
	global_load_dwordx2 v[20:21], v[18:19], off offset:2
	global_load_ushort v23, v[14:15], off
                                        ; kill: killed $vgpr14 killed $vgpr15
                                        ; kill: killed $vgpr18 killed $vgpr19
	s_nop 0
	global_load_ushort v12, v[12:13], off
	v_add_co_u32_e32 v2, vcc, 0x480, v2
	v_add_u32_e32 v7, 32, v7
	v_addc_co_u32_e32 v3, vcc, 0, v3, vcc
	v_cmp_le_u32_e32 vcc, s11, v7
	s_or_b64 s[0:1], vcc, s[0:1]
	s_waitcnt vmcnt(5)
	v_cvt_f32_f16_e32 v13, v22
	s_waitcnt vmcnt(3)
	v_dot4_i32_i8 v14, v16, v10, 0
	s_waitcnt vmcnt(2)
	v_dot4_i32_i8 v10, v20, v10, 0
	s_waitcnt vmcnt(1)
	v_cvt_f32_f16_e32 v15, v23
	s_waitcnt vmcnt(0)
	v_cvt_f32_f16_e32 v12, v12
	v_dot4_i32_i8 v14, v17, v11, v14
	v_dot4_i32_i8 v10, v21, v11, v10
	v_cvt_f32_i32_e32 v11, v14
	v_cvt_f32_i32_e32 v10, v10
	v_mul_f32_e32 v12, v12, v13
	v_mul_f32_e32 v13, v15, v13
	v_fmac_f32_e32 v5, v12, v11
	v_fmac_f32_e32 v6, v13, v10
	s_andn2_b64 exec, exec, s[0:1]
	s_cbranch_execnz .LBB62_9
; %bb.10:
	s_or_b64 exec, exec, s[0:1]
.LBB62_11:
	s_or_b64 exec, exec, s[6:7]
	v_cmp_eq_u32_e32 vcc, 0, v1
	s_waitcnt lgkmcnt(0)
	v_cmp_ne_u32_e64 s[0:1], 0, v1
	s_and_saveexec_b64 s[6:7], s[0:1]
; %bb.12:
	v_lshl_or_b32 v1, v1, 9, v4
	v_add_u32_e32 v1, 0xfffffe00, v1
	ds_write2st64_b32 v1, v5, v6 offset1:1
; %bb.13:
	s_or_b64 exec, exec, s[6:7]
	s_waitcnt lgkmcnt(0)
	s_barrier
	s_and_saveexec_b64 s[0:1], vcc
	s_cbranch_execz .LBB62_16
; %bb.14:
	v_mbcnt_lo_u32_b32 v1, -1, 0
	v_mbcnt_hi_u32_b32 v3, -1, v1
	v_and_b32_e32 v1, 64, v3
	v_add_u32_e32 v7, 64, v1
	v_xor_b32_e32 v1, 32, v3
	v_cmp_lt_i32_e32 vcc, v1, v7
	v_cndmask_b32_e32 v1, v3, v1, vcc
	v_lshlrev_b32_e32 v8, 2, v1
	v_xor_b32_e32 v1, 16, v3
	v_cmp_lt_i32_e32 vcc, v1, v7
	v_cndmask_b32_e32 v1, v3, v1, vcc
	v_lshlrev_b32_e32 v9, 2, v1
	ds_read2st64_b32 v[1:2], v4 offset1:1
	v_xor_b32_e32 v10, 8, v3
	v_cmp_lt_i32_e32 vcc, v10, v7
	v_cndmask_b32_e32 v10, v3, v10, vcc
	v_lshlrev_b32_e32 v10, 2, v10
	s_waitcnt lgkmcnt(0)
	v_add_f32_e32 v1, v5, v1
	v_add_f32_e32 v2, v6, v2
	ds_bpermute_b32 v5, v8, v1
	ds_bpermute_b32 v6, v8, v2
	v_xor_b32_e32 v11, 4, v3
	v_cmp_lt_i32_e32 vcc, v11, v7
	v_cndmask_b32_e32 v8, v3, v11, vcc
	s_waitcnt lgkmcnt(1)
	v_add_f32_e32 v1, v1, v5
	s_waitcnt lgkmcnt(0)
	v_add_f32_e32 v2, v2, v6
	ds_bpermute_b32 v5, v9, v1
	ds_bpermute_b32 v6, v9, v2
	v_lshlrev_b32_e32 v8, 2, v8
	v_xor_b32_e32 v9, 2, v3
	v_cmp_lt_i32_e32 vcc, v9, v7
	s_waitcnt lgkmcnt(1)
	v_add_f32_e32 v1, v1, v5
	s_waitcnt lgkmcnt(0)
	v_add_f32_e32 v2, v2, v6
	ds_bpermute_b32 v5, v10, v1
	ds_bpermute_b32 v6, v10, v2
	v_cndmask_b32_e32 v9, v3, v9, vcc
	s_load_dword s0, s[4:5], 0x58
	s_mov_b32 s3, 0
	s_waitcnt lgkmcnt(0)
	v_add_f32_e32 v1, v1, v5
	v_add_f32_e32 v2, v2, v6
	ds_bpermute_b32 v5, v8, v1
	ds_bpermute_b32 v6, v8, v2
	v_lshlrev_b32_e32 v8, 2, v9
	v_xor_b32_e32 v9, 1, v3
	v_cmp_lt_i32_e32 vcc, v9, v7
	s_waitcnt lgkmcnt(1)
	v_add_f32_e32 v1, v1, v5
	s_waitcnt lgkmcnt(0)
	v_add_f32_e32 v6, v2, v6
	ds_bpermute_b32 v5, v8, v1
	ds_bpermute_b32 v8, v8, v6
	v_cndmask_b32_e32 v2, v3, v9, vcc
	v_lshlrev_b32_e32 v7, 2, v2
	s_waitcnt lgkmcnt(1)
	v_add_f32_e32 v1, v1, v5
	s_waitcnt lgkmcnt(0)
	v_add_f32_e32 v3, v6, v8
	ds_bpermute_b32 v2, v7, v1
	ds_bpermute_b32 v5, v7, v3
	v_or_b32_e32 v6, s9, v0
	v_cmp_gt_u32_e32 vcc, s0, v6
	v_cmp_gt_u32_e64 s[0:1], 2, v0
	s_and_b64 s[0:1], s[0:1], vcc
	s_and_b64 exec, exec, s[0:1]
	s_cbranch_execz .LBB62_16
; %bb.15:
	s_load_dwordx2 s[0:1], s[4:5], 0x38
	s_mul_i32 s2, s2, s10
	s_add_i32 s2, s2, s9
	s_mul_i32 s4, s14, s8
	s_add_i32 s2, s2, s4
	s_lshl_b64 s[2:3], s[2:3], 2
	s_waitcnt lgkmcnt(0)
	s_add_u32 s0, s0, s2
	v_add_f32_e32 v3, v3, v5
	v_add_f32_e32 v1, v1, v2
	v_cmp_eq_u32_e32 vcc, 1, v0
	s_addc_u32 s1, s1, s3
	v_cndmask_b32_e32 v0, v1, v3, vcc
	global_store_dword v4, v0, s[0:1]
.LBB62_16:
	s_endpgm
	.section	.rodata,"a",@progbits
	.p2align	6, 0x0
	.amdhsa_kernel _ZL13mul_mat_vec_qIL9ggml_type8ELi1ELb0ELb1EEvPKvS2_PKi31ggml_cuda_mm_fusion_args_devicePfj15HIP_vector_typeIjLj3EEjjjS8_jjjS8_jjjj
		.amdhsa_group_segment_fixed_size 512
		.amdhsa_private_segment_fixed_size 0
		.amdhsa_kernarg_size 144
		.amdhsa_user_sgpr_count 6
		.amdhsa_user_sgpr_private_segment_buffer 1
		.amdhsa_user_sgpr_dispatch_ptr 0
		.amdhsa_user_sgpr_queue_ptr 0
		.amdhsa_user_sgpr_kernarg_segment_ptr 1
		.amdhsa_user_sgpr_dispatch_id 0
		.amdhsa_user_sgpr_flat_scratch_init 0
		.amdhsa_user_sgpr_private_segment_size 0
		.amdhsa_uses_dynamic_stack 0
		.amdhsa_system_sgpr_private_segment_wavefront_offset 0
		.amdhsa_system_sgpr_workgroup_id_x 1
		.amdhsa_system_sgpr_workgroup_id_y 1
		.amdhsa_system_sgpr_workgroup_id_z 1
		.amdhsa_system_sgpr_workgroup_info 0
		.amdhsa_system_vgpr_workitem_id 1
		.amdhsa_next_free_vgpr 24
		.amdhsa_next_free_sgpr 24
		.amdhsa_reserve_vcc 1
		.amdhsa_reserve_flat_scratch 0
		.amdhsa_float_round_mode_32 0
		.amdhsa_float_round_mode_16_64 0
		.amdhsa_float_denorm_mode_32 3
		.amdhsa_float_denorm_mode_16_64 3
		.amdhsa_dx10_clamp 1
		.amdhsa_ieee_mode 1
		.amdhsa_fp16_overflow 0
		.amdhsa_exception_fp_ieee_invalid_op 0
		.amdhsa_exception_fp_denorm_src 0
		.amdhsa_exception_fp_ieee_div_zero 0
		.amdhsa_exception_fp_ieee_overflow 0
		.amdhsa_exception_fp_ieee_underflow 0
		.amdhsa_exception_fp_ieee_inexact 0
		.amdhsa_exception_int_div_zero 0
	.end_amdhsa_kernel
	.section	.text._ZL13mul_mat_vec_qIL9ggml_type8ELi1ELb0ELb1EEvPKvS2_PKi31ggml_cuda_mm_fusion_args_devicePfj15HIP_vector_typeIjLj3EEjjjS8_jjjS8_jjjj,"axG",@progbits,_ZL13mul_mat_vec_qIL9ggml_type8ELi1ELb0ELb1EEvPKvS2_PKi31ggml_cuda_mm_fusion_args_devicePfj15HIP_vector_typeIjLj3EEjjjS8_jjjS8_jjjj,comdat
.Lfunc_end62:
	.size	_ZL13mul_mat_vec_qIL9ggml_type8ELi1ELb0ELb1EEvPKvS2_PKi31ggml_cuda_mm_fusion_args_devicePfj15HIP_vector_typeIjLj3EEjjjS8_jjjS8_jjjj, .Lfunc_end62-_ZL13mul_mat_vec_qIL9ggml_type8ELi1ELb0ELb1EEvPKvS2_PKi31ggml_cuda_mm_fusion_args_devicePfj15HIP_vector_typeIjLj3EEjjjS8_jjjS8_jjjj
                                        ; -- End function
	.set _ZL13mul_mat_vec_qIL9ggml_type8ELi1ELb0ELb1EEvPKvS2_PKi31ggml_cuda_mm_fusion_args_devicePfj15HIP_vector_typeIjLj3EEjjjS8_jjjS8_jjjj.num_vgpr, 24
	.set _ZL13mul_mat_vec_qIL9ggml_type8ELi1ELb0ELb1EEvPKvS2_PKi31ggml_cuda_mm_fusion_args_devicePfj15HIP_vector_typeIjLj3EEjjjS8_jjjS8_jjjj.num_agpr, 0
	.set _ZL13mul_mat_vec_qIL9ggml_type8ELi1ELb0ELb1EEvPKvS2_PKi31ggml_cuda_mm_fusion_args_devicePfj15HIP_vector_typeIjLj3EEjjjS8_jjjS8_jjjj.numbered_sgpr, 24
	.set _ZL13mul_mat_vec_qIL9ggml_type8ELi1ELb0ELb1EEvPKvS2_PKi31ggml_cuda_mm_fusion_args_devicePfj15HIP_vector_typeIjLj3EEjjjS8_jjjS8_jjjj.num_named_barrier, 0
	.set _ZL13mul_mat_vec_qIL9ggml_type8ELi1ELb0ELb1EEvPKvS2_PKi31ggml_cuda_mm_fusion_args_devicePfj15HIP_vector_typeIjLj3EEjjjS8_jjjS8_jjjj.private_seg_size, 0
	.set _ZL13mul_mat_vec_qIL9ggml_type8ELi1ELb0ELb1EEvPKvS2_PKi31ggml_cuda_mm_fusion_args_devicePfj15HIP_vector_typeIjLj3EEjjjS8_jjjS8_jjjj.uses_vcc, 1
	.set _ZL13mul_mat_vec_qIL9ggml_type8ELi1ELb0ELb1EEvPKvS2_PKi31ggml_cuda_mm_fusion_args_devicePfj15HIP_vector_typeIjLj3EEjjjS8_jjjS8_jjjj.uses_flat_scratch, 0
	.set _ZL13mul_mat_vec_qIL9ggml_type8ELi1ELb0ELb1EEvPKvS2_PKi31ggml_cuda_mm_fusion_args_devicePfj15HIP_vector_typeIjLj3EEjjjS8_jjjS8_jjjj.has_dyn_sized_stack, 0
	.set _ZL13mul_mat_vec_qIL9ggml_type8ELi1ELb0ELb1EEvPKvS2_PKi31ggml_cuda_mm_fusion_args_devicePfj15HIP_vector_typeIjLj3EEjjjS8_jjjS8_jjjj.has_recursion, 0
	.set _ZL13mul_mat_vec_qIL9ggml_type8ELi1ELb0ELb1EEvPKvS2_PKi31ggml_cuda_mm_fusion_args_devicePfj15HIP_vector_typeIjLj3EEjjjS8_jjjS8_jjjj.has_indirect_call, 0
	.section	.AMDGPU.csdata,"",@progbits
; Kernel info:
; codeLenInByte = 1092
; TotalNumSgprs: 28
; NumVgprs: 24
; ScratchSize: 0
; MemoryBound: 0
; FloatMode: 240
; IeeeMode: 1
; LDSByteSize: 512 bytes/workgroup (compile time only)
; SGPRBlocks: 3
; VGPRBlocks: 5
; NumSGPRsForWavesPerEU: 28
; NumVGPRsForWavesPerEU: 24
; Occupancy: 10
; WaveLimiterHint : 0
; COMPUTE_PGM_RSRC2:SCRATCH_EN: 0
; COMPUTE_PGM_RSRC2:USER_SGPR: 6
; COMPUTE_PGM_RSRC2:TRAP_HANDLER: 0
; COMPUTE_PGM_RSRC2:TGID_X_EN: 1
; COMPUTE_PGM_RSRC2:TGID_Y_EN: 1
; COMPUTE_PGM_RSRC2:TGID_Z_EN: 1
; COMPUTE_PGM_RSRC2:TIDIG_COMP_CNT: 1
	.section	.text._ZL13mul_mat_vec_qIL9ggml_type8ELi1ELb1ELb0EEvPKvS2_PKi31ggml_cuda_mm_fusion_args_devicePfj15HIP_vector_typeIjLj3EEjjjS8_jjjS8_jjjj,"axG",@progbits,_ZL13mul_mat_vec_qIL9ggml_type8ELi1ELb1ELb0EEvPKvS2_PKi31ggml_cuda_mm_fusion_args_devicePfj15HIP_vector_typeIjLj3EEjjjS8_jjjS8_jjjj,comdat
	.globl	_ZL13mul_mat_vec_qIL9ggml_type8ELi1ELb1ELb0EEvPKvS2_PKi31ggml_cuda_mm_fusion_args_devicePfj15HIP_vector_typeIjLj3EEjjjS8_jjjS8_jjjj ; -- Begin function _ZL13mul_mat_vec_qIL9ggml_type8ELi1ELb1ELb0EEvPKvS2_PKi31ggml_cuda_mm_fusion_args_devicePfj15HIP_vector_typeIjLj3EEjjjS8_jjjS8_jjjj
	.p2align	8
	.type	_ZL13mul_mat_vec_qIL9ggml_type8ELi1ELb1ELb0EEvPKvS2_PKi31ggml_cuda_mm_fusion_args_devicePfj15HIP_vector_typeIjLj3EEjjjS8_jjjS8_jjjj,@function
_ZL13mul_mat_vec_qIL9ggml_type8ELi1ELb1ELb0EEvPKvS2_PKi31ggml_cuda_mm_fusion_args_devicePfj15HIP_vector_typeIjLj3EEjjjS8_jjjS8_jjjj: ; @_ZL13mul_mat_vec_qIL9ggml_type8ELi1ELb1ELb0EEvPKvS2_PKi31ggml_cuda_mm_fusion_args_devicePfj15HIP_vector_typeIjLj3EEjjjS8_jjjS8_jjjj
; %bb.0:
	s_load_dwordx8 s[16:23], s[4:5], 0x0
	s_load_dwordx4 s[36:39], s[4:5], 0x20
	s_load_dwordx4 s[12:15], s[4:5], 0x40
	;; [unrolled: 1-line block ×3, first 2 shown]
	s_mov_b32 s34, s7
	s_waitcnt lgkmcnt(0)
	s_cmp_lg_u64 s[20:21], 0
	s_cselect_b64 s[0:1], -1, 0
	s_cmp_eq_u64 s[20:21], 0
	s_mov_b64 s[2:3], 0
	s_cbranch_scc1 .LBB63_5
; %bb.1:
	s_mov_b32 s35, 0
	s_lshl_b64 s[10:11], s[34:35], 2
	s_add_u32 s10, s20, s10
	s_addc_u32 s11, s21, s11
	s_load_dword s9, s[10:11], 0x0
	s_load_dword s33, s[4:5], 0x50
	s_load_dword s35, s[4:5], 0x78
	s_andn2_b64 vcc, exec, s[2:3]
	s_cbranch_vccnz .LBB63_3
.LBB63_2:
	s_load_dwordx2 s[2:3], s[4:5], 0x5c
	s_waitcnt lgkmcnt(0)
	s_mul_hi_u32 s2, s2, s34
	s_add_i32 s2, s34, s2
	s_lshr_b32 s9, s2, s3
.LBB63_3:
	s_andn2_b64 vcc, exec, s[0:1]
	s_cbranch_vccnz .LBB63_6
; %bb.4:
	s_mul_hi_u32 s0, s13, s34
	s_add_i32 s0, s34, s0
	s_lshr_b32 s0, s0, s14
	s_mul_i32 s0, s0, s15
	s_sub_i32 s40, s34, s0
	s_waitcnt lgkmcnt(0)
	s_mov_b32 s2, s9
	s_branch .LBB63_7
.LBB63_5:
                                        ; implicit-def: $sgpr9
	s_load_dword s33, s[4:5], 0x50
	s_load_dword s35, s[4:5], 0x78
	s_branch .LBB63_2
.LBB63_6:
	s_mov_b32 s2, s34
	s_mov_b32 s40, s34
.LBB63_7:
	s_load_dwordx4 s[28:31], s[4:5], 0x80
	s_cmp_lg_u64 s[22:23], 0
	v_or_b32_e32 v2, v0, v1
	s_cselect_b64 s[0:1], -1, 0
	v_cmp_eq_u32_e32 vcc, 0, v2
	s_mov_b32 s15, 0
	s_and_b64 s[20:21], s[0:1], vcc
	v_mov_b32_e32 v9, 0
	s_mul_i32 s10, s2, s26
	v_lshlrev_b32_e32 v8, 2, v0
	v_mov_b32_e32 v10, 0
	s_and_saveexec_b64 s[2:3], s[20:21]
	s_cbranch_execz .LBB63_9
; %bb.8:
	s_waitcnt lgkmcnt(0)
	s_mul_i32 s14, s30, s8
	s_lshl_b64 s[20:21], s[14:15], 2
	s_add_u32 s7, s22, s20
	s_mov_b32 s11, s15
	s_addc_u32 s13, s23, s21
	s_lshl_b64 s[14:15], s[10:11], 2
	s_add_u32 s11, s7, s14
	s_addc_u32 s13, s13, s15
	s_ashr_i32 s7, s6, 31
	s_lshl_b64 s[14:15], s[6:7], 2
	s_add_u32 s14, s11, s14
	s_addc_u32 s15, s13, s15
	global_load_dword v10, v8, s[14:15]
.LBB63_9:
	s_or_b64 exec, exec, s[2:3]
	s_cmp_lg_u64 s[36:37], 0
	s_cselect_b64 s[14:15], -1, 0
	s_cmp_lg_u64 s[38:39], 0
	s_cselect_b64 s[2:3], -1, 0
	s_and_b64 s[20:21], s[2:3], s[14:15]
	s_and_b64 s[22:23], s[20:21], vcc
	s_and_saveexec_b64 s[20:21], s[22:23]
	s_cbranch_execz .LBB63_11
; %bb.10:
	s_waitcnt lgkmcnt(0)
	s_mul_i32 s22, s30, s8
	s_mov_b32 s23, 0
	s_lshl_b64 s[42:43], s[22:23], 2
	s_add_u32 s7, s38, s42
	s_mov_b32 s11, s23
	s_addc_u32 s13, s39, s43
	s_lshl_b64 s[10:11], s[10:11], 2
	s_add_u32 s22, s7, s10
	s_addc_u32 s13, s13, s11
	s_ashr_i32 s7, s6, 31
	s_lshl_b64 s[10:11], s[6:7], 2
	s_add_u32 s10, s22, s10
	s_addc_u32 s11, s13, s11
	global_load_dword v9, v8, s[10:11]
.LBB63_11:
	s_or_b64 exec, exec, s[20:21]
	v_lshl_add_u32 v2, v1, 6, v0
	s_lshr_b32 s7, s12, 5
	v_lshrrev_b32_e32 v13, 2, v2
	v_cndmask_b32_e64 v3, 0, 1, s[14:15]
	v_cmp_gt_u32_e32 vcc, s7, v13
	v_mov_b32_e32 v12, 0
	v_cmp_ne_u32_e64 s[12:13], 1, v3
	v_mov_b32_e32 v11, 0
	s_and_saveexec_b64 s[20:21], vcc
	s_cbranch_execz .LBB63_17
; %bb.12:
	s_mul_hi_u32 s22, s27, s8
	s_add_i32 s22, s8, s22
	s_waitcnt lgkmcnt(0)
	s_lshr_b32 s22, s22, s35
	s_mul_i32 s33, s33, s6
	s_mul_i32 s22, s22, s28
	s_mul_i32 s10, s29, s8
	s_mul_i32 s9, s9, s24
	s_add_i32 s22, s22, s33
	s_add_i32 s9, s9, s22
	s_mul_hi_u32 s23, s10, 36
	s_mul_i32 s10, s10, 36
	s_mul_i32 s11, s40, s25
	s_add_u32 s10, s18, s10
	s_mul_hi_u32 s22, s11, 36
	s_mul_i32 s11, s11, 36
	s_addc_u32 s18, s19, s23
	s_add_u32 s10, s10, s11
	v_and_b32_e32 v3, 3, v0
	v_lshrrev_b32_e32 v2, 2, v2
	s_addc_u32 s11, s18, s22
	v_lshlrev_b32_e32 v14, 3, v3
	v_mad_u64_u32 v[2:3], s[10:11], v2, 36, s[10:11]
	v_and_b32_e32 v4, 12, v8
	v_mov_b32_e32 v12, 0
	s_mov_b64 s[18:19], 0
	v_lshlrev_b32_e32 v15, 1, v4
	v_mov_b32_e32 v11, 0
	s_branch .LBB63_14
.LBB63_13:                              ;   in Loop: Header=BB63_14 Depth=1
	s_waitcnt vmcnt(1)
	v_dot4_i32_i8 v4, v6, v4, 0
	s_waitcnt vmcnt(0)
	v_cvt_f32_f16_e32 v17, v17
	v_dot4_i32_i8 v4, v7, v5, v4
	v_cvt_f32_i32_e32 v4, v4
	v_add_u32_e32 v13, 32, v13
	v_mul_f32_e32 v5, v17, v16
	v_add_co_u32_e32 v2, vcc, 0x480, v2
	v_cmp_le_u32_e64 s[10:11], s7, v13
	v_fmac_f32_e32 v12, v5, v4
	s_or_b64 s[18:19], s[10:11], s[18:19]
	v_addc_co_u32_e32 v3, vcc, 0, v3, vcc
	s_andn2_b64 exec, exec, s[18:19]
	s_cbranch_execz .LBB63_16
.LBB63_14:                              ; =>This Inner Loop Header: Depth=1
	v_add_u32_e32 v18, s9, v13
	v_mad_i64_i32 v[19:20], s[10:11], v18, 34, s[16:17]
	v_add_co_u32_e32 v6, vcc, v2, v14
	v_addc_co_u32_e32 v7, vcc, 0, v3, vcc
	global_load_dwordx2 v[4:5], v[6:7], off offset:4
	global_load_dword v16, v[2:3], off
	v_add_co_u32_e32 v21, vcc, v19, v15
	v_addc_co_u32_e32 v22, vcc, 0, v20, vcc
	global_load_dwordx2 v[6:7], v[21:22], off offset:2
	global_load_ushort v17, v[19:20], off
	s_and_b64 vcc, exec, s[12:13]
	s_waitcnt vmcnt(2)
	v_cvt_f32_f16_e32 v16, v16
	s_cbranch_vccnz .LBB63_13
; %bb.15:                               ;   in Loop: Header=BB63_14 Depth=1
	v_mad_i64_i32 v[18:19], s[10:11], v18, 34, s[36:37]
	v_add_co_u32_e32 v20, vcc, v18, v15
	v_addc_co_u32_e32 v21, vcc, 0, v19, vcc
	global_load_ushort v22, v[18:19], off
	s_nop 0
	global_load_dwordx2 v[18:19], v[20:21], off offset:2
	s_waitcnt vmcnt(1)
	v_cvt_f32_f16_e32 v20, v22
	s_waitcnt vmcnt(0)
	v_dot4_i32_i8 v18, v18, v4, 0
	v_dot4_i32_i8 v18, v19, v5, v18
	v_cvt_f32_i32_e32 v18, v18
	v_mul_f32_e32 v19, v16, v20
	v_fmac_f32_e32 v11, v19, v18
	s_branch .LBB63_13
.LBB63_16:
	s_or_b64 exec, exec, s[18:19]
.LBB63_17:
	s_or_b64 exec, exec, s[20:21]
	s_load_dword s7, s[4:5], 0x30
	v_cmp_eq_u32_e64 s[10:11], 0, v1
	v_cmp_ne_u32_e32 vcc, 0, v1
	s_and_saveexec_b64 s[16:17], vcc
	s_cbranch_execz .LBB63_21
; %bb.18:
	s_and_b64 vcc, exec, s[14:15]
	s_cbranch_vccz .LBB63_20
; %bb.19:
	v_lshl_add_u32 v2, v1, 8, v8
	ds_write_b32 v2, v11
.LBB63_20:
	v_lshlrev_b32_e32 v1, 8, v1
	s_waitcnt lgkmcnt(0)
	s_movk_i32 s9, 0xff00
	v_add3_u32 v1, v1, v8, s9
	ds_write_b32 v1, v12
.LBB63_21:
	s_or_b64 exec, exec, s[16:17]
	s_waitcnt vmcnt(0) lgkmcnt(0)
	s_barrier
	s_and_saveexec_b64 s[14:15], s[10:11]
	s_cbranch_execz .LBB63_50
; %bb.22:
	ds_read_b32 v2, v8
	s_and_b64 vcc, exec, s[12:13]
	s_cbranch_vccnz .LBB63_24
; %bb.23:
	ds_read_b32 v1, v8 offset:256
	s_waitcnt lgkmcnt(0)
	v_add_f32_e32 v11, v11, v1
.LBB63_24:
	v_mbcnt_lo_u32_b32 v1, -1, 0
	v_mbcnt_hi_u32_b32 v3, -1, v1
	v_and_b32_e32 v1, 64, v3
	v_add_u32_e32 v4, 64, v1
	v_xor_b32_e32 v1, 32, v3
	v_cmp_lt_i32_e32 vcc, v1, v4
	v_cndmask_b32_e32 v1, v3, v1, vcc
	v_lshlrev_b32_e32 v1, 2, v1
	s_waitcnt lgkmcnt(0)
	v_add_f32_e32 v5, v12, v2
	ds_bpermute_b32 v6, v1, v5
	v_xor_b32_e32 v2, 16, v3
	v_cmp_lt_i32_e32 vcc, v2, v4
	v_cndmask_b32_e32 v2, v3, v2, vcc
	v_lshlrev_b32_e32 v2, 2, v2
	s_waitcnt lgkmcnt(0)
	v_add_f32_e32 v6, v5, v6
	ds_bpermute_b32 v7, v2, v6
	;; [unrolled: 7-line block ×6, first 2 shown]
	s_and_b64 vcc, exec, s[12:13]
	s_cbranch_vccnz .LBB63_26
; %bb.25:
	ds_bpermute_b32 v1, v1, v11
	s_waitcnt lgkmcnt(0)
	v_add_f32_e32 v1, v11, v1
	ds_bpermute_b32 v2, v2, v1
	s_waitcnt lgkmcnt(0)
	v_add_f32_e32 v1, v1, v2
	;; [unrolled: 3-line block ×6, first 2 shown]
.LBB63_26:
	v_cmp_eq_u32_e32 vcc, 0, v0
	s_and_b64 exec, exec, vcc
	s_cbranch_execz .LBB63_50
; %bb.27:
	s_waitcnt lgkmcnt(0)
	v_add_f32_e32 v0, v3, v4
	v_add_f32_e32 v1, v10, v0
	s_and_b64 vcc, exec, s[12:13]
	v_cndmask_b32_e64 v0, v0, v1, s[0:1]
	s_cbranch_vccnz .LBB63_49
; %bb.28:
	v_add_f32_e32 v1, v9, v11
	v_cndmask_b32_e64 v1, v11, v1, s[2:3]
	s_cmp_lt_i32 s7, 2
	s_mov_b64 s[0:1], 0
	s_cbranch_scc1 .LBB63_32
; %bb.29:
	s_cmp_gt_i32 s7, 2
	s_cbranch_scc0 .LBB63_33
; %bb.30:
	s_cmp_eq_u32 s7, 3
	s_cbranch_scc0 .LBB63_34
; %bb.31:
	v_max_f32_e32 v2, v1, v1
	v_min_f32_e32 v2, 0x40e00000, v2
	v_mul_f32_e32 v3, 0xbfd9db23, v2
	s_mov_b32 s2, 0x3fb8aa3b
	v_mul_f32_e32 v4, 0x3fb8aa3b, v3
	v_fma_f32 v5, v3, s2, -v4
	v_rndne_f32_e32 v6, v4
	v_fmac_f32_e32 v5, 0x32a5705f, v3
	v_sub_f32_e32 v4, v4, v6
	v_add_f32_e32 v4, v4, v5
	v_exp_f32_e32 v4, v4
	v_cvt_i32_f32_e32 v5, v6
	s_mov_b32 s2, 0xc2ce8ed0
	v_cmp_ngt_f32_e32 vcc, s2, v3
	s_mov_b32 s2, 0x42b17218
	v_ldexp_f32 v4, v4, v5
	v_cndmask_b32_e32 v4, 0, v4, vcc
	v_mov_b32_e32 v5, 0x7f800000
	v_cmp_nlt_f32_e32 vcc, s2, v3
	v_cndmask_b32_e32 v3, v5, v4, vcc
	v_add_f32_e32 v3, 1.0, v3
	v_div_scale_f32 v4, s[2:3], v3, v3, v2
	v_div_scale_f32 v5, vcc, v2, v3, v2
	s_mov_b64 s[2:3], 0
	v_rcp_f32_e32 v6, v4
	v_fma_f32 v7, -v4, v6, 1.0
	v_fmac_f32_e32 v6, v7, v6
	v_mul_f32_e32 v7, v5, v6
	v_fma_f32 v9, -v4, v7, v5
	v_fmac_f32_e32 v7, v9, v6
	v_fma_f32 v4, -v4, v7, v5
	v_div_fmas_f32 v4, v4, v6, v7
	v_max_f32_e32 v5, v0, v0
	v_min_f32_e32 v5, 0x40e00000, v5
	v_max_f32_e32 v5, 0xc0e00000, v5
	v_add_f32_e32 v5, 1.0, v5
	v_div_fixup_f32 v2, v4, v3, v2
	v_mul_f32_e32 v2, v5, v2
	s_branch .LBB63_35
.LBB63_32:
                                        ; implicit-def: $vgpr2
	s_mov_b64 s[2:3], 0
	s_cbranch_execnz .LBB63_39
	s_branch .LBB63_40
.LBB63_33:
	s_mov_b64 s[10:11], -1
	s_mov_b64 s[2:3], 0
                                        ; implicit-def: $vgpr2
	s_branch .LBB63_36
.LBB63_34:
	s_mov_b64 s[2:3], -1
                                        ; implicit-def: $vgpr2
.LBB63_35:
	s_mov_b64 s[10:11], 0
.LBB63_36:
	s_and_b64 vcc, exec, s[10:11]
	s_cbranch_vccz .LBB63_38
; %bb.37:
	v_mul_f32_e32 v2, 0xbfb8aa3b, v1
	s_mov_b32 s9, 0xbfb8aa3b
	v_rndne_f32_e32 v3, v2
	v_sub_f32_e32 v4, v2, v3
	v_fma_f32 v2, v1, s9, -v2
	v_fmac_f32_e32 v2, 0xb2a5705f, v1
	v_add_f32_e32 v2, v4, v2
	v_exp_f32_e32 v2, v2
	v_cvt_i32_f32_e32 v3, v3
	s_mov_b32 s9, 0x42ce8ed0
	v_cmp_nlt_f32_e32 vcc, s9, v1
	s_mov_b32 s9, 0xc2b17218
	v_ldexp_f32 v2, v2, v3
	v_cndmask_b32_e32 v2, 0, v2, vcc
	v_mov_b32_e32 v3, 0x7f800000
	v_cmp_ngt_f32_e32 vcc, s9, v1
	v_cndmask_b32_e32 v2, v3, v2, vcc
	v_add_f32_e32 v2, 1.0, v2
	v_div_scale_f32 v3, s[10:11], v2, v2, v1
	v_div_scale_f32 v4, vcc, v1, v2, v1
	v_rcp_f32_e32 v5, v3
	v_fma_f32 v6, -v3, v5, 1.0
	v_fmac_f32_e32 v5, v6, v5
	v_mul_f32_e32 v6, v4, v5
	v_fma_f32 v7, -v3, v6, v4
	v_fmac_f32_e32 v6, v7, v5
	v_fma_f32 v3, -v3, v6, v4
	v_div_fmas_f32 v3, v3, v5, v6
	v_div_fixup_f32 v2, v3, v2, v1
	v_mul_f32_e32 v2, v0, v2
.LBB63_38:
	s_branch .LBB63_40
.LBB63_39:
	s_cmp_lg_u32 s7, 1
	s_mov_b64 s[0:1], -1
	s_cselect_b64 s[2:3], -1, 0
.LBB63_40:
	s_andn2_b64 vcc, exec, s[2:3]
	s_cbranch_vccz .LBB63_42
; %bb.41:
	s_andn2_b64 vcc, exec, s[0:1]
	s_cbranch_vccz .LBB63_43
	s_branch .LBB63_48
.LBB63_42:
	v_mul_f32_e32 v2, v1, v0
	s_cbranch_execnz .LBB63_48
.LBB63_43:
	v_mul_f32_e32 v3, 0x3d372713, v1
	v_mul_f32_e32 v2, 0x3f4c422a, v1
	v_fma_f32 v3, v1, v3, 1.0
	v_mul_f32_e32 v2, v2, v3
	s_mov_b32 s0, 0x3f200000
	v_cmp_nlt_f32_e64 s[0:1], |v2|, s0
                                        ; implicit-def: $vgpr3
	s_and_saveexec_b64 s[2:3], s[0:1]
	s_xor_b64 s[0:1], exec, s[2:3]
	s_cbranch_execz .LBB63_45
; %bb.44:
	v_add_f32_e64 v3, |v2|, |v2|
	v_mul_f32_e32 v4, 0x3fb8aa3b, v3
	s_mov_b32 s2, 0x3fb8aa3b
	v_rndne_f32_e32 v5, v4
	v_sub_f32_e32 v6, v4, v5
	v_fma_f32 v4, v3, s2, -v4
	v_fmac_f32_e32 v4, 0x32a5705f, v3
	v_add_f32_e32 v4, v6, v4
	v_exp_f32_e32 v4, v4
	v_cvt_i32_f32_e32 v5, v5
	s_mov_b32 s2, 0xc2ce8ed0
	v_cmp_ngt_f32_e32 vcc, s2, v3
	s_mov_b32 s2, 0x42b17218
	v_ldexp_f32 v4, v4, v5
	v_cndmask_b32_e32 v4, 0, v4, vcc
	v_mov_b32_e32 v5, 0x7f800000
	v_cmp_nlt_f32_e32 vcc, s2, v3
	v_cndmask_b32_e32 v3, v5, v4, vcc
	v_add_f32_e32 v3, 1.0, v3
	v_rcp_f32_e32 v3, v3
	v_fma_f32 v3, v3, -2.0, 1.0
.LBB63_45:
	s_andn2_saveexec_b64 s[0:1], s[0:1]
	s_cbranch_execz .LBB63_47
; %bb.46:
	v_mul_f32_e32 v3, v2, v2
	v_mov_b32_e32 v4, 0x3ca908c9
	v_fmac_f32_e32 v4, 0xbbbac73d, v3
	v_mov_b32_e32 v5, 0xbd5c1c4e
	v_fmac_f32_e32 v5, v3, v4
	;; [unrolled: 2-line block ×4, first 2 shown]
	v_mul_f32_e64 v4, |v2|, v5
	v_fma_f32 v3, v3, v4, |v2|
.LBB63_47:
	s_or_b64 exec, exec, s[0:1]
	s_brev_b32 s0, -2
	v_bfi_b32 v2, s0, v3, v2
	v_mul_f32_e32 v1, 0.5, v1
	v_add_f32_e32 v2, 1.0, v2
	v_mul_f32_e32 v1, v1, v2
	v_mul_f32_e32 v2, v0, v1
.LBB63_48:
	v_mov_b32_e32 v0, v2
.LBB63_49:
	s_load_dwordx2 s[0:1], s[4:5], 0x38
	s_mul_i32 s3, s26, s34
	s_mul_i32 s2, s30, s8
	s_add_i32 s3, s3, s6
	s_add_i32 s2, s3, s2
	s_mov_b32 s3, 0
	s_lshl_b64 s[2:3], s[2:3], 2
	s_waitcnt lgkmcnt(0)
	s_add_u32 s0, s0, s2
	s_addc_u32 s1, s1, s3
	global_store_dword v8, v0, s[0:1]
.LBB63_50:
	s_endpgm
	.section	.rodata,"a",@progbits
	.p2align	6, 0x0
	.amdhsa_kernel _ZL13mul_mat_vec_qIL9ggml_type8ELi1ELb1ELb0EEvPKvS2_PKi31ggml_cuda_mm_fusion_args_devicePfj15HIP_vector_typeIjLj3EEjjjS8_jjjS8_jjjj
		.amdhsa_group_segment_fixed_size 512
		.amdhsa_private_segment_fixed_size 0
		.amdhsa_kernarg_size 144
		.amdhsa_user_sgpr_count 6
		.amdhsa_user_sgpr_private_segment_buffer 1
		.amdhsa_user_sgpr_dispatch_ptr 0
		.amdhsa_user_sgpr_queue_ptr 0
		.amdhsa_user_sgpr_kernarg_segment_ptr 1
		.amdhsa_user_sgpr_dispatch_id 0
		.amdhsa_user_sgpr_flat_scratch_init 0
		.amdhsa_user_sgpr_private_segment_size 0
		.amdhsa_uses_dynamic_stack 0
		.amdhsa_system_sgpr_private_segment_wavefront_offset 0
		.amdhsa_system_sgpr_workgroup_id_x 1
		.amdhsa_system_sgpr_workgroup_id_y 1
		.amdhsa_system_sgpr_workgroup_id_z 1
		.amdhsa_system_sgpr_workgroup_info 0
		.amdhsa_system_vgpr_workitem_id 1
		.amdhsa_next_free_vgpr 23
		.amdhsa_next_free_sgpr 44
		.amdhsa_reserve_vcc 1
		.amdhsa_reserve_flat_scratch 0
		.amdhsa_float_round_mode_32 0
		.amdhsa_float_round_mode_16_64 0
		.amdhsa_float_denorm_mode_32 3
		.amdhsa_float_denorm_mode_16_64 3
		.amdhsa_dx10_clamp 1
		.amdhsa_ieee_mode 1
		.amdhsa_fp16_overflow 0
		.amdhsa_exception_fp_ieee_invalid_op 0
		.amdhsa_exception_fp_denorm_src 0
		.amdhsa_exception_fp_ieee_div_zero 0
		.amdhsa_exception_fp_ieee_overflow 0
		.amdhsa_exception_fp_ieee_underflow 0
		.amdhsa_exception_fp_ieee_inexact 0
		.amdhsa_exception_int_div_zero 0
	.end_amdhsa_kernel
	.section	.text._ZL13mul_mat_vec_qIL9ggml_type8ELi1ELb1ELb0EEvPKvS2_PKi31ggml_cuda_mm_fusion_args_devicePfj15HIP_vector_typeIjLj3EEjjjS8_jjjS8_jjjj,"axG",@progbits,_ZL13mul_mat_vec_qIL9ggml_type8ELi1ELb1ELb0EEvPKvS2_PKi31ggml_cuda_mm_fusion_args_devicePfj15HIP_vector_typeIjLj3EEjjjS8_jjjS8_jjjj,comdat
.Lfunc_end63:
	.size	_ZL13mul_mat_vec_qIL9ggml_type8ELi1ELb1ELb0EEvPKvS2_PKi31ggml_cuda_mm_fusion_args_devicePfj15HIP_vector_typeIjLj3EEjjjS8_jjjS8_jjjj, .Lfunc_end63-_ZL13mul_mat_vec_qIL9ggml_type8ELi1ELb1ELb0EEvPKvS2_PKi31ggml_cuda_mm_fusion_args_devicePfj15HIP_vector_typeIjLj3EEjjjS8_jjjS8_jjjj
                                        ; -- End function
	.set _ZL13mul_mat_vec_qIL9ggml_type8ELi1ELb1ELb0EEvPKvS2_PKi31ggml_cuda_mm_fusion_args_devicePfj15HIP_vector_typeIjLj3EEjjjS8_jjjS8_jjjj.num_vgpr, 23
	.set _ZL13mul_mat_vec_qIL9ggml_type8ELi1ELb1ELb0EEvPKvS2_PKi31ggml_cuda_mm_fusion_args_devicePfj15HIP_vector_typeIjLj3EEjjjS8_jjjS8_jjjj.num_agpr, 0
	.set _ZL13mul_mat_vec_qIL9ggml_type8ELi1ELb1ELb0EEvPKvS2_PKi31ggml_cuda_mm_fusion_args_devicePfj15HIP_vector_typeIjLj3EEjjjS8_jjjS8_jjjj.numbered_sgpr, 44
	.set _ZL13mul_mat_vec_qIL9ggml_type8ELi1ELb1ELb0EEvPKvS2_PKi31ggml_cuda_mm_fusion_args_devicePfj15HIP_vector_typeIjLj3EEjjjS8_jjjS8_jjjj.num_named_barrier, 0
	.set _ZL13mul_mat_vec_qIL9ggml_type8ELi1ELb1ELb0EEvPKvS2_PKi31ggml_cuda_mm_fusion_args_devicePfj15HIP_vector_typeIjLj3EEjjjS8_jjjS8_jjjj.private_seg_size, 0
	.set _ZL13mul_mat_vec_qIL9ggml_type8ELi1ELb1ELb0EEvPKvS2_PKi31ggml_cuda_mm_fusion_args_devicePfj15HIP_vector_typeIjLj3EEjjjS8_jjjS8_jjjj.uses_vcc, 1
	.set _ZL13mul_mat_vec_qIL9ggml_type8ELi1ELb1ELb0EEvPKvS2_PKi31ggml_cuda_mm_fusion_args_devicePfj15HIP_vector_typeIjLj3EEjjjS8_jjjS8_jjjj.uses_flat_scratch, 0
	.set _ZL13mul_mat_vec_qIL9ggml_type8ELi1ELb1ELb0EEvPKvS2_PKi31ggml_cuda_mm_fusion_args_devicePfj15HIP_vector_typeIjLj3EEjjjS8_jjjS8_jjjj.has_dyn_sized_stack, 0
	.set _ZL13mul_mat_vec_qIL9ggml_type8ELi1ELb1ELb0EEvPKvS2_PKi31ggml_cuda_mm_fusion_args_devicePfj15HIP_vector_typeIjLj3EEjjjS8_jjjS8_jjjj.has_recursion, 0
	.set _ZL13mul_mat_vec_qIL9ggml_type8ELi1ELb1ELb0EEvPKvS2_PKi31ggml_cuda_mm_fusion_args_devicePfj15HIP_vector_typeIjLj3EEjjjS8_jjjS8_jjjj.has_indirect_call, 0
	.section	.AMDGPU.csdata,"",@progbits
; Kernel info:
; codeLenInByte = 2212
; TotalNumSgprs: 48
; NumVgprs: 23
; ScratchSize: 0
; MemoryBound: 0
; FloatMode: 240
; IeeeMode: 1
; LDSByteSize: 512 bytes/workgroup (compile time only)
; SGPRBlocks: 5
; VGPRBlocks: 5
; NumSGPRsForWavesPerEU: 48
; NumVGPRsForWavesPerEU: 23
; Occupancy: 10
; WaveLimiterHint : 0
; COMPUTE_PGM_RSRC2:SCRATCH_EN: 0
; COMPUTE_PGM_RSRC2:USER_SGPR: 6
; COMPUTE_PGM_RSRC2:TRAP_HANDLER: 0
; COMPUTE_PGM_RSRC2:TGID_X_EN: 1
; COMPUTE_PGM_RSRC2:TGID_Y_EN: 1
; COMPUTE_PGM_RSRC2:TGID_Z_EN: 1
; COMPUTE_PGM_RSRC2:TIDIG_COMP_CNT: 1
	.section	.text._ZL13mul_mat_vec_qIL9ggml_type8ELi1ELb0ELb0EEvPKvS2_PKi31ggml_cuda_mm_fusion_args_devicePfj15HIP_vector_typeIjLj3EEjjjS8_jjjS8_jjjj,"axG",@progbits,_ZL13mul_mat_vec_qIL9ggml_type8ELi1ELb0ELb0EEvPKvS2_PKi31ggml_cuda_mm_fusion_args_devicePfj15HIP_vector_typeIjLj3EEjjjS8_jjjS8_jjjj,comdat
	.globl	_ZL13mul_mat_vec_qIL9ggml_type8ELi1ELb0ELb0EEvPKvS2_PKi31ggml_cuda_mm_fusion_args_devicePfj15HIP_vector_typeIjLj3EEjjjS8_jjjS8_jjjj ; -- Begin function _ZL13mul_mat_vec_qIL9ggml_type8ELi1ELb0ELb0EEvPKvS2_PKi31ggml_cuda_mm_fusion_args_devicePfj15HIP_vector_typeIjLj3EEjjjS8_jjjS8_jjjj
	.p2align	8
	.type	_ZL13mul_mat_vec_qIL9ggml_type8ELi1ELb0ELb0EEvPKvS2_PKi31ggml_cuda_mm_fusion_args_devicePfj15HIP_vector_typeIjLj3EEjjjS8_jjjS8_jjjj,@function
_ZL13mul_mat_vec_qIL9ggml_type8ELi1ELb0ELb0EEvPKvS2_PKi31ggml_cuda_mm_fusion_args_devicePfj15HIP_vector_typeIjLj3EEjjjS8_jjjS8_jjjj: ; @_ZL13mul_mat_vec_qIL9ggml_type8ELi1ELb0ELb0EEvPKvS2_PKi31ggml_cuda_mm_fusion_args_devicePfj15HIP_vector_typeIjLj3EEjjjS8_jjjS8_jjjj
; %bb.0:
	s_load_dwordx2 s[0:1], s[4:5], 0x10
	s_load_dwordx4 s[16:19], s[4:5], 0x40
	s_mov_b32 s10, s7
	s_mov_b64 s[14:15], 0
	s_waitcnt lgkmcnt(0)
	s_cmp_lg_u64 s[0:1], 0
	s_cselect_b64 s[12:13], -1, 0
	s_cmp_eq_u64 s[0:1], 0
	s_cbranch_scc1 .LBB64_5
; %bb.1:
	s_mov_b32 s11, 0
	s_lshl_b64 s[2:3], s[10:11], 2
	s_add_u32 s0, s0, s2
	s_addc_u32 s1, s1, s3
	s_load_dword s9, s[0:1], 0x0
	s_nop 0
	s_load_dwordx4 s[0:3], s[4:5], 0x68
	s_load_dword s11, s[4:5], 0x50
	s_andn2_b64 vcc, exec, s[14:15]
	s_cbranch_vccnz .LBB64_3
.LBB64_2:
	s_load_dwordx2 s[14:15], s[4:5], 0x5c
	s_waitcnt lgkmcnt(0)
	s_mul_hi_u32 s7, s14, s10
	s_add_i32 s7, s10, s7
	s_lshr_b32 s9, s7, s15
.LBB64_3:
	s_load_dword s22, s[4:5], 0x78
	s_andn2_b64 vcc, exec, s[12:13]
	s_cbranch_vccnz .LBB64_6
; %bb.4:
	s_mul_hi_u32 s7, s17, s10
	s_add_i32 s7, s10, s7
	s_lshr_b32 s7, s7, s18
	s_mul_i32 s7, s7, s19
	s_sub_i32 s23, s10, s7
	s_branch .LBB64_7
.LBB64_5:
                                        ; implicit-def: $sgpr9
	s_load_dwordx4 s[0:3], s[4:5], 0x68
	s_load_dword s11, s[4:5], 0x50
	s_branch .LBB64_2
.LBB64_6:
	s_mov_b32 s23, s10
.LBB64_7:
	s_load_dwordx4 s[12:15], s[4:5], 0x80
	v_lshl_add_u32 v2, v1, 6, v0
	s_lshr_b32 s7, s16, 5
	v_lshrrev_b32_e32 v6, 2, v2
	v_cmp_gt_u32_e32 vcc, s7, v6
	v_mov_b32_e32 v4, 0
	v_lshlrev_b32_e32 v5, 2, v0
	s_and_saveexec_b64 s[20:21], vcc
	s_cbranch_execz .LBB64_11
; %bb.8:
	s_waitcnt lgkmcnt(0)
	s_mul_hi_u32 s3, s3, s8
	s_load_dwordx4 s[16:19], s[4:5], 0x0
	s_add_i32 s3, s8, s3
	s_lshr_b32 s3, s3, s22
	s_mul_i32 s11, s11, s6
	s_mul_i32 s3, s3, s12
	;; [unrolled: 1-line block ×4, first 2 shown]
	s_add_i32 s3, s3, s11
	s_add_i32 s3, s0, s3
	s_mul_hi_u32 s0, s13, 36
	s_mul_i32 s13, s13, 36
	s_mul_i32 s1, s23, s1
	s_waitcnt lgkmcnt(0)
	s_add_u32 s11, s18, s13
	s_mul_hi_u32 s9, s1, 36
	s_mul_i32 s1, s1, 36
	s_addc_u32 s12, s19, s0
	s_add_u32 s0, s11, s1
	v_lshrrev_b32_e32 v2, 2, v2
	s_addc_u32 s1, s12, s9
	v_mad_u64_u32 v[2:3], s[0:1], v2, 36, s[0:1]
	v_and_b32_e32 v8, 12, v5
	v_and_b32_e32 v7, 3, v0
	v_mov_b32_e32 v4, 0
	v_lshlrev_b32_e32 v7, 3, v7
	s_mov_b64 s[12:13], 0
	v_lshlrev_b32_e32 v8, 1, v8
.LBB64_9:                               ; =>This Inner Loop Header: Depth=1
	v_add_u32_e32 v11, s3, v6
	v_mad_i64_i32 v[11:12], s[0:1], v11, 34, s[16:17]
	v_add_co_u32_e32 v9, vcc, v2, v7
	v_addc_co_u32_e32 v10, vcc, 0, v3, vcc
	global_load_dwordx2 v[13:14], v[9:10], off offset:4
	global_load_dword v17, v[2:3], off
	v_add_co_u32_e32 v9, vcc, v11, v8
	v_addc_co_u32_e32 v10, vcc, 0, v12, vcc
	global_load_dwordx2 v[15:16], v[9:10], off offset:2
	global_load_ushort v18, v[11:12], off
	v_add_u32_e32 v6, 32, v6
	v_add_co_u32_e32 v2, vcc, 0x480, v2
	v_cmp_le_u32_e64 s[0:1], s7, v6
	v_addc_co_u32_e32 v3, vcc, 0, v3, vcc
	s_or_b64 s[12:13], s[0:1], s[12:13]
	s_waitcnt vmcnt(2)
	v_cvt_f32_f16_e32 v9, v17
	s_waitcnt vmcnt(1)
	v_dot4_i32_i8 v11, v15, v13, 0
	s_waitcnt vmcnt(0)
	v_cvt_f32_f16_e32 v10, v18
	v_dot4_i32_i8 v11, v16, v14, v11
	v_cvt_f32_i32_e32 v11, v11
	v_mul_f32_e32 v9, v10, v9
	v_fmac_f32_e32 v4, v9, v11
	s_andn2_b64 exec, exec, s[12:13]
	s_cbranch_execnz .LBB64_9
; %bb.10:
	s_or_b64 exec, exec, s[12:13]
.LBB64_11:
	s_or_b64 exec, exec, s[20:21]
	v_cmp_eq_u32_e32 vcc, 0, v1
	s_waitcnt lgkmcnt(0)
	v_cmp_ne_u32_e64 s[0:1], 0, v1
	s_and_saveexec_b64 s[12:13], s[0:1]
; %bb.12:
	v_lshlrev_b32_e32 v1, 8, v1
	s_movk_i32 s0, 0xff00
	v_add3_u32 v1, v1, v5, s0
	ds_write_b32 v1, v4
; %bb.13:
	s_or_b64 exec, exec, s[12:13]
	s_waitcnt lgkmcnt(0)
	s_barrier
	s_and_saveexec_b64 s[0:1], vcc
	s_cbranch_execz .LBB64_16
; %bb.14:
	v_mbcnt_lo_u32_b32 v2, -1, 0
	ds_read_b32 v1, v5
	v_mbcnt_hi_u32_b32 v2, -1, v2
	v_and_b32_e32 v3, 64, v2
	v_add_u32_e32 v3, 64, v3
	v_xor_b32_e32 v5, 32, v2
	v_cmp_lt_i32_e32 vcc, v5, v3
	v_cndmask_b32_e32 v5, v2, v5, vcc
	v_lshlrev_b32_e32 v5, 2, v5
	s_waitcnt lgkmcnt(0)
	v_add_f32_e32 v1, v4, v1
	ds_bpermute_b32 v4, v5, v1
	v_xor_b32_e32 v5, 16, v2
	v_cmp_lt_i32_e32 vcc, v5, v3
	v_cndmask_b32_e32 v5, v2, v5, vcc
	v_lshlrev_b32_e32 v5, 2, v5
	s_waitcnt lgkmcnt(0)
	v_add_f32_e32 v1, v1, v4
	ds_bpermute_b32 v4, v5, v1
	;; [unrolled: 7-line block ×6, first 2 shown]
	s_mov_b32 s1, 0
	v_cmp_eq_u32_e32 vcc, 0, v0
	s_and_b64 exec, exec, vcc
	s_cbranch_execz .LBB64_16
; %bb.15:
	s_load_dwordx2 s[4:5], s[4:5], 0x38
	s_mul_i32 s0, s2, s10
	s_add_i32 s0, s0, s6
	s_mul_i32 s2, s14, s8
	s_add_i32 s0, s0, s2
	s_lshl_b64 s[0:1], s[0:1], 2
	s_waitcnt lgkmcnt(0)
	s_add_u32 s0, s4, s0
	v_add_f32_e32 v0, v1, v2
	s_addc_u32 s1, s5, s1
	v_mov_b32_e32 v1, 0
	global_store_dword v1, v0, s[0:1]
.LBB64_16:
	s_endpgm
	.section	.rodata,"a",@progbits
	.p2align	6, 0x0
	.amdhsa_kernel _ZL13mul_mat_vec_qIL9ggml_type8ELi1ELb0ELb0EEvPKvS2_PKi31ggml_cuda_mm_fusion_args_devicePfj15HIP_vector_typeIjLj3EEjjjS8_jjjS8_jjjj
		.amdhsa_group_segment_fixed_size 256
		.amdhsa_private_segment_fixed_size 0
		.amdhsa_kernarg_size 144
		.amdhsa_user_sgpr_count 6
		.amdhsa_user_sgpr_private_segment_buffer 1
		.amdhsa_user_sgpr_dispatch_ptr 0
		.amdhsa_user_sgpr_queue_ptr 0
		.amdhsa_user_sgpr_kernarg_segment_ptr 1
		.amdhsa_user_sgpr_dispatch_id 0
		.amdhsa_user_sgpr_flat_scratch_init 0
		.amdhsa_user_sgpr_private_segment_size 0
		.amdhsa_uses_dynamic_stack 0
		.amdhsa_system_sgpr_private_segment_wavefront_offset 0
		.amdhsa_system_sgpr_workgroup_id_x 1
		.amdhsa_system_sgpr_workgroup_id_y 1
		.amdhsa_system_sgpr_workgroup_id_z 1
		.amdhsa_system_sgpr_workgroup_info 0
		.amdhsa_system_vgpr_workitem_id 1
		.amdhsa_next_free_vgpr 19
		.amdhsa_next_free_sgpr 24
		.amdhsa_reserve_vcc 1
		.amdhsa_reserve_flat_scratch 0
		.amdhsa_float_round_mode_32 0
		.amdhsa_float_round_mode_16_64 0
		.amdhsa_float_denorm_mode_32 3
		.amdhsa_float_denorm_mode_16_64 3
		.amdhsa_dx10_clamp 1
		.amdhsa_ieee_mode 1
		.amdhsa_fp16_overflow 0
		.amdhsa_exception_fp_ieee_invalid_op 0
		.amdhsa_exception_fp_denorm_src 0
		.amdhsa_exception_fp_ieee_div_zero 0
		.amdhsa_exception_fp_ieee_overflow 0
		.amdhsa_exception_fp_ieee_underflow 0
		.amdhsa_exception_fp_ieee_inexact 0
		.amdhsa_exception_int_div_zero 0
	.end_amdhsa_kernel
	.section	.text._ZL13mul_mat_vec_qIL9ggml_type8ELi1ELb0ELb0EEvPKvS2_PKi31ggml_cuda_mm_fusion_args_devicePfj15HIP_vector_typeIjLj3EEjjjS8_jjjS8_jjjj,"axG",@progbits,_ZL13mul_mat_vec_qIL9ggml_type8ELi1ELb0ELb0EEvPKvS2_PKi31ggml_cuda_mm_fusion_args_devicePfj15HIP_vector_typeIjLj3EEjjjS8_jjjS8_jjjj,comdat
.Lfunc_end64:
	.size	_ZL13mul_mat_vec_qIL9ggml_type8ELi1ELb0ELb0EEvPKvS2_PKi31ggml_cuda_mm_fusion_args_devicePfj15HIP_vector_typeIjLj3EEjjjS8_jjjS8_jjjj, .Lfunc_end64-_ZL13mul_mat_vec_qIL9ggml_type8ELi1ELb0ELb0EEvPKvS2_PKi31ggml_cuda_mm_fusion_args_devicePfj15HIP_vector_typeIjLj3EEjjjS8_jjjS8_jjjj
                                        ; -- End function
	.set _ZL13mul_mat_vec_qIL9ggml_type8ELi1ELb0ELb0EEvPKvS2_PKi31ggml_cuda_mm_fusion_args_devicePfj15HIP_vector_typeIjLj3EEjjjS8_jjjS8_jjjj.num_vgpr, 19
	.set _ZL13mul_mat_vec_qIL9ggml_type8ELi1ELb0ELb0EEvPKvS2_PKi31ggml_cuda_mm_fusion_args_devicePfj15HIP_vector_typeIjLj3EEjjjS8_jjjS8_jjjj.num_agpr, 0
	.set _ZL13mul_mat_vec_qIL9ggml_type8ELi1ELb0ELb0EEvPKvS2_PKi31ggml_cuda_mm_fusion_args_devicePfj15HIP_vector_typeIjLj3EEjjjS8_jjjS8_jjjj.numbered_sgpr, 24
	.set _ZL13mul_mat_vec_qIL9ggml_type8ELi1ELb0ELb0EEvPKvS2_PKi31ggml_cuda_mm_fusion_args_devicePfj15HIP_vector_typeIjLj3EEjjjS8_jjjS8_jjjj.num_named_barrier, 0
	.set _ZL13mul_mat_vec_qIL9ggml_type8ELi1ELb0ELb0EEvPKvS2_PKi31ggml_cuda_mm_fusion_args_devicePfj15HIP_vector_typeIjLj3EEjjjS8_jjjS8_jjjj.private_seg_size, 0
	.set _ZL13mul_mat_vec_qIL9ggml_type8ELi1ELb0ELb0EEvPKvS2_PKi31ggml_cuda_mm_fusion_args_devicePfj15HIP_vector_typeIjLj3EEjjjS8_jjjS8_jjjj.uses_vcc, 1
	.set _ZL13mul_mat_vec_qIL9ggml_type8ELi1ELb0ELb0EEvPKvS2_PKi31ggml_cuda_mm_fusion_args_devicePfj15HIP_vector_typeIjLj3EEjjjS8_jjjS8_jjjj.uses_flat_scratch, 0
	.set _ZL13mul_mat_vec_qIL9ggml_type8ELi1ELb0ELb0EEvPKvS2_PKi31ggml_cuda_mm_fusion_args_devicePfj15HIP_vector_typeIjLj3EEjjjS8_jjjS8_jjjj.has_dyn_sized_stack, 0
	.set _ZL13mul_mat_vec_qIL9ggml_type8ELi1ELb0ELb0EEvPKvS2_PKi31ggml_cuda_mm_fusion_args_devicePfj15HIP_vector_typeIjLj3EEjjjS8_jjjS8_jjjj.has_recursion, 0
	.set _ZL13mul_mat_vec_qIL9ggml_type8ELi1ELb0ELb0EEvPKvS2_PKi31ggml_cuda_mm_fusion_args_devicePfj15HIP_vector_typeIjLj3EEjjjS8_jjjS8_jjjj.has_indirect_call, 0
	.section	.AMDGPU.csdata,"",@progbits
; Kernel info:
; codeLenInByte = 868
; TotalNumSgprs: 28
; NumVgprs: 19
; ScratchSize: 0
; MemoryBound: 0
; FloatMode: 240
; IeeeMode: 1
; LDSByteSize: 256 bytes/workgroup (compile time only)
; SGPRBlocks: 3
; VGPRBlocks: 4
; NumSGPRsForWavesPerEU: 28
; NumVGPRsForWavesPerEU: 19
; Occupancy: 10
; WaveLimiterHint : 0
; COMPUTE_PGM_RSRC2:SCRATCH_EN: 0
; COMPUTE_PGM_RSRC2:USER_SGPR: 6
; COMPUTE_PGM_RSRC2:TRAP_HANDLER: 0
; COMPUTE_PGM_RSRC2:TGID_X_EN: 1
; COMPUTE_PGM_RSRC2:TGID_Y_EN: 1
; COMPUTE_PGM_RSRC2:TGID_Z_EN: 1
; COMPUTE_PGM_RSRC2:TIDIG_COMP_CNT: 1
	.section	.text._ZL13mul_mat_vec_qIL9ggml_type8ELi2ELb0ELb0EEvPKvS2_PKi31ggml_cuda_mm_fusion_args_devicePfj15HIP_vector_typeIjLj3EEjjjS8_jjjS8_jjjj,"axG",@progbits,_ZL13mul_mat_vec_qIL9ggml_type8ELi2ELb0ELb0EEvPKvS2_PKi31ggml_cuda_mm_fusion_args_devicePfj15HIP_vector_typeIjLj3EEjjjS8_jjjS8_jjjj,comdat
	.globl	_ZL13mul_mat_vec_qIL9ggml_type8ELi2ELb0ELb0EEvPKvS2_PKi31ggml_cuda_mm_fusion_args_devicePfj15HIP_vector_typeIjLj3EEjjjS8_jjjS8_jjjj ; -- Begin function _ZL13mul_mat_vec_qIL9ggml_type8ELi2ELb0ELb0EEvPKvS2_PKi31ggml_cuda_mm_fusion_args_devicePfj15HIP_vector_typeIjLj3EEjjjS8_jjjS8_jjjj
	.p2align	8
	.type	_ZL13mul_mat_vec_qIL9ggml_type8ELi2ELb0ELb0EEvPKvS2_PKi31ggml_cuda_mm_fusion_args_devicePfj15HIP_vector_typeIjLj3EEjjjS8_jjjS8_jjjj,@function
_ZL13mul_mat_vec_qIL9ggml_type8ELi2ELb0ELb0EEvPKvS2_PKi31ggml_cuda_mm_fusion_args_devicePfj15HIP_vector_typeIjLj3EEjjjS8_jjjS8_jjjj: ; @_ZL13mul_mat_vec_qIL9ggml_type8ELi2ELb0ELb0EEvPKvS2_PKi31ggml_cuda_mm_fusion_args_devicePfj15HIP_vector_typeIjLj3EEjjjS8_jjjS8_jjjj
; %bb.0:
	s_load_dword s9, s[4:5], 0x40
	s_load_dwordx4 s[0:3], s[4:5], 0x50
	s_load_dword s25, s[4:5], 0x60
	s_load_dwordx4 s[12:15], s[4:5], 0x68
	;; [unrolled: 2-line block ×3, first 2 shown]
	v_lshl_add_u32 v2, v1, 6, v0
	s_waitcnt lgkmcnt(0)
	s_lshr_b32 s9, s9, 5
	v_lshrrev_b32_e32 v8, 2, v2
	s_lshl_b32 s6, s6, 1
	v_cmp_gt_u32_e32 vcc, s9, v8
	v_mov_b32_e32 v7, 0
	v_mov_b32_e32 v6, 0
	;; [unrolled: 1-line block ×4, first 2 shown]
	s_and_saveexec_b64 s[10:11], vcc
	s_cbranch_execz .LBB65_4
; %bb.1:
	s_load_dwordx4 s[20:23], s[4:5], 0x0
	s_mul_i32 s17, s17, s8
	s_mul_hi_u32 s19, s17, 36
	s_mul_i32 s17, s17, 36
	s_mul_i32 s13, s13, s7
	s_waitcnt lgkmcnt(0)
	s_add_u32 s17, s22, s17
	s_addc_u32 s19, s23, s19
	s_mul_hi_u32 s23, s13, 36
	s_mul_i32 s13, s13, 36
	s_add_u32 s22, s17, s13
	s_mul_hi_u32 s3, s3, s7
	s_addc_u32 s23, s19, s23
	s_add_i32 s3, s7, s3
	s_lshr_b32 s3, s3, s25
	s_mul_i32 s3, s3, s12
	s_mul_hi_u32 s12, s15, s8
	s_add_i32 s12, s8, s12
	s_lshr_b32 s12, s12, s24
	s_mul_i32 s12, s12, s16
	v_lshlrev_b32_e32 v3, 1, v0
	s_add_i32 s13, s6, 1
	v_and_b32_e32 v5, 6, v3
	s_add_i32 s12, s12, s3
	s_mul_i32 s3, s6, s0
	s_mul_i32 s0, s0, s13
	v_and_b32_e32 v3, 3, v0
	v_lshrrev_b32_e32 v2, 2, v2
	s_add_i32 s3, s12, s3
	s_add_i32 s0, s12, s0
	v_lshlrev_b32_e32 v9, 3, v3
	v_mad_u64_u32 v[2:3], s[12:13], v2, 36, s[22:23]
	v_lshlrev_b32_e32 v6, 1, v5
	v_mov_b32_e32 v4, 0
	s_mov_b64 s[12:13], 0
	v_lshlrev_b32_e32 v10, 1, v6
	v_lshlrev_b32_e32 v11, 2, v5
	v_mov_b32_e32 v5, 0
	v_mov_b32_e32 v6, 0
	v_mov_b32_e32 v7, 0
.LBB65_2:                               ; =>This Inner Loop Header: Depth=1
	v_add_co_u32_e32 v12, vcc, v2, v9
	v_addc_co_u32_e32 v13, vcc, 0, v3, vcc
	global_load_dwordx2 v[14:15], v[12:13], off offset:4
	global_load_dword v17, v[2:3], off
	v_add_u32_e32 v16, s3, v8
	v_mad_i64_i32 v[12:13], s[16:17], v16, 34, s[20:21]
	v_add_co_u32_e32 v16, vcc, v12, v10
	s_waitcnt vmcnt(0)
	v_cvt_f32_f16_e32 v20, v17
	v_addc_co_u32_e32 v17, vcc, 0, v13, vcc
	global_load_dwordx2 v[18:19], v[16:17], off offset:2
	global_load_ushort v21, v[12:13], off
	s_waitcnt vmcnt(1)
	v_dot4_i32_i8 v12, v18, v14, 0
	s_waitcnt vmcnt(0)
	v_cvt_f32_f16_e32 v21, v21
	v_dot4_i32_i8 v12, v19, v15, v12
	v_cvt_f32_i32_e32 v12, v12
	v_mul_f32_e32 v13, v21, v20
	v_fmac_f32_e32 v7, v13, v12
	v_add_u32_e32 v12, s0, v8
	v_mad_i64_i32 v[12:13], s[16:17], v12, 34, s[20:21]
	v_add_co_u32_e32 v16, vcc, v12, v10
	v_addc_co_u32_e32 v17, vcc, 0, v13, vcc
	global_load_dwordx2 v[16:17], v[16:17], off offset:2
	s_nop 0
	global_load_ushort v12, v[12:13], off
	s_waitcnt vmcnt(0)
	v_cvt_f32_f16_e32 v22, v12
	v_dot4_i32_i8 v12, v16, v14, 0
	v_dot4_i32_i8 v12, v17, v15, v12
	v_cvt_f32_i32_e32 v12, v12
	v_mul_f32_e32 v13, v22, v20
	v_fmac_f32_e32 v6, v13, v12
	v_add_u32_e32 v12, s1, v8
	v_mad_u64_u32 v[12:13], s[16:17], v12, 36, s[22:23]
	v_add_u32_e32 v8, 32, v8
	v_add_co_u32_e32 v14, vcc, v12, v11
	v_addc_co_u32_e32 v15, vcc, 0, v13, vcc
	global_load_dwordx2 v[14:15], v[14:15], off offset:4
	s_nop 0
	global_load_dword v12, v[12:13], off
	v_add_co_u32_e32 v2, vcc, 0x480, v2
	v_addc_co_u32_e32 v3, vcc, 0, v3, vcc
	v_cmp_le_u32_e32 vcc, s9, v8
	s_or_b64 s[12:13], vcc, s[12:13]
	s_waitcnt vmcnt(1)
	v_dot4_i32_i8 v13, v18, v14, 0
	s_waitcnt vmcnt(0)
	v_cvt_f32_f16_e32 v12, v12
	v_dot4_i32_i8 v13, v19, v15, v13
	v_cvt_f32_i32_e32 v13, v13
	v_mul_f32_e32 v18, v21, v12
	v_mul_f32_e32 v12, v22, v12
	v_fmac_f32_e32 v5, v18, v13
	v_dot4_i32_i8 v13, v16, v14, 0
	v_dot4_i32_i8 v13, v17, v15, v13
	v_cvt_f32_i32_e32 v13, v13
	v_fmac_f32_e32 v4, v12, v13
	s_andn2_b64 exec, exec, s[12:13]
	s_cbranch_execnz .LBB65_2
; %bb.3:
	s_or_b64 exec, exec, s[12:13]
.LBB65_4:
	s_or_b64 exec, exec, s[10:11]
	v_cmp_eq_u32_e32 vcc, 0, v1
	v_cmp_ne_u32_e64 s[0:1], 0, v1
	v_lshlrev_b32_e32 v2, 2, v0
	s_and_saveexec_b64 s[10:11], s[0:1]
	s_cbranch_execz .LBB65_6
; %bb.5:
	v_lshl_or_b32 v1, v1, 10, v2
	v_add_u32_e32 v1, 0xfffffc00, v1
	ds_write2st64_b32 v1, v7, v6 offset1:1
	ds_write2st64_b32 v1, v5, v4 offset0:2 offset1:3
.LBB65_6:
	s_or_b64 exec, exec, s[10:11]
	s_waitcnt lgkmcnt(0)
	s_barrier
	s_and_saveexec_b64 s[0:1], vcc
	s_cbranch_execz .LBB65_11
; %bb.7:
	v_mbcnt_lo_u32_b32 v1, -1, 0
	v_mbcnt_hi_u32_b32 v11, -1, v1
	ds_read2st64_b32 v[9:10], v2 offset1:1
	v_and_b32_e32 v1, 64, v11
	v_add_u32_e32 v12, 64, v1
	v_xor_b32_e32 v1, 32, v11
	v_cmp_lt_i32_e32 vcc, v1, v12
	v_cndmask_b32_e32 v1, v11, v1, vcc
	v_lshlrev_b32_e32 v1, 2, v1
	s_waitcnt lgkmcnt(0)
	v_add_f32_e32 v7, v9, v7
	v_add_f32_e32 v10, v10, v6
	ds_bpermute_b32 v9, v1, v7
	ds_bpermute_b32 v14, v1, v10
	v_xor_b32_e32 v3, 16, v11
	v_cmp_lt_i32_e32 vcc, v3, v12
	v_cndmask_b32_e32 v3, v11, v3, vcc
	v_lshlrev_b32_e32 v3, 2, v3
	s_waitcnt lgkmcnt(1)
	v_add_f32_e32 v7, v7, v9
	s_waitcnt lgkmcnt(0)
	v_add_f32_e32 v10, v10, v14
	ds_bpermute_b32 v9, v3, v7
	ds_bpermute_b32 v14, v3, v10
	v_xor_b32_e32 v8, 8, v11
	v_cmp_lt_i32_e32 vcc, v8, v12
	v_cndmask_b32_e32 v8, v11, v8, vcc
	v_lshlrev_b32_e32 v8, 2, v8
	s_waitcnt lgkmcnt(1)
	v_add_f32_e32 v9, v7, v9
	s_waitcnt lgkmcnt(0)
	;; [unrolled: 10-line block ×3, first 2 shown]
	v_add_f32_e32 v10, v10, v14
	ds_bpermute_b32 v15, v6, v9
	ds_bpermute_b32 v14, v6, v10
	v_xor_b32_e32 v13, 2, v11
	v_cmp_lt_i32_e32 vcc, v13, v12
	v_cndmask_b32_e32 v13, v11, v13, vcc
	v_lshlrev_b32_e32 v7, 2, v13
	v_xor_b32_e32 v13, 1, v11
	v_cmp_lt_i32_e32 vcc, v13, v12
	s_waitcnt lgkmcnt(1)
	v_add_f32_e32 v9, v9, v15
	s_waitcnt lgkmcnt(0)
	v_add_f32_e32 v10, v10, v14
	v_cndmask_b32_e32 v11, v11, v13, vcc
	ds_bpermute_b32 v12, v7, v9
	ds_bpermute_b32 v13, v7, v10
	s_load_dwordx2 s[0:1], s[4:5], 0x38
	s_mul_i32 s4, s14, s7
	v_lshlrev_b32_e32 v11, 2, v11
	s_waitcnt lgkmcnt(0)
	v_add_f32_e32 v9, v9, v12
	v_add_f32_e32 v10, v10, v13
	s_mul_i32 s3, s18, s8
	s_add_i32 s4, s4, s6
	ds_bpermute_b32 v12, v11, v9
	ds_bpermute_b32 v13, v11, v10
	s_add_i32 s4, s4, s3
	s_mov_b32 s5, 0
	s_lshl_b64 s[4:5], s[4:5], 2
	s_add_u32 s4, s0, s4
	v_add_u32_e32 v14, s6, v0
	s_addc_u32 s5, s1, s5
	v_cmp_gt_u32_e32 vcc, 2, v0
	v_cmp_gt_u32_e64 s[0:1], s2, v14
	s_and_b64 s[0:1], vcc, s[0:1]
	s_waitcnt lgkmcnt(1)
	v_add_f32_e32 v9, v9, v12
	s_waitcnt lgkmcnt(0)
	v_add_f32_e32 v10, v10, v13
	s_and_saveexec_b64 s[6:7], s[0:1]
	s_cbranch_execz .LBB65_9
; %bb.8:
	v_cmp_eq_u32_e32 vcc, 1, v0
	v_cndmask_b32_e32 v12, v9, v10, vcc
	v_cmp_eq_u32_e32 vcc, 2, v0
	v_cndmask_b32_e32 v12, v12, v5, vcc
	;; [unrolled: 2-line block ×3, first 2 shown]
	global_store_dword v2, v12, s[4:5]
.LBB65_9:
	s_or_b64 exec, exec, s[6:7]
	ds_read2st64_b32 v[12:13], v2 offset0:2 offset1:3
	s_waitcnt lgkmcnt(0)
	v_add_f32_e32 v2, v12, v5
	v_add_f32_e32 v4, v13, v4
	ds_bpermute_b32 v5, v1, v2
	ds_bpermute_b32 v1, v1, v4
	s_waitcnt lgkmcnt(1)
	v_add_f32_e32 v2, v2, v5
	s_waitcnt lgkmcnt(0)
	v_add_f32_e32 v1, v4, v1
	ds_bpermute_b32 v4, v3, v2
	ds_bpermute_b32 v3, v3, v1
	s_waitcnt lgkmcnt(1)
	v_add_f32_e32 v2, v2, v4
	s_waitcnt lgkmcnt(0)
	;; [unrolled: 6-line block ×5, first 2 shown]
	v_add_f32_e32 v2, v3, v4
	ds_bpermute_b32 v3, v11, v1
	ds_bpermute_b32 v4, v11, v2
	s_and_b64 exec, exec, s[0:1]
	s_cbranch_execz .LBB65_11
; %bb.10:
	s_waitcnt lgkmcnt(1)
	v_add_f32_e32 v1, v1, v3
	v_add_u32_e32 v3, 2, v0
	v_cmp_eq_u32_e32 vcc, 1, v3
	s_waitcnt lgkmcnt(0)
	v_add_f32_e32 v2, v2, v4
	v_cndmask_b32_e32 v4, v9, v10, vcc
	v_cmp_eq_u32_e32 vcc, 2, v3
	v_cndmask_b32_e32 v1, v4, v1, vcc
	v_cmp_eq_u32_e32 vcc, 3, v3
	v_cndmask_b32_e32 v2, v1, v2, vcc
	v_add_u32_e32 v0, s2, v0
	v_mov_b32_e32 v1, 0
	v_lshlrev_b64 v[0:1], 2, v[0:1]
	v_mov_b32_e32 v3, s5
	v_add_co_u32_e32 v0, vcc, s4, v0
	v_addc_co_u32_e32 v1, vcc, v3, v1, vcc
	global_store_dword v[0:1], v2, off
.LBB65_11:
	s_endpgm
	.section	.rodata,"a",@progbits
	.p2align	6, 0x0
	.amdhsa_kernel _ZL13mul_mat_vec_qIL9ggml_type8ELi2ELb0ELb0EEvPKvS2_PKi31ggml_cuda_mm_fusion_args_devicePfj15HIP_vector_typeIjLj3EEjjjS8_jjjS8_jjjj
		.amdhsa_group_segment_fixed_size 1024
		.amdhsa_private_segment_fixed_size 0
		.amdhsa_kernarg_size 144
		.amdhsa_user_sgpr_count 6
		.amdhsa_user_sgpr_private_segment_buffer 1
		.amdhsa_user_sgpr_dispatch_ptr 0
		.amdhsa_user_sgpr_queue_ptr 0
		.amdhsa_user_sgpr_kernarg_segment_ptr 1
		.amdhsa_user_sgpr_dispatch_id 0
		.amdhsa_user_sgpr_flat_scratch_init 0
		.amdhsa_user_sgpr_private_segment_size 0
		.amdhsa_uses_dynamic_stack 0
		.amdhsa_system_sgpr_private_segment_wavefront_offset 0
		.amdhsa_system_sgpr_workgroup_id_x 1
		.amdhsa_system_sgpr_workgroup_id_y 1
		.amdhsa_system_sgpr_workgroup_id_z 1
		.amdhsa_system_sgpr_workgroup_info 0
		.amdhsa_system_vgpr_workitem_id 1
		.amdhsa_next_free_vgpr 23
		.amdhsa_next_free_sgpr 26
		.amdhsa_reserve_vcc 1
		.amdhsa_reserve_flat_scratch 0
		.amdhsa_float_round_mode_32 0
		.amdhsa_float_round_mode_16_64 0
		.amdhsa_float_denorm_mode_32 3
		.amdhsa_float_denorm_mode_16_64 3
		.amdhsa_dx10_clamp 1
		.amdhsa_ieee_mode 1
		.amdhsa_fp16_overflow 0
		.amdhsa_exception_fp_ieee_invalid_op 0
		.amdhsa_exception_fp_denorm_src 0
		.amdhsa_exception_fp_ieee_div_zero 0
		.amdhsa_exception_fp_ieee_overflow 0
		.amdhsa_exception_fp_ieee_underflow 0
		.amdhsa_exception_fp_ieee_inexact 0
		.amdhsa_exception_int_div_zero 0
	.end_amdhsa_kernel
	.section	.text._ZL13mul_mat_vec_qIL9ggml_type8ELi2ELb0ELb0EEvPKvS2_PKi31ggml_cuda_mm_fusion_args_devicePfj15HIP_vector_typeIjLj3EEjjjS8_jjjS8_jjjj,"axG",@progbits,_ZL13mul_mat_vec_qIL9ggml_type8ELi2ELb0ELb0EEvPKvS2_PKi31ggml_cuda_mm_fusion_args_devicePfj15HIP_vector_typeIjLj3EEjjjS8_jjjS8_jjjj,comdat
.Lfunc_end65:
	.size	_ZL13mul_mat_vec_qIL9ggml_type8ELi2ELb0ELb0EEvPKvS2_PKi31ggml_cuda_mm_fusion_args_devicePfj15HIP_vector_typeIjLj3EEjjjS8_jjjS8_jjjj, .Lfunc_end65-_ZL13mul_mat_vec_qIL9ggml_type8ELi2ELb0ELb0EEvPKvS2_PKi31ggml_cuda_mm_fusion_args_devicePfj15HIP_vector_typeIjLj3EEjjjS8_jjjS8_jjjj
                                        ; -- End function
	.set _ZL13mul_mat_vec_qIL9ggml_type8ELi2ELb0ELb0EEvPKvS2_PKi31ggml_cuda_mm_fusion_args_devicePfj15HIP_vector_typeIjLj3EEjjjS8_jjjS8_jjjj.num_vgpr, 23
	.set _ZL13mul_mat_vec_qIL9ggml_type8ELi2ELb0ELb0EEvPKvS2_PKi31ggml_cuda_mm_fusion_args_devicePfj15HIP_vector_typeIjLj3EEjjjS8_jjjS8_jjjj.num_agpr, 0
	.set _ZL13mul_mat_vec_qIL9ggml_type8ELi2ELb0ELb0EEvPKvS2_PKi31ggml_cuda_mm_fusion_args_devicePfj15HIP_vector_typeIjLj3EEjjjS8_jjjS8_jjjj.numbered_sgpr, 26
	.set _ZL13mul_mat_vec_qIL9ggml_type8ELi2ELb0ELb0EEvPKvS2_PKi31ggml_cuda_mm_fusion_args_devicePfj15HIP_vector_typeIjLj3EEjjjS8_jjjS8_jjjj.num_named_barrier, 0
	.set _ZL13mul_mat_vec_qIL9ggml_type8ELi2ELb0ELb0EEvPKvS2_PKi31ggml_cuda_mm_fusion_args_devicePfj15HIP_vector_typeIjLj3EEjjjS8_jjjS8_jjjj.private_seg_size, 0
	.set _ZL13mul_mat_vec_qIL9ggml_type8ELi2ELb0ELb0EEvPKvS2_PKi31ggml_cuda_mm_fusion_args_devicePfj15HIP_vector_typeIjLj3EEjjjS8_jjjS8_jjjj.uses_vcc, 1
	.set _ZL13mul_mat_vec_qIL9ggml_type8ELi2ELb0ELb0EEvPKvS2_PKi31ggml_cuda_mm_fusion_args_devicePfj15HIP_vector_typeIjLj3EEjjjS8_jjjS8_jjjj.uses_flat_scratch, 0
	.set _ZL13mul_mat_vec_qIL9ggml_type8ELi2ELb0ELb0EEvPKvS2_PKi31ggml_cuda_mm_fusion_args_devicePfj15HIP_vector_typeIjLj3EEjjjS8_jjjS8_jjjj.has_dyn_sized_stack, 0
	.set _ZL13mul_mat_vec_qIL9ggml_type8ELi2ELb0ELb0EEvPKvS2_PKi31ggml_cuda_mm_fusion_args_devicePfj15HIP_vector_typeIjLj3EEjjjS8_jjjS8_jjjj.has_recursion, 0
	.set _ZL13mul_mat_vec_qIL9ggml_type8ELi2ELb0ELb0EEvPKvS2_PKi31ggml_cuda_mm_fusion_args_devicePfj15HIP_vector_typeIjLj3EEjjjS8_jjjS8_jjjj.has_indirect_call, 0
	.section	.AMDGPU.csdata,"",@progbits
; Kernel info:
; codeLenInByte = 1396
; TotalNumSgprs: 30
; NumVgprs: 23
; ScratchSize: 0
; MemoryBound: 0
; FloatMode: 240
; IeeeMode: 1
; LDSByteSize: 1024 bytes/workgroup (compile time only)
; SGPRBlocks: 3
; VGPRBlocks: 5
; NumSGPRsForWavesPerEU: 30
; NumVGPRsForWavesPerEU: 23
; Occupancy: 10
; WaveLimiterHint : 0
; COMPUTE_PGM_RSRC2:SCRATCH_EN: 0
; COMPUTE_PGM_RSRC2:USER_SGPR: 6
; COMPUTE_PGM_RSRC2:TRAP_HANDLER: 0
; COMPUTE_PGM_RSRC2:TGID_X_EN: 1
; COMPUTE_PGM_RSRC2:TGID_Y_EN: 1
; COMPUTE_PGM_RSRC2:TGID_Z_EN: 1
; COMPUTE_PGM_RSRC2:TIDIG_COMP_CNT: 1
	.section	.text._ZL13mul_mat_vec_qIL9ggml_type8ELi3ELb0ELb0EEvPKvS2_PKi31ggml_cuda_mm_fusion_args_devicePfj15HIP_vector_typeIjLj3EEjjjS8_jjjS8_jjjj,"axG",@progbits,_ZL13mul_mat_vec_qIL9ggml_type8ELi3ELb0ELb0EEvPKvS2_PKi31ggml_cuda_mm_fusion_args_devicePfj15HIP_vector_typeIjLj3EEjjjS8_jjjS8_jjjj,comdat
	.globl	_ZL13mul_mat_vec_qIL9ggml_type8ELi3ELb0ELb0EEvPKvS2_PKi31ggml_cuda_mm_fusion_args_devicePfj15HIP_vector_typeIjLj3EEjjjS8_jjjS8_jjjj ; -- Begin function _ZL13mul_mat_vec_qIL9ggml_type8ELi3ELb0ELb0EEvPKvS2_PKi31ggml_cuda_mm_fusion_args_devicePfj15HIP_vector_typeIjLj3EEjjjS8_jjjS8_jjjj
	.p2align	8
	.type	_ZL13mul_mat_vec_qIL9ggml_type8ELi3ELb0ELb0EEvPKvS2_PKi31ggml_cuda_mm_fusion_args_devicePfj15HIP_vector_typeIjLj3EEjjjS8_jjjS8_jjjj,@function
_ZL13mul_mat_vec_qIL9ggml_type8ELi3ELb0ELb0EEvPKvS2_PKi31ggml_cuda_mm_fusion_args_devicePfj15HIP_vector_typeIjLj3EEjjjS8_jjjS8_jjjj: ; @_ZL13mul_mat_vec_qIL9ggml_type8ELi3ELb0ELb0EEvPKvS2_PKi31ggml_cuda_mm_fusion_args_devicePfj15HIP_vector_typeIjLj3EEjjjS8_jjjS8_jjjj
; %bb.0:
	s_load_dword s9, s[4:5], 0x40
	s_load_dwordx4 s[0:3], s[4:5], 0x50
	s_load_dword s25, s[4:5], 0x60
	s_load_dwordx4 s[12:15], s[4:5], 0x68
	s_load_dword s24, s[4:5], 0x78
	s_load_dwordx4 s[16:19], s[4:5], 0x80
	v_lshl_add_u32 v2, v1, 6, v0
	s_waitcnt lgkmcnt(0)
	s_lshr_b32 s9, s9, 5
	v_lshrrev_b32_e32 v10, 2, v2
	v_mov_b32_e32 v9, 0
	s_lshl_b32 s6, s6, 1
	v_cmp_gt_u32_e32 vcc, s9, v10
	v_mov_b32_e32 v8, 0
	v_mov_b32_e32 v7, 0
	;; [unrolled: 1-line block ×5, first 2 shown]
	s_and_saveexec_b64 s[10:11], vcc
	s_cbranch_execz .LBB66_4
; %bb.1:
	s_load_dwordx4 s[20:23], s[4:5], 0x0
	s_mul_i32 s17, s17, s8
	s_mul_hi_u32 s19, s17, 36
	s_mul_i32 s17, s17, 36
	s_mul_i32 s13, s13, s7
	s_waitcnt lgkmcnt(0)
	s_add_u32 s17, s22, s17
	s_addc_u32 s19, s23, s19
	s_mul_hi_u32 s23, s13, 36
	s_mul_i32 s13, s13, 36
	s_add_u32 s22, s17, s13
	s_mul_hi_u32 s3, s3, s7
	s_addc_u32 s23, s19, s23
	s_add_i32 s3, s7, s3
	s_lshr_b32 s3, s3, s25
	s_mul_i32 s3, s3, s12
	s_mul_hi_u32 s12, s15, s8
	s_add_i32 s12, s8, s12
	s_lshr_b32 s12, s12, s24
	s_mul_i32 s12, s12, s16
	v_lshlrev_b32_e32 v3, 1, v0
	s_add_i32 s13, s6, 1
	v_and_b32_e32 v5, 6, v3
	s_add_i32 s12, s12, s3
	s_mul_i32 s3, s6, s0
	s_mul_i32 s0, s0, s13
	v_and_b32_e32 v3, 3, v0
	v_lshrrev_b32_e32 v2, 2, v2
	s_add_i32 s3, s12, s3
	s_add_i32 s0, s12, s0
	v_lshlrev_b32_e32 v11, 3, v3
	v_mad_u64_u32 v[2:3], s[12:13], v2, 36, s[22:23]
	v_lshlrev_b32_e32 v6, 1, v5
	v_mov_b32_e32 v4, 0
	s_lshl_b32 s15, s1, 1
	s_mov_b64 s[12:13], 0
	v_lshlrev_b32_e32 v12, 1, v6
	v_lshlrev_b32_e32 v13, 2, v5
	v_mov_b32_e32 v5, v4
	v_mov_b32_e32 v8, v4
	;; [unrolled: 1-line block ×5, first 2 shown]
.LBB66_2:                               ; =>This Inner Loop Header: Depth=1
	v_add_co_u32_e32 v14, vcc, v2, v11
	v_addc_co_u32_e32 v15, vcc, 0, v3, vcc
	global_load_dwordx2 v[16:17], v[14:15], off offset:4
	global_load_dword v19, v[2:3], off
	v_add_u32_e32 v18, s3, v10
	v_mad_i64_i32 v[14:15], s[16:17], v18, 34, s[20:21]
	v_add_co_u32_e32 v18, vcc, v14, v12
	s_waitcnt vmcnt(0)
	v_cvt_f32_f16_e32 v24, v19
	v_addc_co_u32_e32 v19, vcc, 0, v15, vcc
	global_load_dwordx2 v[20:21], v[18:19], off offset:2
	global_load_ushort v22, v[14:15], off
	s_waitcnt vmcnt(1)
	v_dot4_i32_i8 v14, v20, v16, 0
	s_waitcnt vmcnt(0)
	v_cvt_f32_f16_e32 v25, v22
	v_dot4_i32_i8 v14, v21, v17, v14
	v_cvt_f32_i32_e32 v14, v14
	v_mul_f32_e32 v15, v25, v24
	v_fmac_f32_e32 v9, v15, v14
	v_add_u32_e32 v14, s0, v10
	v_mad_i64_i32 v[14:15], s[16:17], v14, 34, s[20:21]
	v_add_co_u32_e32 v18, vcc, v14, v12
	v_addc_co_u32_e32 v19, vcc, 0, v15, vcc
	global_load_dwordx2 v[22:23], v[18:19], off offset:2
	global_load_ushort v26, v[14:15], off
	s_waitcnt vmcnt(1)
	v_dot4_i32_i8 v14, v22, v16, 0
	s_waitcnt vmcnt(0)
	v_cvt_f32_f16_e32 v26, v26
	v_dot4_i32_i8 v14, v23, v17, v14
	v_cvt_f32_i32_e32 v14, v14
	v_mul_f32_e32 v15, v26, v24
	v_fmac_f32_e32 v8, v15, v14
	v_add_u32_e32 v14, s1, v10
	v_mad_u64_u32 v[14:15], s[16:17], v14, 36, s[22:23]
	v_add_co_u32_e32 v16, vcc, v14, v13
	v_addc_co_u32_e32 v17, vcc, 0, v15, vcc
	global_load_dwordx2 v[18:19], v[16:17], off offset:4
	global_load_dword v24, v[14:15], off
	s_waitcnt vmcnt(1)
	v_dot4_i32_i8 v15, v20, v18, 0
	s_waitcnt vmcnt(0)
	v_cvt_f32_f16_e32 v14, v24
	v_dot4_i32_i8 v15, v21, v19, v15
	v_cvt_f32_i32_e32 v15, v15
	v_mul_f32_e32 v16, v25, v14
	v_mul_f32_e32 v14, v26, v14
	v_fmac_f32_e32 v7, v16, v15
	v_dot4_i32_i8 v15, v22, v18, 0
	v_dot4_i32_i8 v15, v23, v19, v15
	v_cvt_f32_i32_e32 v15, v15
	v_fmac_f32_e32 v6, v14, v15
	v_add_u32_e32 v14, s15, v10
	v_mad_u64_u32 v[14:15], s[16:17], v14, 36, s[22:23]
	v_add_u32_e32 v10, 32, v10
	v_add_co_u32_e32 v16, vcc, v14, v13
	v_addc_co_u32_e32 v17, vcc, 0, v15, vcc
	global_load_dwordx2 v[18:19], v[16:17], off offset:4
	global_load_dword v24, v[14:15], off
	v_add_co_u32_e32 v2, vcc, 0x480, v2
	v_addc_co_u32_e32 v3, vcc, 0, v3, vcc
	v_cmp_le_u32_e32 vcc, s9, v10
	s_or_b64 s[12:13], vcc, s[12:13]
	s_waitcnt vmcnt(1)
	v_dot4_i32_i8 v15, v20, v18, 0
	s_waitcnt vmcnt(0)
	v_cvt_f32_f16_e32 v14, v24
	v_dot4_i32_i8 v15, v21, v19, v15
	v_cvt_f32_i32_e32 v15, v15
	v_mul_f32_e32 v16, v25, v14
	v_mul_f32_e32 v14, v26, v14
	v_fmac_f32_e32 v5, v16, v15
	v_dot4_i32_i8 v15, v22, v18, 0
	v_dot4_i32_i8 v15, v23, v19, v15
	v_cvt_f32_i32_e32 v15, v15
	v_fmac_f32_e32 v4, v14, v15
	s_andn2_b64 exec, exec, s[12:13]
	s_cbranch_execnz .LBB66_2
; %bb.3:
	s_or_b64 exec, exec, s[12:13]
.LBB66_4:
	s_or_b64 exec, exec, s[10:11]
	v_cmp_eq_u32_e32 vcc, 0, v1
	v_cmp_ne_u32_e64 s[0:1], 0, v1
	s_and_saveexec_b64 s[10:11], s[0:1]
	s_cbranch_execz .LBB66_6
; %bb.5:
	v_mul_u32_u24_e32 v1, 0x600, v1
	v_lshl_or_b32 v1, v0, 2, v1
	v_add_u32_e32 v1, 0xfffffa00, v1
	ds_write2st64_b32 v1, v9, v8 offset1:1
	ds_write2st64_b32 v1, v7, v6 offset0:2 offset1:3
	ds_write2st64_b32 v1, v5, v4 offset0:4 offset1:5
.LBB66_6:
	s_or_b64 exec, exec, s[10:11]
	s_waitcnt lgkmcnt(0)
	s_barrier
	s_and_saveexec_b64 s[0:1], vcc
	s_cbranch_execz .LBB66_13
; %bb.7:
	v_lshlrev_b32_e32 v3, 2, v0
	v_mbcnt_lo_u32_b32 v1, -1, 0
	v_mbcnt_hi_u32_b32 v13, -1, v1
	ds_read2st64_b32 v[11:12], v3 offset1:1
	v_and_b32_e32 v1, 64, v13
	v_add_u32_e32 v14, 64, v1
	v_xor_b32_e32 v1, 32, v13
	v_cmp_lt_i32_e32 vcc, v1, v14
	v_cndmask_b32_e32 v1, v13, v1, vcc
	v_lshlrev_b32_e32 v1, 2, v1
	s_waitcnt lgkmcnt(0)
	v_add_f32_e32 v9, v11, v9
	v_add_f32_e32 v12, v12, v8
	ds_bpermute_b32 v11, v1, v9
	ds_bpermute_b32 v16, v1, v12
	v_xor_b32_e32 v2, 16, v13
	v_cmp_lt_i32_e32 vcc, v2, v14
	v_cndmask_b32_e32 v2, v13, v2, vcc
	v_lshlrev_b32_e32 v2, 2, v2
	s_waitcnt lgkmcnt(1)
	v_add_f32_e32 v9, v9, v11
	s_waitcnt lgkmcnt(0)
	v_add_f32_e32 v12, v12, v16
	ds_bpermute_b32 v11, v2, v9
	ds_bpermute_b32 v16, v2, v12
	v_xor_b32_e32 v10, 8, v13
	v_cmp_lt_i32_e32 vcc, v10, v14
	v_cndmask_b32_e32 v10, v13, v10, vcc
	v_lshlrev_b32_e32 v10, 2, v10
	s_waitcnt lgkmcnt(1)
	v_add_f32_e32 v11, v9, v11
	s_waitcnt lgkmcnt(0)
	v_add_f32_e32 v12, v12, v16
	ds_bpermute_b32 v17, v10, v11
	ds_bpermute_b32 v16, v10, v12
	v_xor_b32_e32 v15, 4, v13
	v_cmp_lt_i32_e32 vcc, v15, v14
	v_cndmask_b32_e32 v15, v13, v15, vcc
	v_lshlrev_b32_e32 v8, 2, v15
	s_waitcnt lgkmcnt(1)
	v_add_f32_e32 v11, v11, v17
	s_waitcnt lgkmcnt(0)
	v_add_f32_e32 v12, v12, v16
	ds_bpermute_b32 v17, v8, v11
	ds_bpermute_b32 v16, v8, v12
	v_xor_b32_e32 v15, 2, v13
	v_cmp_lt_i32_e32 vcc, v15, v14
	v_cndmask_b32_e32 v15, v13, v15, vcc
	v_lshlrev_b32_e32 v9, 2, v15
	v_xor_b32_e32 v15, 1, v13
	v_cmp_lt_i32_e32 vcc, v15, v14
	s_waitcnt lgkmcnt(1)
	v_add_f32_e32 v11, v11, v17
	s_waitcnt lgkmcnt(0)
	v_add_f32_e32 v12, v12, v16
	v_cndmask_b32_e32 v13, v13, v15, vcc
	ds_bpermute_b32 v14, v9, v11
	ds_bpermute_b32 v15, v9, v12
	s_load_dwordx2 s[0:1], s[4:5], 0x38
	s_mul_i32 s4, s14, s7
	v_lshlrev_b32_e32 v13, 2, v13
	s_waitcnt lgkmcnt(0)
	v_add_f32_e32 v11, v11, v14
	v_add_f32_e32 v12, v12, v15
	s_mul_i32 s3, s18, s8
	s_add_i32 s4, s4, s6
	ds_bpermute_b32 v14, v13, v11
	ds_bpermute_b32 v15, v13, v12
	s_add_i32 s4, s4, s3
	s_mov_b32 s5, 0
	s_lshl_b64 s[4:5], s[4:5], 2
	s_add_u32 s4, s0, s4
	v_add_u32_e32 v16, s6, v0
	s_addc_u32 s5, s1, s5
	v_cmp_gt_u32_e32 vcc, 2, v0
	v_cmp_gt_u32_e64 s[0:1], s2, v16
	s_and_b64 s[0:1], vcc, s[0:1]
	s_waitcnt lgkmcnt(1)
	v_add_f32_e32 v11, v11, v14
	s_waitcnt lgkmcnt(0)
	v_add_f32_e32 v12, v12, v15
	s_and_saveexec_b64 s[6:7], s[0:1]
	s_cbranch_execz .LBB66_9
; %bb.8:
	v_cmp_eq_u32_e32 vcc, 1, v0
	v_cndmask_b32_e32 v14, v11, v12, vcc
	v_cmp_eq_u32_e32 vcc, 2, v0
	v_cndmask_b32_e32 v14, v14, v7, vcc
	;; [unrolled: 2-line block ×5, first 2 shown]
	global_store_dword v3, v14, s[4:5]
.LBB66_9:
	s_or_b64 exec, exec, s[6:7]
	ds_read2st64_b32 v[14:15], v3 offset0:2 offset1:3
	s_waitcnt lgkmcnt(0)
	v_add_f32_e32 v7, v14, v7
	v_add_f32_e32 v6, v15, v6
	ds_bpermute_b32 v14, v1, v7
	ds_bpermute_b32 v15, v1, v6
	s_waitcnt lgkmcnt(1)
	v_add_f32_e32 v7, v7, v14
	s_waitcnt lgkmcnt(0)
	v_add_f32_e32 v6, v6, v15
	ds_bpermute_b32 v14, v2, v7
	ds_bpermute_b32 v15, v2, v6
	s_waitcnt lgkmcnt(1)
	v_add_f32_e32 v7, v7, v14
	s_waitcnt lgkmcnt(0)
	v_add_f32_e32 v6, v6, v15
	ds_bpermute_b32 v14, v10, v7
	ds_bpermute_b32 v15, v10, v6
	s_waitcnt lgkmcnt(1)
	v_add_f32_e32 v7, v7, v14
	s_waitcnt lgkmcnt(0)
	v_add_f32_e32 v6, v6, v15
	ds_bpermute_b32 v14, v8, v7
	ds_bpermute_b32 v15, v8, v6
	s_waitcnt lgkmcnt(1)
	v_add_f32_e32 v7, v7, v14
	s_waitcnt lgkmcnt(0)
	v_add_f32_e32 v6, v6, v15
	ds_bpermute_b32 v14, v9, v7
	ds_bpermute_b32 v15, v9, v6
	s_waitcnt lgkmcnt(1)
	v_add_f32_e32 v7, v7, v14
	s_waitcnt lgkmcnt(0)
	v_add_f32_e32 v6, v6, v15
	ds_bpermute_b32 v14, v13, v7
	ds_bpermute_b32 v15, v13, v6
	s_waitcnt lgkmcnt(1)
	v_add_f32_e32 v7, v7, v14
	s_waitcnt lgkmcnt(0)
	v_add_f32_e32 v6, v6, v15
	s_and_saveexec_b64 s[6:7], s[0:1]
	s_cbranch_execz .LBB66_11
; %bb.10:
	v_add_u32_e32 v14, 2, v0
	v_cmp_eq_u32_e32 vcc, 1, v14
	v_cndmask_b32_e32 v15, v11, v12, vcc
	v_cmp_eq_u32_e32 vcc, 2, v14
	v_cndmask_b32_e32 v15, v15, v7, vcc
	;; [unrolled: 2-line block ×5, first 2 shown]
	v_add_u32_e32 v14, s2, v0
	v_mov_b32_e32 v15, 0
	v_lshlrev_b64 v[14:15], 2, v[14:15]
	v_mov_b32_e32 v17, s5
	v_add_co_u32_e32 v14, vcc, s4, v14
	v_addc_co_u32_e32 v15, vcc, v17, v15, vcc
	global_store_dword v[14:15], v16, off
.LBB66_11:
	s_or_b64 exec, exec, s[6:7]
	ds_read2st64_b32 v[14:15], v3 offset0:4 offset1:5
	s_waitcnt lgkmcnt(0)
	v_add_f32_e32 v3, v14, v5
	v_add_f32_e32 v4, v15, v4
	ds_bpermute_b32 v5, v1, v3
	ds_bpermute_b32 v1, v1, v4
	s_waitcnt lgkmcnt(1)
	v_add_f32_e32 v3, v3, v5
	s_waitcnt lgkmcnt(0)
	v_add_f32_e32 v1, v4, v1
	ds_bpermute_b32 v4, v2, v3
	ds_bpermute_b32 v2, v2, v1
	s_waitcnt lgkmcnt(1)
	v_add_f32_e32 v3, v3, v4
	s_waitcnt lgkmcnt(0)
	;; [unrolled: 6-line block ×5, first 2 shown]
	v_add_f32_e32 v2, v3, v4
	ds_bpermute_b32 v3, v13, v1
	ds_bpermute_b32 v4, v13, v2
	s_and_b64 exec, exec, s[0:1]
	s_cbranch_execz .LBB66_13
; %bb.12:
	s_waitcnt lgkmcnt(1)
	v_add_f32_e32 v1, v1, v3
	v_add_u32_e32 v3, 4, v0
	v_cmp_eq_u32_e32 vcc, 1, v3
	s_waitcnt lgkmcnt(0)
	v_add_f32_e32 v2, v2, v4
	v_cndmask_b32_e32 v4, v11, v12, vcc
	v_cmp_eq_u32_e32 vcc, 2, v3
	v_cndmask_b32_e32 v4, v4, v7, vcc
	v_cmp_eq_u32_e32 vcc, 3, v3
	;; [unrolled: 2-line block ×4, first 2 shown]
	v_cndmask_b32_e32 v2, v1, v2, vcc
	v_lshl_or_b32 v0, s2, 1, v0
	v_mov_b32_e32 v1, 0
	v_lshlrev_b64 v[0:1], 2, v[0:1]
	v_mov_b32_e32 v3, s5
	v_add_co_u32_e32 v0, vcc, s4, v0
	v_addc_co_u32_e32 v1, vcc, v3, v1, vcc
	global_store_dword v[0:1], v2, off
.LBB66_13:
	s_endpgm
	.section	.rodata,"a",@progbits
	.p2align	6, 0x0
	.amdhsa_kernel _ZL13mul_mat_vec_qIL9ggml_type8ELi3ELb0ELb0EEvPKvS2_PKi31ggml_cuda_mm_fusion_args_devicePfj15HIP_vector_typeIjLj3EEjjjS8_jjjS8_jjjj
		.amdhsa_group_segment_fixed_size 1536
		.amdhsa_private_segment_fixed_size 0
		.amdhsa_kernarg_size 144
		.amdhsa_user_sgpr_count 6
		.amdhsa_user_sgpr_private_segment_buffer 1
		.amdhsa_user_sgpr_dispatch_ptr 0
		.amdhsa_user_sgpr_queue_ptr 0
		.amdhsa_user_sgpr_kernarg_segment_ptr 1
		.amdhsa_user_sgpr_dispatch_id 0
		.amdhsa_user_sgpr_flat_scratch_init 0
		.amdhsa_user_sgpr_private_segment_size 0
		.amdhsa_uses_dynamic_stack 0
		.amdhsa_system_sgpr_private_segment_wavefront_offset 0
		.amdhsa_system_sgpr_workgroup_id_x 1
		.amdhsa_system_sgpr_workgroup_id_y 1
		.amdhsa_system_sgpr_workgroup_id_z 1
		.amdhsa_system_sgpr_workgroup_info 0
		.amdhsa_system_vgpr_workitem_id 1
		.amdhsa_next_free_vgpr 27
		.amdhsa_next_free_sgpr 26
		.amdhsa_reserve_vcc 1
		.amdhsa_reserve_flat_scratch 0
		.amdhsa_float_round_mode_32 0
		.amdhsa_float_round_mode_16_64 0
		.amdhsa_float_denorm_mode_32 3
		.amdhsa_float_denorm_mode_16_64 3
		.amdhsa_dx10_clamp 1
		.amdhsa_ieee_mode 1
		.amdhsa_fp16_overflow 0
		.amdhsa_exception_fp_ieee_invalid_op 0
		.amdhsa_exception_fp_denorm_src 0
		.amdhsa_exception_fp_ieee_div_zero 0
		.amdhsa_exception_fp_ieee_overflow 0
		.amdhsa_exception_fp_ieee_underflow 0
		.amdhsa_exception_fp_ieee_inexact 0
		.amdhsa_exception_int_div_zero 0
	.end_amdhsa_kernel
	.section	.text._ZL13mul_mat_vec_qIL9ggml_type8ELi3ELb0ELb0EEvPKvS2_PKi31ggml_cuda_mm_fusion_args_devicePfj15HIP_vector_typeIjLj3EEjjjS8_jjjS8_jjjj,"axG",@progbits,_ZL13mul_mat_vec_qIL9ggml_type8ELi3ELb0ELb0EEvPKvS2_PKi31ggml_cuda_mm_fusion_args_devicePfj15HIP_vector_typeIjLj3EEjjjS8_jjjS8_jjjj,comdat
.Lfunc_end66:
	.size	_ZL13mul_mat_vec_qIL9ggml_type8ELi3ELb0ELb0EEvPKvS2_PKi31ggml_cuda_mm_fusion_args_devicePfj15HIP_vector_typeIjLj3EEjjjS8_jjjS8_jjjj, .Lfunc_end66-_ZL13mul_mat_vec_qIL9ggml_type8ELi3ELb0ELb0EEvPKvS2_PKi31ggml_cuda_mm_fusion_args_devicePfj15HIP_vector_typeIjLj3EEjjjS8_jjjS8_jjjj
                                        ; -- End function
	.set _ZL13mul_mat_vec_qIL9ggml_type8ELi3ELb0ELb0EEvPKvS2_PKi31ggml_cuda_mm_fusion_args_devicePfj15HIP_vector_typeIjLj3EEjjjS8_jjjS8_jjjj.num_vgpr, 27
	.set _ZL13mul_mat_vec_qIL9ggml_type8ELi3ELb0ELb0EEvPKvS2_PKi31ggml_cuda_mm_fusion_args_devicePfj15HIP_vector_typeIjLj3EEjjjS8_jjjS8_jjjj.num_agpr, 0
	.set _ZL13mul_mat_vec_qIL9ggml_type8ELi3ELb0ELb0EEvPKvS2_PKi31ggml_cuda_mm_fusion_args_devicePfj15HIP_vector_typeIjLj3EEjjjS8_jjjS8_jjjj.numbered_sgpr, 26
	.set _ZL13mul_mat_vec_qIL9ggml_type8ELi3ELb0ELb0EEvPKvS2_PKi31ggml_cuda_mm_fusion_args_devicePfj15HIP_vector_typeIjLj3EEjjjS8_jjjS8_jjjj.num_named_barrier, 0
	.set _ZL13mul_mat_vec_qIL9ggml_type8ELi3ELb0ELb0EEvPKvS2_PKi31ggml_cuda_mm_fusion_args_devicePfj15HIP_vector_typeIjLj3EEjjjS8_jjjS8_jjjj.private_seg_size, 0
	.set _ZL13mul_mat_vec_qIL9ggml_type8ELi3ELb0ELb0EEvPKvS2_PKi31ggml_cuda_mm_fusion_args_devicePfj15HIP_vector_typeIjLj3EEjjjS8_jjjS8_jjjj.uses_vcc, 1
	.set _ZL13mul_mat_vec_qIL9ggml_type8ELi3ELb0ELb0EEvPKvS2_PKi31ggml_cuda_mm_fusion_args_devicePfj15HIP_vector_typeIjLj3EEjjjS8_jjjS8_jjjj.uses_flat_scratch, 0
	.set _ZL13mul_mat_vec_qIL9ggml_type8ELi3ELb0ELb0EEvPKvS2_PKi31ggml_cuda_mm_fusion_args_devicePfj15HIP_vector_typeIjLj3EEjjjS8_jjjS8_jjjj.has_dyn_sized_stack, 0
	.set _ZL13mul_mat_vec_qIL9ggml_type8ELi3ELb0ELb0EEvPKvS2_PKi31ggml_cuda_mm_fusion_args_devicePfj15HIP_vector_typeIjLj3EEjjjS8_jjjS8_jjjj.has_recursion, 0
	.set _ZL13mul_mat_vec_qIL9ggml_type8ELi3ELb0ELb0EEvPKvS2_PKi31ggml_cuda_mm_fusion_args_devicePfj15HIP_vector_typeIjLj3EEjjjS8_jjjS8_jjjj.has_indirect_call, 0
	.section	.AMDGPU.csdata,"",@progbits
; Kernel info:
; codeLenInByte = 1872
; TotalNumSgprs: 30
; NumVgprs: 27
; ScratchSize: 0
; MemoryBound: 0
; FloatMode: 240
; IeeeMode: 1
; LDSByteSize: 1536 bytes/workgroup (compile time only)
; SGPRBlocks: 3
; VGPRBlocks: 6
; NumSGPRsForWavesPerEU: 30
; NumVGPRsForWavesPerEU: 27
; Occupancy: 9
; WaveLimiterHint : 0
; COMPUTE_PGM_RSRC2:SCRATCH_EN: 0
; COMPUTE_PGM_RSRC2:USER_SGPR: 6
; COMPUTE_PGM_RSRC2:TRAP_HANDLER: 0
; COMPUTE_PGM_RSRC2:TGID_X_EN: 1
; COMPUTE_PGM_RSRC2:TGID_Y_EN: 1
; COMPUTE_PGM_RSRC2:TGID_Z_EN: 1
; COMPUTE_PGM_RSRC2:TIDIG_COMP_CNT: 1
	.section	.text._ZL13mul_mat_vec_qIL9ggml_type8ELi4ELb0ELb0EEvPKvS2_PKi31ggml_cuda_mm_fusion_args_devicePfj15HIP_vector_typeIjLj3EEjjjS8_jjjS8_jjjj,"axG",@progbits,_ZL13mul_mat_vec_qIL9ggml_type8ELi4ELb0ELb0EEvPKvS2_PKi31ggml_cuda_mm_fusion_args_devicePfj15HIP_vector_typeIjLj3EEjjjS8_jjjS8_jjjj,comdat
	.globl	_ZL13mul_mat_vec_qIL9ggml_type8ELi4ELb0ELb0EEvPKvS2_PKi31ggml_cuda_mm_fusion_args_devicePfj15HIP_vector_typeIjLj3EEjjjS8_jjjS8_jjjj ; -- Begin function _ZL13mul_mat_vec_qIL9ggml_type8ELi4ELb0ELb0EEvPKvS2_PKi31ggml_cuda_mm_fusion_args_devicePfj15HIP_vector_typeIjLj3EEjjjS8_jjjS8_jjjj
	.p2align	8
	.type	_ZL13mul_mat_vec_qIL9ggml_type8ELi4ELb0ELb0EEvPKvS2_PKi31ggml_cuda_mm_fusion_args_devicePfj15HIP_vector_typeIjLj3EEjjjS8_jjjS8_jjjj,@function
_ZL13mul_mat_vec_qIL9ggml_type8ELi4ELb0ELb0EEvPKvS2_PKi31ggml_cuda_mm_fusion_args_devicePfj15HIP_vector_typeIjLj3EEjjjS8_jjjS8_jjjj: ; @_ZL13mul_mat_vec_qIL9ggml_type8ELi4ELb0ELb0EEvPKvS2_PKi31ggml_cuda_mm_fusion_args_devicePfj15HIP_vector_typeIjLj3EEjjjS8_jjjS8_jjjj
; %bb.0:
	s_load_dword s9, s[4:5], 0x40
	s_load_dwordx4 s[0:3], s[4:5], 0x50
	s_load_dword s25, s[4:5], 0x60
	s_load_dwordx4 s[12:15], s[4:5], 0x68
	;; [unrolled: 2-line block ×3, first 2 shown]
	v_lshl_add_u32 v2, v1, 6, v0
	s_waitcnt lgkmcnt(0)
	s_lshr_b32 s9, s9, 5
	v_lshrrev_b32_e32 v12, 2, v2
	v_mov_b32_e32 v10, 0
	s_lshl_b32 s6, s6, 1
	v_cmp_gt_u32_e32 vcc, s9, v12
	v_mov_b32_e32 v11, 0
	v_mov_b32_e32 v9, 0
	v_mov_b32_e32 v8, v10
	v_mov_b32_e32 v7, v10
	v_mov_b32_e32 v6, v10
	v_mov_b32_e32 v5, v10
	v_mov_b32_e32 v4, v10
	s_and_saveexec_b64 s[10:11], vcc
	s_cbranch_execz .LBB67_4
; %bb.1:
	s_load_dwordx4 s[20:23], s[4:5], 0x0
	s_mul_i32 s17, s17, s8
	s_mul_hi_u32 s19, s17, 36
	s_mul_i32 s17, s17, 36
	s_mul_i32 s13, s13, s7
	s_waitcnt lgkmcnt(0)
	s_add_u32 s17, s22, s17
	s_addc_u32 s19, s23, s19
	s_mul_hi_u32 s23, s13, 36
	s_mul_i32 s13, s13, 36
	s_add_u32 s22, s17, s13
	s_mul_hi_u32 s3, s3, s7
	s_addc_u32 s23, s19, s23
	s_add_i32 s3, s7, s3
	s_lshr_b32 s3, s3, s25
	s_mul_i32 s3, s3, s12
	s_mul_hi_u32 s12, s15, s8
	s_add_i32 s12, s8, s12
	s_lshr_b32 s12, s12, s24
	s_mul_i32 s12, s12, s16
	v_lshlrev_b32_e32 v3, 1, v0
	s_add_i32 s13, s6, 1
	v_and_b32_e32 v5, 6, v3
	s_add_i32 s12, s12, s3
	s_mul_i32 s3, s6, s0
	s_mul_i32 s0, s0, s13
	v_and_b32_e32 v3, 3, v0
	v_lshrrev_b32_e32 v2, 2, v2
	s_add_i32 s3, s12, s3
	s_add_i32 s0, s12, s0
	v_lshlrev_b32_e32 v13, 3, v3
	v_mad_u64_u32 v[2:3], s[12:13], v2, 36, s[22:23]
	v_lshlrev_b32_e32 v6, 1, v5
	v_mov_b32_e32 v4, 0
	s_lshl_b32 s15, s1, 1
	s_mul_i32 s16, s1, 3
	s_mov_b64 s[12:13], 0
	v_lshlrev_b32_e32 v14, 1, v6
	v_lshlrev_b32_e32 v15, 2, v5
	v_mov_b32_e32 v5, v4
	v_mov_b32_e32 v6, v4
	;; [unrolled: 1-line block ×7, first 2 shown]
.LBB67_2:                               ; =>This Inner Loop Header: Depth=1
	v_add_co_u32_e32 v16, vcc, v2, v13
	v_addc_co_u32_e32 v17, vcc, 0, v3, vcc
	global_load_dwordx2 v[18:19], v[16:17], off offset:4
	global_load_dword v21, v[2:3], off
	v_add_u32_e32 v20, s3, v12
	v_mad_i64_i32 v[16:17], s[24:25], v20, 34, s[20:21]
	v_add_co_u32_e32 v20, vcc, v16, v14
	s_waitcnt vmcnt(0)
	v_cvt_f32_f16_e32 v26, v21
	v_addc_co_u32_e32 v21, vcc, 0, v17, vcc
	global_load_dwordx2 v[22:23], v[20:21], off offset:2
	global_load_ushort v24, v[16:17], off
	s_waitcnt vmcnt(1)
	v_dot4_i32_i8 v16, v22, v18, 0
	s_waitcnt vmcnt(0)
	v_cvt_f32_f16_e32 v27, v24
	v_dot4_i32_i8 v16, v23, v19, v16
	v_cvt_f32_i32_e32 v16, v16
	v_mul_f32_e32 v17, v27, v26
	v_fmac_f32_e32 v11, v17, v16
	v_add_u32_e32 v16, s0, v12
	v_mad_i64_i32 v[16:17], s[24:25], v16, 34, s[20:21]
	v_add_co_u32_e32 v20, vcc, v16, v14
	v_addc_co_u32_e32 v21, vcc, 0, v17, vcc
	global_load_dwordx2 v[24:25], v[20:21], off offset:2
	global_load_ushort v28, v[16:17], off
	s_waitcnt vmcnt(1)
	v_dot4_i32_i8 v16, v24, v18, 0
	s_waitcnt vmcnt(0)
	v_cvt_f32_f16_e32 v28, v28
	v_dot4_i32_i8 v16, v25, v19, v16
	v_cvt_f32_i32_e32 v16, v16
	v_mul_f32_e32 v17, v28, v26
	v_fmac_f32_e32 v10, v17, v16
	v_add_u32_e32 v16, s1, v12
	v_mad_u64_u32 v[16:17], s[24:25], v16, 36, s[22:23]
	v_add_co_u32_e32 v18, vcc, v16, v15
	v_addc_co_u32_e32 v19, vcc, 0, v17, vcc
	global_load_dwordx2 v[20:21], v[18:19], off offset:4
	global_load_dword v26, v[16:17], off
	s_waitcnt vmcnt(1)
	v_dot4_i32_i8 v17, v22, v20, 0
	s_waitcnt vmcnt(0)
	v_cvt_f32_f16_e32 v16, v26
	v_dot4_i32_i8 v17, v23, v21, v17
	v_cvt_f32_i32_e32 v17, v17
	v_mul_f32_e32 v18, v27, v16
	v_mul_f32_e32 v16, v28, v16
	v_fmac_f32_e32 v9, v18, v17
	v_dot4_i32_i8 v17, v24, v20, 0
	v_dot4_i32_i8 v17, v25, v21, v17
	v_cvt_f32_i32_e32 v17, v17
	v_fmac_f32_e32 v8, v16, v17
	v_add_u32_e32 v16, s15, v12
	v_mad_u64_u32 v[16:17], s[24:25], v16, 36, s[22:23]
	v_add_co_u32_e32 v18, vcc, v16, v15
	v_addc_co_u32_e32 v19, vcc, 0, v17, vcc
	global_load_dwordx2 v[20:21], v[18:19], off offset:4
	global_load_dword v26, v[16:17], off
	s_waitcnt vmcnt(1)
	v_dot4_i32_i8 v17, v22, v20, 0
	s_waitcnt vmcnt(0)
	v_cvt_f32_f16_e32 v16, v26
	v_dot4_i32_i8 v17, v23, v21, v17
	v_cvt_f32_i32_e32 v17, v17
	v_mul_f32_e32 v18, v27, v16
	v_mul_f32_e32 v16, v28, v16
	v_fmac_f32_e32 v7, v18, v17
	v_dot4_i32_i8 v17, v24, v20, 0
	v_dot4_i32_i8 v17, v25, v21, v17
	v_cvt_f32_i32_e32 v17, v17
	v_fmac_f32_e32 v6, v16, v17
	v_add_u32_e32 v16, s16, v12
	v_mad_u64_u32 v[16:17], s[24:25], v16, 36, s[22:23]
	v_add_u32_e32 v12, 32, v12
	v_add_co_u32_e32 v18, vcc, v16, v15
	v_addc_co_u32_e32 v19, vcc, 0, v17, vcc
	global_load_dwordx2 v[20:21], v[18:19], off offset:4
	global_load_dword v26, v[16:17], off
	v_add_co_u32_e32 v2, vcc, 0x480, v2
	v_addc_co_u32_e32 v3, vcc, 0, v3, vcc
	v_cmp_le_u32_e32 vcc, s9, v12
	s_or_b64 s[12:13], vcc, s[12:13]
	s_waitcnt vmcnt(1)
	v_dot4_i32_i8 v17, v22, v20, 0
	s_waitcnt vmcnt(0)
	v_cvt_f32_f16_e32 v16, v26
	v_dot4_i32_i8 v17, v23, v21, v17
	v_cvt_f32_i32_e32 v17, v17
	v_mul_f32_e32 v18, v27, v16
	v_mul_f32_e32 v16, v28, v16
	v_fmac_f32_e32 v5, v18, v17
	v_dot4_i32_i8 v17, v24, v20, 0
	v_dot4_i32_i8 v17, v25, v21, v17
	v_cvt_f32_i32_e32 v17, v17
	v_fmac_f32_e32 v4, v16, v17
	s_andn2_b64 exec, exec, s[12:13]
	s_cbranch_execnz .LBB67_2
; %bb.3:
	s_or_b64 exec, exec, s[12:13]
.LBB67_4:
	s_or_b64 exec, exec, s[10:11]
	v_cmp_eq_u32_e32 vcc, 0, v1
	v_cmp_ne_u32_e64 s[0:1], 0, v1
	v_lshlrev_b32_e32 v2, 2, v0
	s_and_saveexec_b64 s[10:11], s[0:1]
	s_cbranch_execz .LBB67_6
; %bb.5:
	v_lshl_or_b32 v1, v1, 11, v2
	v_add_u32_e32 v1, 0xfffff800, v1
	ds_write2st64_b32 v1, v11, v10 offset1:1
	ds_write2st64_b32 v1, v9, v8 offset0:2 offset1:3
	ds_write2st64_b32 v1, v7, v6 offset0:4 offset1:5
	;; [unrolled: 1-line block ×3, first 2 shown]
.LBB67_6:
	s_or_b64 exec, exec, s[10:11]
	s_waitcnt lgkmcnt(0)
	s_barrier
	s_and_saveexec_b64 s[0:1], vcc
	s_cbranch_execz .LBB67_15
; %bb.7:
	v_mbcnt_lo_u32_b32 v1, -1, 0
	v_mbcnt_hi_u32_b32 v15, -1, v1
	ds_read2st64_b32 v[13:14], v2 offset1:1
	v_and_b32_e32 v1, 64, v15
	v_add_u32_e32 v16, 64, v1
	v_xor_b32_e32 v1, 32, v15
	v_cmp_lt_i32_e32 vcc, v1, v16
	v_cndmask_b32_e32 v1, v15, v1, vcc
	v_lshlrev_b32_e32 v1, 2, v1
	s_waitcnt lgkmcnt(0)
	v_add_f32_e32 v11, v13, v11
	v_add_f32_e32 v14, v14, v10
	ds_bpermute_b32 v13, v1, v11
	ds_bpermute_b32 v18, v1, v14
	v_xor_b32_e32 v3, 16, v15
	v_cmp_lt_i32_e32 vcc, v3, v16
	v_cndmask_b32_e32 v3, v15, v3, vcc
	v_lshlrev_b32_e32 v3, 2, v3
	s_waitcnt lgkmcnt(1)
	v_add_f32_e32 v11, v11, v13
	s_waitcnt lgkmcnt(0)
	v_add_f32_e32 v14, v14, v18
	ds_bpermute_b32 v13, v3, v11
	ds_bpermute_b32 v18, v3, v14
	v_xor_b32_e32 v12, 8, v15
	v_cmp_lt_i32_e32 vcc, v12, v16
	v_cndmask_b32_e32 v12, v15, v12, vcc
	v_lshlrev_b32_e32 v12, 2, v12
	s_waitcnt lgkmcnt(1)
	v_add_f32_e32 v13, v11, v13
	s_waitcnt lgkmcnt(0)
	;; [unrolled: 10-line block ×3, first 2 shown]
	v_add_f32_e32 v14, v14, v18
	ds_bpermute_b32 v19, v10, v13
	ds_bpermute_b32 v18, v10, v14
	v_xor_b32_e32 v17, 2, v15
	v_cmp_lt_i32_e32 vcc, v17, v16
	v_cndmask_b32_e32 v17, v15, v17, vcc
	v_lshlrev_b32_e32 v11, 2, v17
	v_xor_b32_e32 v17, 1, v15
	v_cmp_lt_i32_e32 vcc, v17, v16
	s_waitcnt lgkmcnt(1)
	v_add_f32_e32 v13, v13, v19
	s_waitcnt lgkmcnt(0)
	v_add_f32_e32 v14, v14, v18
	v_cndmask_b32_e32 v15, v15, v17, vcc
	ds_bpermute_b32 v16, v11, v13
	ds_bpermute_b32 v17, v11, v14
	s_load_dwordx2 s[0:1], s[4:5], 0x38
	s_mul_i32 s4, s14, s7
	v_lshlrev_b32_e32 v15, 2, v15
	s_waitcnt lgkmcnt(0)
	v_add_f32_e32 v13, v13, v16
	v_add_f32_e32 v14, v14, v17
	s_mul_i32 s3, s18, s8
	s_add_i32 s4, s4, s6
	ds_bpermute_b32 v16, v15, v13
	ds_bpermute_b32 v17, v15, v14
	s_add_i32 s4, s4, s3
	s_mov_b32 s5, 0
	s_lshl_b64 s[4:5], s[4:5], 2
	s_add_u32 s4, s0, s4
	v_add_u32_e32 v18, s6, v0
	s_addc_u32 s5, s1, s5
	v_cmp_gt_u32_e32 vcc, 2, v0
	v_cmp_gt_u32_e64 s[0:1], s2, v18
	s_and_b64 s[0:1], vcc, s[0:1]
	s_waitcnt lgkmcnt(1)
	v_add_f32_e32 v13, v13, v16
	s_waitcnt lgkmcnt(0)
	v_add_f32_e32 v14, v14, v17
	s_and_saveexec_b64 s[6:7], s[0:1]
	s_cbranch_execz .LBB67_9
; %bb.8:
	v_cmp_eq_u32_e32 vcc, 1, v0
	v_cndmask_b32_e32 v16, v13, v14, vcc
	v_cmp_eq_u32_e32 vcc, 2, v0
	v_cndmask_b32_e32 v16, v16, v9, vcc
	;; [unrolled: 2-line block ×7, first 2 shown]
	global_store_dword v2, v16, s[4:5]
.LBB67_9:
	s_or_b64 exec, exec, s[6:7]
	ds_read2st64_b32 v[16:17], v2 offset0:2 offset1:3
	s_waitcnt lgkmcnt(0)
	v_add_f32_e32 v9, v16, v9
	v_add_f32_e32 v8, v17, v8
	ds_bpermute_b32 v16, v1, v9
	ds_bpermute_b32 v17, v1, v8
	s_waitcnt lgkmcnt(1)
	v_add_f32_e32 v9, v9, v16
	s_waitcnt lgkmcnt(0)
	v_add_f32_e32 v8, v8, v17
	ds_bpermute_b32 v16, v3, v9
	ds_bpermute_b32 v17, v3, v8
	s_waitcnt lgkmcnt(1)
	v_add_f32_e32 v9, v9, v16
	s_waitcnt lgkmcnt(0)
	;; [unrolled: 6-line block ×6, first 2 shown]
	v_add_f32_e32 v8, v8, v17
	s_and_saveexec_b64 s[6:7], s[0:1]
	s_cbranch_execz .LBB67_11
; %bb.10:
	v_add_u32_e32 v16, 2, v0
	v_cmp_eq_u32_e32 vcc, 1, v16
	v_cndmask_b32_e32 v17, v13, v14, vcc
	v_cmp_eq_u32_e32 vcc, 2, v16
	v_cndmask_b32_e32 v17, v17, v9, vcc
	;; [unrolled: 2-line block ×7, first 2 shown]
	v_add_u32_e32 v16, s2, v0
	v_mov_b32_e32 v17, 0
	v_lshlrev_b64 v[16:17], 2, v[16:17]
	v_mov_b32_e32 v19, s5
	v_add_co_u32_e32 v16, vcc, s4, v16
	v_addc_co_u32_e32 v17, vcc, v19, v17, vcc
	global_store_dword v[16:17], v18, off
.LBB67_11:
	s_or_b64 exec, exec, s[6:7]
	ds_read2st64_b32 v[16:17], v2 offset0:4 offset1:5
	s_waitcnt lgkmcnt(0)
	v_add_f32_e32 v7, v16, v7
	v_add_f32_e32 v6, v17, v6
	ds_bpermute_b32 v16, v1, v7
	ds_bpermute_b32 v17, v1, v6
	s_waitcnt lgkmcnt(1)
	v_add_f32_e32 v7, v7, v16
	s_waitcnt lgkmcnt(0)
	v_add_f32_e32 v6, v6, v17
	ds_bpermute_b32 v16, v3, v7
	ds_bpermute_b32 v17, v3, v6
	s_waitcnt lgkmcnt(1)
	v_add_f32_e32 v7, v7, v16
	s_waitcnt lgkmcnt(0)
	;; [unrolled: 6-line block ×6, first 2 shown]
	v_add_f32_e32 v6, v6, v17
	s_and_saveexec_b64 s[6:7], s[0:1]
	s_cbranch_execz .LBB67_13
; %bb.12:
	v_add_u32_e32 v16, 4, v0
	v_cmp_eq_u32_e32 vcc, 1, v16
	v_cndmask_b32_e32 v17, v13, v14, vcc
	v_cmp_eq_u32_e32 vcc, 2, v16
	v_cndmask_b32_e32 v17, v17, v9, vcc
	v_cmp_eq_u32_e32 vcc, 3, v16
	v_cndmask_b32_e32 v17, v17, v8, vcc
	v_cmp_eq_u32_e32 vcc, 4, v16
	v_cndmask_b32_e32 v17, v17, v7, vcc
	v_cmp_eq_u32_e32 vcc, 5, v16
	v_cndmask_b32_e32 v17, v17, v6, vcc
	v_cmp_eq_u32_e32 vcc, 6, v16
	v_cndmask_b32_e32 v17, v17, v5, vcc
	v_cmp_eq_u32_e32 vcc, 7, v16
	v_cndmask_b32_e32 v18, v17, v4, vcc
	v_lshl_or_b32 v16, s2, 1, v0
	v_mov_b32_e32 v17, 0
	v_lshlrev_b64 v[16:17], 2, v[16:17]
	v_mov_b32_e32 v19, s5
	v_add_co_u32_e32 v16, vcc, s4, v16
	v_addc_co_u32_e32 v17, vcc, v19, v17, vcc
	global_store_dword v[16:17], v18, off
.LBB67_13:
	s_or_b64 exec, exec, s[6:7]
	ds_read2st64_b32 v[16:17], v2 offset0:6 offset1:7
	s_waitcnt lgkmcnt(0)
	v_add_f32_e32 v2, v16, v5
	v_add_f32_e32 v4, v17, v4
	ds_bpermute_b32 v5, v1, v2
	ds_bpermute_b32 v1, v1, v4
	s_waitcnt lgkmcnt(1)
	v_add_f32_e32 v2, v2, v5
	s_waitcnt lgkmcnt(0)
	v_add_f32_e32 v1, v4, v1
	ds_bpermute_b32 v4, v3, v2
	ds_bpermute_b32 v3, v3, v1
	s_waitcnt lgkmcnt(1)
	v_add_f32_e32 v2, v2, v4
	s_waitcnt lgkmcnt(0)
	v_add_f32_e32 v1, v1, v3
	ds_bpermute_b32 v3, v12, v2
	ds_bpermute_b32 v4, v12, v1
	s_waitcnt lgkmcnt(1)
	v_add_f32_e32 v2, v2, v3
	s_waitcnt lgkmcnt(0)
	v_add_f32_e32 v1, v1, v4
	ds_bpermute_b32 v3, v10, v2
	ds_bpermute_b32 v4, v10, v1
	s_waitcnt lgkmcnt(1)
	v_add_f32_e32 v2, v2, v3
	s_waitcnt lgkmcnt(0)
	v_add_f32_e32 v3, v1, v4
	ds_bpermute_b32 v1, v11, v2
	ds_bpermute_b32 v4, v11, v3
	s_waitcnt lgkmcnt(1)
	v_add_f32_e32 v1, v2, v1
	s_waitcnt lgkmcnt(0)
	v_add_f32_e32 v2, v3, v4
	ds_bpermute_b32 v3, v15, v1
	ds_bpermute_b32 v4, v15, v2
	s_and_b64 exec, exec, s[0:1]
	s_cbranch_execz .LBB67_15
; %bb.14:
	s_waitcnt lgkmcnt(1)
	v_add_f32_e32 v1, v1, v3
	v_add_u32_e32 v3, 6, v0
	v_cmp_eq_u32_e32 vcc, 1, v3
	s_waitcnt lgkmcnt(0)
	v_add_f32_e32 v2, v2, v4
	v_cndmask_b32_e32 v4, v13, v14, vcc
	v_cmp_eq_u32_e32 vcc, 2, v3
	v_cndmask_b32_e32 v4, v4, v9, vcc
	v_cmp_eq_u32_e32 vcc, 3, v3
	v_cndmask_b32_e32 v4, v4, v8, vcc
	v_cmp_eq_u32_e32 vcc, 4, v3
	v_cndmask_b32_e32 v4, v4, v7, vcc
	v_cmp_eq_u32_e32 vcc, 5, v3
	v_cndmask_b32_e32 v4, v4, v6, vcc
	v_cmp_eq_u32_e32 vcc, 6, v3
	v_cndmask_b32_e32 v4, v4, v1, vcc
	v_mad_u64_u32 v[0:1], s[0:1], s2, 3, v[0:1]
	v_mov_b32_e32 v1, 0
	v_cmp_eq_u32_e32 vcc, 7, v3
	v_lshlrev_b64 v[0:1], 2, v[0:1]
	v_cndmask_b32_e32 v2, v4, v2, vcc
	v_mov_b32_e32 v3, s5
	v_add_co_u32_e32 v0, vcc, s4, v0
	v_addc_co_u32_e32 v1, vcc, v3, v1, vcc
	global_store_dword v[0:1], v2, off
.LBB67_15:
	s_endpgm
	.section	.rodata,"a",@progbits
	.p2align	6, 0x0
	.amdhsa_kernel _ZL13mul_mat_vec_qIL9ggml_type8ELi4ELb0ELb0EEvPKvS2_PKi31ggml_cuda_mm_fusion_args_devicePfj15HIP_vector_typeIjLj3EEjjjS8_jjjS8_jjjj
		.amdhsa_group_segment_fixed_size 2048
		.amdhsa_private_segment_fixed_size 0
		.amdhsa_kernarg_size 144
		.amdhsa_user_sgpr_count 6
		.amdhsa_user_sgpr_private_segment_buffer 1
		.amdhsa_user_sgpr_dispatch_ptr 0
		.amdhsa_user_sgpr_queue_ptr 0
		.amdhsa_user_sgpr_kernarg_segment_ptr 1
		.amdhsa_user_sgpr_dispatch_id 0
		.amdhsa_user_sgpr_flat_scratch_init 0
		.amdhsa_user_sgpr_private_segment_size 0
		.amdhsa_uses_dynamic_stack 0
		.amdhsa_system_sgpr_private_segment_wavefront_offset 0
		.amdhsa_system_sgpr_workgroup_id_x 1
		.amdhsa_system_sgpr_workgroup_id_y 1
		.amdhsa_system_sgpr_workgroup_id_z 1
		.amdhsa_system_sgpr_workgroup_info 0
		.amdhsa_system_vgpr_workitem_id 1
		.amdhsa_next_free_vgpr 29
		.amdhsa_next_free_sgpr 61
		.amdhsa_reserve_vcc 1
		.amdhsa_reserve_flat_scratch 0
		.amdhsa_float_round_mode_32 0
		.amdhsa_float_round_mode_16_64 0
		.amdhsa_float_denorm_mode_32 3
		.amdhsa_float_denorm_mode_16_64 3
		.amdhsa_dx10_clamp 1
		.amdhsa_ieee_mode 1
		.amdhsa_fp16_overflow 0
		.amdhsa_exception_fp_ieee_invalid_op 0
		.amdhsa_exception_fp_denorm_src 0
		.amdhsa_exception_fp_ieee_div_zero 0
		.amdhsa_exception_fp_ieee_overflow 0
		.amdhsa_exception_fp_ieee_underflow 0
		.amdhsa_exception_fp_ieee_inexact 0
		.amdhsa_exception_int_div_zero 0
	.end_amdhsa_kernel
	.section	.text._ZL13mul_mat_vec_qIL9ggml_type8ELi4ELb0ELb0EEvPKvS2_PKi31ggml_cuda_mm_fusion_args_devicePfj15HIP_vector_typeIjLj3EEjjjS8_jjjS8_jjjj,"axG",@progbits,_ZL13mul_mat_vec_qIL9ggml_type8ELi4ELb0ELb0EEvPKvS2_PKi31ggml_cuda_mm_fusion_args_devicePfj15HIP_vector_typeIjLj3EEjjjS8_jjjS8_jjjj,comdat
.Lfunc_end67:
	.size	_ZL13mul_mat_vec_qIL9ggml_type8ELi4ELb0ELb0EEvPKvS2_PKi31ggml_cuda_mm_fusion_args_devicePfj15HIP_vector_typeIjLj3EEjjjS8_jjjS8_jjjj, .Lfunc_end67-_ZL13mul_mat_vec_qIL9ggml_type8ELi4ELb0ELb0EEvPKvS2_PKi31ggml_cuda_mm_fusion_args_devicePfj15HIP_vector_typeIjLj3EEjjjS8_jjjS8_jjjj
                                        ; -- End function
	.set _ZL13mul_mat_vec_qIL9ggml_type8ELi4ELb0ELb0EEvPKvS2_PKi31ggml_cuda_mm_fusion_args_devicePfj15HIP_vector_typeIjLj3EEjjjS8_jjjS8_jjjj.num_vgpr, 29
	.set _ZL13mul_mat_vec_qIL9ggml_type8ELi4ELb0ELb0EEvPKvS2_PKi31ggml_cuda_mm_fusion_args_devicePfj15HIP_vector_typeIjLj3EEjjjS8_jjjS8_jjjj.num_agpr, 0
	.set _ZL13mul_mat_vec_qIL9ggml_type8ELi4ELb0ELb0EEvPKvS2_PKi31ggml_cuda_mm_fusion_args_devicePfj15HIP_vector_typeIjLj3EEjjjS8_jjjS8_jjjj.numbered_sgpr, 26
	.set _ZL13mul_mat_vec_qIL9ggml_type8ELi4ELb0ELb0EEvPKvS2_PKi31ggml_cuda_mm_fusion_args_devicePfj15HIP_vector_typeIjLj3EEjjjS8_jjjS8_jjjj.num_named_barrier, 0
	.set _ZL13mul_mat_vec_qIL9ggml_type8ELi4ELb0ELb0EEvPKvS2_PKi31ggml_cuda_mm_fusion_args_devicePfj15HIP_vector_typeIjLj3EEjjjS8_jjjS8_jjjj.private_seg_size, 0
	.set _ZL13mul_mat_vec_qIL9ggml_type8ELi4ELb0ELb0EEvPKvS2_PKi31ggml_cuda_mm_fusion_args_devicePfj15HIP_vector_typeIjLj3EEjjjS8_jjjS8_jjjj.uses_vcc, 1
	.set _ZL13mul_mat_vec_qIL9ggml_type8ELi4ELb0ELb0EEvPKvS2_PKi31ggml_cuda_mm_fusion_args_devicePfj15HIP_vector_typeIjLj3EEjjjS8_jjjS8_jjjj.uses_flat_scratch, 0
	.set _ZL13mul_mat_vec_qIL9ggml_type8ELi4ELb0ELb0EEvPKvS2_PKi31ggml_cuda_mm_fusion_args_devicePfj15HIP_vector_typeIjLj3EEjjjS8_jjjS8_jjjj.has_dyn_sized_stack, 0
	.set _ZL13mul_mat_vec_qIL9ggml_type8ELi4ELb0ELb0EEvPKvS2_PKi31ggml_cuda_mm_fusion_args_devicePfj15HIP_vector_typeIjLj3EEjjjS8_jjjS8_jjjj.has_recursion, 0
	.set _ZL13mul_mat_vec_qIL9ggml_type8ELi4ELb0ELb0EEvPKvS2_PKi31ggml_cuda_mm_fusion_args_devicePfj15HIP_vector_typeIjLj3EEjjjS8_jjjS8_jjjj.has_indirect_call, 0
	.section	.AMDGPU.csdata,"",@progbits
; Kernel info:
; codeLenInByte = 2368
; TotalNumSgprs: 30
; NumVgprs: 29
; ScratchSize: 0
; MemoryBound: 0
; FloatMode: 240
; IeeeMode: 1
; LDSByteSize: 2048 bytes/workgroup (compile time only)
; SGPRBlocks: 8
; VGPRBlocks: 7
; NumSGPRsForWavesPerEU: 65
; NumVGPRsForWavesPerEU: 29
; Occupancy: 8
; WaveLimiterHint : 0
; COMPUTE_PGM_RSRC2:SCRATCH_EN: 0
; COMPUTE_PGM_RSRC2:USER_SGPR: 6
; COMPUTE_PGM_RSRC2:TRAP_HANDLER: 0
; COMPUTE_PGM_RSRC2:TGID_X_EN: 1
; COMPUTE_PGM_RSRC2:TGID_Y_EN: 1
; COMPUTE_PGM_RSRC2:TGID_Z_EN: 1
; COMPUTE_PGM_RSRC2:TIDIG_COMP_CNT: 1
	.section	.text._ZL13mul_mat_vec_qIL9ggml_type8ELi5ELb0ELb0EEvPKvS2_PKi31ggml_cuda_mm_fusion_args_devicePfj15HIP_vector_typeIjLj3EEjjjS8_jjjS8_jjjj,"axG",@progbits,_ZL13mul_mat_vec_qIL9ggml_type8ELi5ELb0ELb0EEvPKvS2_PKi31ggml_cuda_mm_fusion_args_devicePfj15HIP_vector_typeIjLj3EEjjjS8_jjjS8_jjjj,comdat
	.globl	_ZL13mul_mat_vec_qIL9ggml_type8ELi5ELb0ELb0EEvPKvS2_PKi31ggml_cuda_mm_fusion_args_devicePfj15HIP_vector_typeIjLj3EEjjjS8_jjjS8_jjjj ; -- Begin function _ZL13mul_mat_vec_qIL9ggml_type8ELi5ELb0ELb0EEvPKvS2_PKi31ggml_cuda_mm_fusion_args_devicePfj15HIP_vector_typeIjLj3EEjjjS8_jjjS8_jjjj
	.p2align	8
	.type	_ZL13mul_mat_vec_qIL9ggml_type8ELi5ELb0ELb0EEvPKvS2_PKi31ggml_cuda_mm_fusion_args_devicePfj15HIP_vector_typeIjLj3EEjjjS8_jjjS8_jjjj,@function
_ZL13mul_mat_vec_qIL9ggml_type8ELi5ELb0ELb0EEvPKvS2_PKi31ggml_cuda_mm_fusion_args_devicePfj15HIP_vector_typeIjLj3EEjjjS8_jjjS8_jjjj: ; @_ZL13mul_mat_vec_qIL9ggml_type8ELi5ELb0ELb0EEvPKvS2_PKi31ggml_cuda_mm_fusion_args_devicePfj15HIP_vector_typeIjLj3EEjjjS8_jjjS8_jjjj
; %bb.0:
	s_load_dword s9, s[4:5], 0x40
	s_load_dwordx4 s[0:3], s[4:5], 0x50
	s_load_dword s25, s[4:5], 0x60
	s_load_dwordx4 s[12:15], s[4:5], 0x68
	;; [unrolled: 2-line block ×3, first 2 shown]
	v_lshl_or_b32 v2, v1, 6, v0
	s_waitcnt lgkmcnt(0)
	s_lshr_b32 s9, s9, 5
	v_lshrrev_b32_e32 v14, 2, v2
	v_mov_b32_e32 v4, 0
	s_lshl_b32 s6, s6, 1
	v_cmp_gt_u32_e32 vcc, s9, v14
	v_mov_b32_e32 v5, v4
	v_mov_b32_e32 v6, v4
	;; [unrolled: 1-line block ×9, first 2 shown]
	s_and_saveexec_b64 s[10:11], vcc
	s_cbranch_execz .LBB68_4
; %bb.1:
	s_load_dwordx4 s[20:23], s[4:5], 0x0
	s_mul_i32 s17, s17, s8
	s_mul_hi_u32 s19, s17, 36
	s_mul_i32 s17, s17, 36
	s_mul_i32 s13, s13, s7
	s_waitcnt lgkmcnt(0)
	s_add_u32 s17, s22, s17
	s_addc_u32 s19, s23, s19
	s_mul_hi_u32 s23, s13, 36
	s_mul_i32 s13, s13, 36
	s_add_u32 s22, s17, s13
	s_mul_hi_u32 s3, s3, s7
	s_addc_u32 s23, s19, s23
	s_add_i32 s3, s7, s3
	s_lshr_b32 s3, s3, s25
	s_mul_i32 s3, s3, s12
	s_mul_hi_u32 s12, s15, s8
	s_add_i32 s12, s8, s12
	s_lshr_b32 s12, s12, s24
	s_mul_i32 s12, s12, s16
	v_lshlrev_b32_e32 v3, 1, v0
	s_add_i32 s13, s6, 1
	v_and_b32_e32 v5, 6, v3
	s_add_i32 s12, s12, s3
	s_mul_i32 s3, s6, s0
	s_mul_i32 s0, s0, s13
	v_and_b32_e32 v3, 3, v0
	v_lshrrev_b32_e32 v2, 2, v2
	s_add_i32 s3, s12, s3
	s_add_i32 s0, s12, s0
	v_lshlrev_b32_e32 v15, 3, v3
	v_mad_u64_u32 v[2:3], s[12:13], v2, 36, s[22:23]
	v_lshlrev_b32_e32 v6, 1, v5
	v_mov_b32_e32 v4, 0
	s_lshl_b32 s15, s1, 1
	s_mul_i32 s16, s1, 3
	s_lshl_b32 s17, s1, 2
	s_mov_b64 s[12:13], 0
	v_lshlrev_b32_e32 v16, 1, v6
	v_lshlrev_b32_e32 v17, 2, v5
	v_mov_b32_e32 v5, v4
	v_mov_b32_e32 v6, v4
	;; [unrolled: 1-line block ×9, first 2 shown]
.LBB68_2:                               ; =>This Inner Loop Header: Depth=1
	v_add_co_u32_e32 v18, vcc, v2, v15
	v_addc_co_u32_e32 v19, vcc, 0, v3, vcc
	global_load_dwordx2 v[20:21], v[18:19], off offset:4
	global_load_dword v23, v[2:3], off
	v_add_u32_e32 v22, s3, v14
	v_mad_i64_i32 v[18:19], s[24:25], v22, 34, s[20:21]
	v_add_co_u32_e32 v22, vcc, v18, v16
	s_waitcnt vmcnt(0)
	v_cvt_f32_f16_e32 v28, v23
	v_addc_co_u32_e32 v23, vcc, 0, v19, vcc
	global_load_dwordx2 v[24:25], v[22:23], off offset:2
	global_load_ushort v26, v[18:19], off
	s_waitcnt vmcnt(1)
	v_dot4_i32_i8 v18, v24, v20, 0
	s_waitcnt vmcnt(0)
	v_cvt_f32_f16_e32 v29, v26
	v_dot4_i32_i8 v18, v25, v21, v18
	v_cvt_f32_i32_e32 v18, v18
	v_mul_f32_e32 v19, v29, v28
	v_fmac_f32_e32 v13, v19, v18
	v_add_u32_e32 v18, s0, v14
	v_mad_i64_i32 v[18:19], s[24:25], v18, 34, s[20:21]
	v_add_co_u32_e32 v22, vcc, v18, v16
	v_addc_co_u32_e32 v23, vcc, 0, v19, vcc
	global_load_dwordx2 v[26:27], v[22:23], off offset:2
	global_load_ushort v30, v[18:19], off
	s_waitcnt vmcnt(1)
	v_dot4_i32_i8 v18, v26, v20, 0
	s_waitcnt vmcnt(0)
	v_cvt_f32_f16_e32 v30, v30
	v_dot4_i32_i8 v18, v27, v21, v18
	v_cvt_f32_i32_e32 v18, v18
	v_mul_f32_e32 v19, v30, v28
	v_fmac_f32_e32 v12, v19, v18
	v_add_u32_e32 v18, s1, v14
	v_mad_u64_u32 v[18:19], s[24:25], v18, 36, s[22:23]
	v_add_co_u32_e32 v20, vcc, v18, v17
	v_addc_co_u32_e32 v21, vcc, 0, v19, vcc
	global_load_dwordx2 v[22:23], v[20:21], off offset:4
	global_load_dword v28, v[18:19], off
	s_waitcnt vmcnt(1)
	v_dot4_i32_i8 v19, v24, v22, 0
	s_waitcnt vmcnt(0)
	v_cvt_f32_f16_e32 v18, v28
	v_dot4_i32_i8 v19, v25, v23, v19
	v_cvt_f32_i32_e32 v19, v19
	v_mul_f32_e32 v20, v29, v18
	v_mul_f32_e32 v18, v30, v18
	v_fmac_f32_e32 v11, v20, v19
	v_dot4_i32_i8 v19, v26, v22, 0
	v_dot4_i32_i8 v19, v27, v23, v19
	v_cvt_f32_i32_e32 v19, v19
	v_fmac_f32_e32 v10, v18, v19
	v_add_u32_e32 v18, s15, v14
	v_mad_u64_u32 v[18:19], s[24:25], v18, 36, s[22:23]
	v_add_co_u32_e32 v20, vcc, v18, v17
	v_addc_co_u32_e32 v21, vcc, 0, v19, vcc
	global_load_dwordx2 v[22:23], v[20:21], off offset:4
	global_load_dword v28, v[18:19], off
	s_waitcnt vmcnt(1)
	v_dot4_i32_i8 v19, v24, v22, 0
	s_waitcnt vmcnt(0)
	v_cvt_f32_f16_e32 v18, v28
	v_dot4_i32_i8 v19, v25, v23, v19
	v_cvt_f32_i32_e32 v19, v19
	v_mul_f32_e32 v20, v29, v18
	v_mul_f32_e32 v18, v30, v18
	v_fmac_f32_e32 v9, v20, v19
	v_dot4_i32_i8 v19, v26, v22, 0
	v_dot4_i32_i8 v19, v27, v23, v19
	v_cvt_f32_i32_e32 v19, v19
	v_fmac_f32_e32 v8, v18, v19
	v_add_u32_e32 v18, s16, v14
	v_mad_u64_u32 v[18:19], s[24:25], v18, 36, s[22:23]
	v_add_co_u32_e32 v20, vcc, v18, v17
	v_addc_co_u32_e32 v21, vcc, 0, v19, vcc
	global_load_dwordx2 v[22:23], v[20:21], off offset:4
	global_load_dword v28, v[18:19], off
	s_waitcnt vmcnt(1)
	v_dot4_i32_i8 v19, v24, v22, 0
	s_waitcnt vmcnt(0)
	v_cvt_f32_f16_e32 v18, v28
	v_dot4_i32_i8 v19, v25, v23, v19
	v_cvt_f32_i32_e32 v19, v19
	v_mul_f32_e32 v20, v29, v18
	v_mul_f32_e32 v18, v30, v18
	v_fmac_f32_e32 v7, v20, v19
	v_dot4_i32_i8 v19, v26, v22, 0
	v_dot4_i32_i8 v19, v27, v23, v19
	v_cvt_f32_i32_e32 v19, v19
	v_fmac_f32_e32 v6, v18, v19
	v_add_u32_e32 v18, s17, v14
	v_mad_u64_u32 v[18:19], s[24:25], v18, 36, s[22:23]
	v_add_u32_e32 v14, 16, v14
	v_add_co_u32_e32 v20, vcc, v18, v17
	v_addc_co_u32_e32 v21, vcc, 0, v19, vcc
	global_load_dwordx2 v[22:23], v[20:21], off offset:4
	global_load_dword v28, v[18:19], off
	v_add_co_u32_e32 v2, vcc, 0x240, v2
	v_addc_co_u32_e32 v3, vcc, 0, v3, vcc
	v_cmp_le_u32_e32 vcc, s9, v14
	s_or_b64 s[12:13], vcc, s[12:13]
	s_waitcnt vmcnt(1)
	v_dot4_i32_i8 v19, v24, v22, 0
	s_waitcnt vmcnt(0)
	v_cvt_f32_f16_e32 v18, v28
	v_dot4_i32_i8 v19, v25, v23, v19
	v_cvt_f32_i32_e32 v19, v19
	v_mul_f32_e32 v20, v29, v18
	v_mul_f32_e32 v18, v30, v18
	v_fmac_f32_e32 v5, v20, v19
	v_dot4_i32_i8 v19, v26, v22, 0
	v_dot4_i32_i8 v19, v27, v23, v19
	v_cvt_f32_i32_e32 v19, v19
	v_fmac_f32_e32 v4, v18, v19
	s_andn2_b64 exec, exec, s[12:13]
	s_cbranch_execnz .LBB68_2
; %bb.3:
	s_or_b64 exec, exec, s[12:13]
.LBB68_4:
	s_or_b64 exec, exec, s[10:11]
	s_mov_b32 s1, 0
	v_cmp_eq_u32_e32 vcc, 0, v1
	; wave barrier
	s_and_saveexec_b64 s[10:11], vcc
	s_cbranch_execz .LBB68_15
; %bb.5:
	v_mbcnt_lo_u32_b32 v1, -1, 0
	v_mbcnt_hi_u32_b32 v15, -1, v1
	v_and_b32_e32 v1, 64, v15
	v_add_u32_e32 v16, 64, v1
	v_xor_b32_e32 v1, 32, v15
	v_cmp_lt_i32_e32 vcc, v1, v16
	v_cndmask_b32_e32 v1, v15, v1, vcc
	v_lshlrev_b32_e32 v1, 2, v1
	ds_bpermute_b32 v17, v1, v13
	ds_bpermute_b32 v18, v1, v12
	v_xor_b32_e32 v2, 16, v15
	v_cmp_lt_i32_e32 vcc, v2, v16
	v_cndmask_b32_e32 v2, v15, v2, vcc
	v_lshlrev_b32_e32 v2, 2, v2
	s_waitcnt lgkmcnt(1)
	v_add_f32_e32 v13, v13, v17
	s_waitcnt lgkmcnt(0)
	v_add_f32_e32 v12, v12, v18
	ds_bpermute_b32 v17, v2, v13
	ds_bpermute_b32 v18, v2, v12
	v_xor_b32_e32 v3, 8, v15
	v_cmp_lt_i32_e32 vcc, v3, v16
	v_cndmask_b32_e32 v3, v15, v3, vcc
	v_lshlrev_b32_e32 v3, 2, v3
	s_waitcnt lgkmcnt(1)
	v_add_f32_e32 v13, v13, v17
	s_waitcnt lgkmcnt(0)
	v_add_f32_e32 v18, v12, v18
	ds_bpermute_b32 v17, v3, v13
	ds_bpermute_b32 v20, v3, v18
	v_xor_b32_e32 v14, 4, v15
	v_cmp_lt_i32_e32 vcc, v14, v16
	v_cndmask_b32_e32 v14, v15, v14, vcc
	v_lshlrev_b32_e32 v14, 2, v14
	s_waitcnt lgkmcnt(1)
	v_add_f32_e32 v13, v13, v17
	s_waitcnt lgkmcnt(0)
	v_add_f32_e32 v18, v18, v20
	ds_bpermute_b32 v17, v14, v13
	ds_bpermute_b32 v20, v14, v18
	v_xor_b32_e32 v19, 2, v15
	v_cmp_lt_i32_e32 vcc, v19, v16
	v_cndmask_b32_e32 v19, v15, v19, vcc
	v_lshlrev_b32_e32 v12, 2, v19
	v_xor_b32_e32 v19, 1, v15
	v_cmp_lt_i32_e32 vcc, v19, v16
	s_waitcnt lgkmcnt(1)
	v_add_f32_e32 v13, v13, v17
	s_waitcnt lgkmcnt(0)
	v_add_f32_e32 v18, v18, v20
	v_cndmask_b32_e32 v15, v15, v19, vcc
	ds_bpermute_b32 v17, v12, v13
	ds_bpermute_b32 v19, v12, v18
	s_load_dwordx2 s[4:5], s[4:5], 0x38
	s_mul_i32 s3, s14, s7
	v_lshlrev_b32_e32 v16, 2, v15
	s_waitcnt lgkmcnt(0)
	v_add_f32_e32 v13, v13, v17
	v_add_f32_e32 v17, v18, v19
	s_mul_i32 s0, s18, s8
	s_add_i32 s3, s3, s6
	ds_bpermute_b32 v15, v16, v13
	ds_bpermute_b32 v18, v16, v17
	s_add_i32 s0, s3, s0
	s_lshl_b64 s[0:1], s[0:1], 2
	s_add_u32 s4, s4, s0
	v_add_u32_e32 v19, s6, v0
	s_addc_u32 s5, s5, s1
	v_cmp_gt_u32_e32 vcc, 2, v0
	v_cmp_gt_u32_e64 s[0:1], s2, v19
	s_and_b64 s[0:1], vcc, s[0:1]
	s_waitcnt lgkmcnt(1)
	v_add_f32_e32 v13, v13, v15
	s_waitcnt lgkmcnt(0)
	v_add_f32_e32 v15, v17, v18
	s_and_saveexec_b64 s[6:7], s[0:1]
	s_cbranch_execz .LBB68_7
; %bb.6:
	v_cmp_eq_u32_e32 vcc, 1, v0
	v_cndmask_b32_e32 v17, v13, v15, vcc
	v_cmp_eq_u32_e32 vcc, 2, v0
	v_cndmask_b32_e32 v17, v17, v11, vcc
	;; [unrolled: 2-line block ×9, first 2 shown]
	v_lshlrev_b32_e32 v18, 2, v0
	global_store_dword v18, v17, s[4:5]
.LBB68_7:
	s_or_b64 exec, exec, s[6:7]
	ds_bpermute_b32 v17, v1, v11
	ds_bpermute_b32 v18, v1, v10
	s_waitcnt lgkmcnt(1)
	v_add_f32_e32 v11, v11, v17
	s_waitcnt lgkmcnt(0)
	v_add_f32_e32 v10, v10, v18
	ds_bpermute_b32 v17, v2, v11
	ds_bpermute_b32 v18, v2, v10
	s_waitcnt lgkmcnt(1)
	v_add_f32_e32 v11, v11, v17
	s_waitcnt lgkmcnt(0)
	v_add_f32_e32 v10, v10, v18
	;; [unrolled: 6-line block ×6, first 2 shown]
	s_and_saveexec_b64 s[6:7], s[0:1]
	s_cbranch_execz .LBB68_9
; %bb.8:
	v_add_u32_e32 v17, 2, v0
	v_cmp_eq_u32_e32 vcc, 1, v17
	v_cndmask_b32_e32 v18, v13, v15, vcc
	v_cmp_eq_u32_e32 vcc, 2, v17
	v_cndmask_b32_e32 v18, v18, v11, vcc
	;; [unrolled: 2-line block ×9, first 2 shown]
	v_add_u32_e32 v17, s2, v0
	v_mov_b32_e32 v18, 0
	v_lshlrev_b64 v[17:18], 2, v[17:18]
	v_mov_b32_e32 v20, s5
	v_add_co_u32_e32 v17, vcc, s4, v17
	v_addc_co_u32_e32 v18, vcc, v20, v18, vcc
	global_store_dword v[17:18], v19, off
.LBB68_9:
	s_or_b64 exec, exec, s[6:7]
	ds_bpermute_b32 v17, v1, v9
	ds_bpermute_b32 v18, v1, v8
	s_waitcnt lgkmcnt(1)
	v_add_f32_e32 v9, v9, v17
	s_waitcnt lgkmcnt(0)
	v_add_f32_e32 v8, v8, v18
	ds_bpermute_b32 v17, v2, v9
	ds_bpermute_b32 v18, v2, v8
	s_waitcnt lgkmcnt(1)
	v_add_f32_e32 v9, v9, v17
	s_waitcnt lgkmcnt(0)
	v_add_f32_e32 v8, v8, v18
	;; [unrolled: 6-line block ×6, first 2 shown]
	s_and_saveexec_b64 s[6:7], s[0:1]
	s_cbranch_execz .LBB68_11
; %bb.10:
	v_add_u32_e32 v17, 4, v0
	v_cmp_eq_u32_e32 vcc, 1, v17
	v_cndmask_b32_e32 v18, v13, v15, vcc
	v_cmp_eq_u32_e32 vcc, 2, v17
	v_cndmask_b32_e32 v18, v18, v11, vcc
	v_cmp_eq_u32_e32 vcc, 3, v17
	v_cndmask_b32_e32 v18, v18, v10, vcc
	v_cmp_eq_u32_e32 vcc, 4, v17
	v_cndmask_b32_e32 v18, v18, v9, vcc
	v_cmp_eq_u32_e32 vcc, 5, v17
	v_cndmask_b32_e32 v18, v18, v8, vcc
	v_cmp_eq_u32_e32 vcc, 6, v17
	v_cndmask_b32_e32 v18, v18, v7, vcc
	v_cmp_eq_u32_e32 vcc, 7, v17
	v_cndmask_b32_e32 v18, v18, v6, vcc
	v_cmp_eq_u32_e32 vcc, 8, v17
	v_cndmask_b32_e32 v18, v18, v5, vcc
	v_cmp_eq_u32_e32 vcc, 9, v17
	v_cndmask_b32_e32 v19, v18, v4, vcc
	v_lshl_or_b32 v17, s2, 1, v0
	v_mov_b32_e32 v18, 0
	v_lshlrev_b64 v[17:18], 2, v[17:18]
	v_mov_b32_e32 v20, s5
	v_add_co_u32_e32 v17, vcc, s4, v17
	v_addc_co_u32_e32 v18, vcc, v20, v18, vcc
	global_store_dword v[17:18], v19, off
.LBB68_11:
	s_or_b64 exec, exec, s[6:7]
	ds_bpermute_b32 v17, v1, v7
	ds_bpermute_b32 v18, v1, v6
	s_waitcnt lgkmcnt(1)
	v_add_f32_e32 v7, v7, v17
	s_waitcnt lgkmcnt(0)
	v_add_f32_e32 v6, v6, v18
	ds_bpermute_b32 v17, v2, v7
	ds_bpermute_b32 v18, v2, v6
	s_waitcnt lgkmcnt(1)
	v_add_f32_e32 v7, v7, v17
	s_waitcnt lgkmcnt(0)
	v_add_f32_e32 v6, v6, v18
	;; [unrolled: 6-line block ×6, first 2 shown]
	s_and_saveexec_b64 s[6:7], s[0:1]
	s_cbranch_execz .LBB68_13
; %bb.12:
	v_add_u32_e32 v19, 6, v0
	v_cmp_eq_u32_e32 vcc, 1, v19
	v_cndmask_b32_e32 v17, v13, v15, vcc
	v_cmp_eq_u32_e32 vcc, 2, v19
	v_cndmask_b32_e32 v17, v17, v11, vcc
	;; [unrolled: 2-line block ×8, first 2 shown]
	v_mad_u64_u32 v[17:18], s[8:9], s2, 3, v[0:1]
	v_mov_b32_e32 v18, 0
	v_cmp_eq_u32_e32 vcc, 9, v19
	v_lshlrev_b64 v[17:18], 2, v[17:18]
	v_cndmask_b32_e32 v19, v20, v4, vcc
	v_mov_b32_e32 v20, s5
	v_add_co_u32_e32 v17, vcc, s4, v17
	v_addc_co_u32_e32 v18, vcc, v20, v18, vcc
	global_store_dword v[17:18], v19, off
.LBB68_13:
	s_or_b64 exec, exec, s[6:7]
	ds_bpermute_b32 v17, v1, v5
	ds_bpermute_b32 v1, v1, v4
	s_waitcnt lgkmcnt(1)
	v_add_f32_e32 v5, v5, v17
	s_waitcnt lgkmcnt(0)
	v_add_f32_e32 v1, v4, v1
	ds_bpermute_b32 v4, v2, v5
	ds_bpermute_b32 v2, v2, v1
	s_waitcnt lgkmcnt(1)
	v_add_f32_e32 v4, v5, v4
	s_waitcnt lgkmcnt(0)
	v_add_f32_e32 v1, v1, v2
	ds_bpermute_b32 v2, v3, v4
	ds_bpermute_b32 v3, v3, v1
	s_waitcnt lgkmcnt(1)
	v_add_f32_e32 v2, v4, v2
	s_waitcnt lgkmcnt(0)
	v_add_f32_e32 v1, v1, v3
	ds_bpermute_b32 v3, v14, v2
	ds_bpermute_b32 v4, v14, v1
	s_waitcnt lgkmcnt(1)
	v_add_f32_e32 v2, v2, v3
	s_waitcnt lgkmcnt(0)
	v_add_f32_e32 v3, v1, v4
	ds_bpermute_b32 v1, v12, v2
	ds_bpermute_b32 v4, v12, v3
	s_waitcnt lgkmcnt(1)
	v_add_f32_e32 v1, v2, v1
	s_waitcnt lgkmcnt(0)
	v_add_f32_e32 v2, v3, v4
	ds_bpermute_b32 v3, v16, v1
	ds_bpermute_b32 v4, v16, v2
	s_and_b64 exec, exec, s[0:1]
	s_cbranch_execz .LBB68_15
; %bb.14:
	s_waitcnt lgkmcnt(1)
	v_add_f32_e32 v1, v1, v3
	v_add_u32_e32 v3, 8, v0
	v_cmp_eq_u32_e32 vcc, 1, v3
	s_waitcnt lgkmcnt(0)
	v_add_f32_e32 v2, v2, v4
	v_cndmask_b32_e32 v4, v13, v15, vcc
	v_cmp_eq_u32_e32 vcc, 2, v3
	v_cndmask_b32_e32 v4, v4, v11, vcc
	v_cmp_eq_u32_e32 vcc, 3, v3
	;; [unrolled: 2-line block ×8, first 2 shown]
	v_cndmask_b32_e32 v2, v1, v2, vcc
	v_lshl_or_b32 v0, s2, 2, v0
	v_mov_b32_e32 v1, 0
	v_lshlrev_b64 v[0:1], 2, v[0:1]
	v_mov_b32_e32 v3, s5
	v_add_co_u32_e32 v0, vcc, s4, v0
	v_addc_co_u32_e32 v1, vcc, v3, v1, vcc
	global_store_dword v[0:1], v2, off
.LBB68_15:
	s_endpgm
	.section	.rodata,"a",@progbits
	.p2align	6, 0x0
	.amdhsa_kernel _ZL13mul_mat_vec_qIL9ggml_type8ELi5ELb0ELb0EEvPKvS2_PKi31ggml_cuda_mm_fusion_args_devicePfj15HIP_vector_typeIjLj3EEjjjS8_jjjS8_jjjj
		.amdhsa_group_segment_fixed_size 0
		.amdhsa_private_segment_fixed_size 0
		.amdhsa_kernarg_size 144
		.amdhsa_user_sgpr_count 6
		.amdhsa_user_sgpr_private_segment_buffer 1
		.amdhsa_user_sgpr_dispatch_ptr 0
		.amdhsa_user_sgpr_queue_ptr 0
		.amdhsa_user_sgpr_kernarg_segment_ptr 1
		.amdhsa_user_sgpr_dispatch_id 0
		.amdhsa_user_sgpr_flat_scratch_init 0
		.amdhsa_user_sgpr_private_segment_size 0
		.amdhsa_uses_dynamic_stack 0
		.amdhsa_system_sgpr_private_segment_wavefront_offset 0
		.amdhsa_system_sgpr_workgroup_id_x 1
		.amdhsa_system_sgpr_workgroup_id_y 1
		.amdhsa_system_sgpr_workgroup_id_z 1
		.amdhsa_system_sgpr_workgroup_info 0
		.amdhsa_system_vgpr_workitem_id 1
		.amdhsa_next_free_vgpr 31
		.amdhsa_next_free_sgpr 26
		.amdhsa_reserve_vcc 1
		.amdhsa_reserve_flat_scratch 0
		.amdhsa_float_round_mode_32 0
		.amdhsa_float_round_mode_16_64 0
		.amdhsa_float_denorm_mode_32 3
		.amdhsa_float_denorm_mode_16_64 3
		.amdhsa_dx10_clamp 1
		.amdhsa_ieee_mode 1
		.amdhsa_fp16_overflow 0
		.amdhsa_exception_fp_ieee_invalid_op 0
		.amdhsa_exception_fp_denorm_src 0
		.amdhsa_exception_fp_ieee_div_zero 0
		.amdhsa_exception_fp_ieee_overflow 0
		.amdhsa_exception_fp_ieee_underflow 0
		.amdhsa_exception_fp_ieee_inexact 0
		.amdhsa_exception_int_div_zero 0
	.end_amdhsa_kernel
	.section	.text._ZL13mul_mat_vec_qIL9ggml_type8ELi5ELb0ELb0EEvPKvS2_PKi31ggml_cuda_mm_fusion_args_devicePfj15HIP_vector_typeIjLj3EEjjjS8_jjjS8_jjjj,"axG",@progbits,_ZL13mul_mat_vec_qIL9ggml_type8ELi5ELb0ELb0EEvPKvS2_PKi31ggml_cuda_mm_fusion_args_devicePfj15HIP_vector_typeIjLj3EEjjjS8_jjjS8_jjjj,comdat
.Lfunc_end68:
	.size	_ZL13mul_mat_vec_qIL9ggml_type8ELi5ELb0ELb0EEvPKvS2_PKi31ggml_cuda_mm_fusion_args_devicePfj15HIP_vector_typeIjLj3EEjjjS8_jjjS8_jjjj, .Lfunc_end68-_ZL13mul_mat_vec_qIL9ggml_type8ELi5ELb0ELb0EEvPKvS2_PKi31ggml_cuda_mm_fusion_args_devicePfj15HIP_vector_typeIjLj3EEjjjS8_jjjS8_jjjj
                                        ; -- End function
	.set _ZL13mul_mat_vec_qIL9ggml_type8ELi5ELb0ELb0EEvPKvS2_PKi31ggml_cuda_mm_fusion_args_devicePfj15HIP_vector_typeIjLj3EEjjjS8_jjjS8_jjjj.num_vgpr, 31
	.set _ZL13mul_mat_vec_qIL9ggml_type8ELi5ELb0ELb0EEvPKvS2_PKi31ggml_cuda_mm_fusion_args_devicePfj15HIP_vector_typeIjLj3EEjjjS8_jjjS8_jjjj.num_agpr, 0
	.set _ZL13mul_mat_vec_qIL9ggml_type8ELi5ELb0ELb0EEvPKvS2_PKi31ggml_cuda_mm_fusion_args_devicePfj15HIP_vector_typeIjLj3EEjjjS8_jjjS8_jjjj.numbered_sgpr, 26
	.set _ZL13mul_mat_vec_qIL9ggml_type8ELi5ELb0ELb0EEvPKvS2_PKi31ggml_cuda_mm_fusion_args_devicePfj15HIP_vector_typeIjLj3EEjjjS8_jjjS8_jjjj.num_named_barrier, 0
	.set _ZL13mul_mat_vec_qIL9ggml_type8ELi5ELb0ELb0EEvPKvS2_PKi31ggml_cuda_mm_fusion_args_devicePfj15HIP_vector_typeIjLj3EEjjjS8_jjjS8_jjjj.private_seg_size, 0
	.set _ZL13mul_mat_vec_qIL9ggml_type8ELi5ELb0ELb0EEvPKvS2_PKi31ggml_cuda_mm_fusion_args_devicePfj15HIP_vector_typeIjLj3EEjjjS8_jjjS8_jjjj.uses_vcc, 1
	.set _ZL13mul_mat_vec_qIL9ggml_type8ELi5ELb0ELb0EEvPKvS2_PKi31ggml_cuda_mm_fusion_args_devicePfj15HIP_vector_typeIjLj3EEjjjS8_jjjS8_jjjj.uses_flat_scratch, 0
	.set _ZL13mul_mat_vec_qIL9ggml_type8ELi5ELb0ELb0EEvPKvS2_PKi31ggml_cuda_mm_fusion_args_devicePfj15HIP_vector_typeIjLj3EEjjjS8_jjjS8_jjjj.has_dyn_sized_stack, 0
	.set _ZL13mul_mat_vec_qIL9ggml_type8ELi5ELb0ELb0EEvPKvS2_PKi31ggml_cuda_mm_fusion_args_devicePfj15HIP_vector_typeIjLj3EEjjjS8_jjjS8_jjjj.has_recursion, 0
	.set _ZL13mul_mat_vec_qIL9ggml_type8ELi5ELb0ELb0EEvPKvS2_PKi31ggml_cuda_mm_fusion_args_devicePfj15HIP_vector_typeIjLj3EEjjjS8_jjjS8_jjjj.has_indirect_call, 0
	.section	.AMDGPU.csdata,"",@progbits
; Kernel info:
; codeLenInByte = 2720
; TotalNumSgprs: 30
; NumVgprs: 31
; ScratchSize: 0
; MemoryBound: 0
; FloatMode: 240
; IeeeMode: 1
; LDSByteSize: 0 bytes/workgroup (compile time only)
; SGPRBlocks: 3
; VGPRBlocks: 7
; NumSGPRsForWavesPerEU: 30
; NumVGPRsForWavesPerEU: 31
; Occupancy: 8
; WaveLimiterHint : 0
; COMPUTE_PGM_RSRC2:SCRATCH_EN: 0
; COMPUTE_PGM_RSRC2:USER_SGPR: 6
; COMPUTE_PGM_RSRC2:TRAP_HANDLER: 0
; COMPUTE_PGM_RSRC2:TGID_X_EN: 1
; COMPUTE_PGM_RSRC2:TGID_Y_EN: 1
; COMPUTE_PGM_RSRC2:TGID_Z_EN: 1
; COMPUTE_PGM_RSRC2:TIDIG_COMP_CNT: 1
	.section	.text._ZL13mul_mat_vec_qIL9ggml_type8ELi6ELb0ELb0EEvPKvS2_PKi31ggml_cuda_mm_fusion_args_devicePfj15HIP_vector_typeIjLj3EEjjjS8_jjjS8_jjjj,"axG",@progbits,_ZL13mul_mat_vec_qIL9ggml_type8ELi6ELb0ELb0EEvPKvS2_PKi31ggml_cuda_mm_fusion_args_devicePfj15HIP_vector_typeIjLj3EEjjjS8_jjjS8_jjjj,comdat
	.globl	_ZL13mul_mat_vec_qIL9ggml_type8ELi6ELb0ELb0EEvPKvS2_PKi31ggml_cuda_mm_fusion_args_devicePfj15HIP_vector_typeIjLj3EEjjjS8_jjjS8_jjjj ; -- Begin function _ZL13mul_mat_vec_qIL9ggml_type8ELi6ELb0ELb0EEvPKvS2_PKi31ggml_cuda_mm_fusion_args_devicePfj15HIP_vector_typeIjLj3EEjjjS8_jjjS8_jjjj
	.p2align	8
	.type	_ZL13mul_mat_vec_qIL9ggml_type8ELi6ELb0ELb0EEvPKvS2_PKi31ggml_cuda_mm_fusion_args_devicePfj15HIP_vector_typeIjLj3EEjjjS8_jjjS8_jjjj,@function
_ZL13mul_mat_vec_qIL9ggml_type8ELi6ELb0ELb0EEvPKvS2_PKi31ggml_cuda_mm_fusion_args_devicePfj15HIP_vector_typeIjLj3EEjjjS8_jjjS8_jjjj: ; @_ZL13mul_mat_vec_qIL9ggml_type8ELi6ELb0ELb0EEvPKvS2_PKi31ggml_cuda_mm_fusion_args_devicePfj15HIP_vector_typeIjLj3EEjjjS8_jjjS8_jjjj
; %bb.0:
	s_load_dword s9, s[4:5], 0x40
	s_load_dwordx4 s[0:3], s[4:5], 0x50
	s_load_dword s25, s[4:5], 0x60
	s_load_dwordx4 s[12:15], s[4:5], 0x68
	;; [unrolled: 2-line block ×3, first 2 shown]
	v_lshl_or_b32 v2, v1, 6, v0
	s_waitcnt lgkmcnt(0)
	s_lshr_b32 s9, s9, 5
	v_lshrrev_b32_e32 v16, 2, v2
	v_mov_b32_e32 v4, 0
	s_lshl_b32 s6, s6, 1
	v_cmp_gt_u32_e32 vcc, s9, v16
	v_mov_b32_e32 v5, v4
	v_mov_b32_e32 v6, v4
	;; [unrolled: 1-line block ×11, first 2 shown]
	s_and_saveexec_b64 s[10:11], vcc
	s_cbranch_execz .LBB69_4
; %bb.1:
	s_load_dwordx4 s[20:23], s[4:5], 0x0
	s_mul_i32 s17, s17, s8
	s_mul_hi_u32 s19, s17, 36
	s_mul_i32 s17, s17, 36
	s_mul_i32 s13, s13, s7
	s_waitcnt lgkmcnt(0)
	s_add_u32 s17, s22, s17
	s_addc_u32 s19, s23, s19
	s_mul_hi_u32 s23, s13, 36
	s_mul_i32 s13, s13, 36
	s_add_u32 s22, s17, s13
	s_mul_hi_u32 s3, s3, s7
	s_addc_u32 s23, s19, s23
	s_add_i32 s3, s7, s3
	s_lshr_b32 s3, s3, s25
	s_mul_i32 s3, s3, s12
	s_mul_hi_u32 s12, s15, s8
	s_add_i32 s12, s8, s12
	s_lshr_b32 s12, s12, s24
	s_mul_i32 s12, s12, s16
	v_lshlrev_b32_e32 v3, 1, v0
	s_add_i32 s13, s6, 1
	v_and_b32_e32 v5, 6, v3
	s_add_i32 s12, s12, s3
	s_mul_i32 s3, s6, s0
	s_mul_i32 s0, s0, s13
	v_and_b32_e32 v3, 3, v0
	v_lshrrev_b32_e32 v2, 2, v2
	s_add_i32 s3, s12, s3
	s_add_i32 s0, s12, s0
	v_lshlrev_b32_e32 v17, 3, v3
	v_mad_u64_u32 v[2:3], s[12:13], v2, 36, s[22:23]
	v_lshlrev_b32_e32 v6, 1, v5
	v_mov_b32_e32 v4, 0
	s_lshl_b32 s15, s1, 1
	s_mul_i32 s16, s1, 3
	s_lshl_b32 s17, s1, 2
	s_mul_i32 s19, s1, 5
	s_mov_b64 s[12:13], 0
	v_lshlrev_b32_e32 v18, 1, v6
	v_lshlrev_b32_e32 v19, 2, v5
	v_mov_b32_e32 v5, v4
	v_mov_b32_e32 v6, v4
	;; [unrolled: 1-line block ×11, first 2 shown]
.LBB69_2:                               ; =>This Inner Loop Header: Depth=1
	v_add_co_u32_e32 v20, vcc, v2, v17
	v_addc_co_u32_e32 v21, vcc, 0, v3, vcc
	global_load_dwordx2 v[22:23], v[20:21], off offset:4
	global_load_dword v25, v[2:3], off
	v_add_u32_e32 v24, s3, v16
	v_mad_i64_i32 v[20:21], s[24:25], v24, 34, s[20:21]
	v_add_co_u32_e32 v24, vcc, v20, v18
	s_waitcnt vmcnt(0)
	v_cvt_f32_f16_e32 v28, v25
	v_addc_co_u32_e32 v25, vcc, 0, v21, vcc
	global_load_dwordx2 v[26:27], v[24:25], off offset:2
	global_load_ushort v29, v[20:21], off
	s_waitcnt vmcnt(1)
	v_dot4_i32_i8 v20, v26, v22, 0
	s_waitcnt vmcnt(0)
	v_cvt_f32_f16_e32 v29, v29
	v_dot4_i32_i8 v20, v27, v23, v20
	v_cvt_f32_i32_e32 v20, v20
	v_mul_f32_e32 v21, v29, v28
	v_fmac_f32_e32 v15, v21, v20
	v_add_u32_e32 v20, s0, v16
	v_mad_i64_i32 v[20:21], s[24:25], v20, 34, s[20:21]
	v_add_co_u32_e32 v24, vcc, v20, v18
	v_addc_co_u32_e32 v25, vcc, 0, v21, vcc
	global_load_dwordx2 v[24:25], v[24:25], off offset:2
	s_nop 0
	global_load_ushort v20, v[20:21], off
	s_waitcnt vmcnt(0)
	v_cvt_f32_f16_e32 v30, v20
	v_dot4_i32_i8 v20, v24, v22, 0
	v_dot4_i32_i8 v20, v25, v23, v20
	v_cvt_f32_i32_e32 v20, v20
	v_mul_f32_e32 v21, v30, v28
	v_fmac_f32_e32 v14, v21, v20
	v_add_u32_e32 v20, s1, v16
	v_mad_u64_u32 v[20:21], s[24:25], v20, 36, s[22:23]
	v_add_co_u32_e32 v22, vcc, v20, v19
	v_addc_co_u32_e32 v23, vcc, 0, v21, vcc
	global_load_dwordx2 v[22:23], v[22:23], off offset:4
	s_nop 0
	global_load_dword v20, v[20:21], off
	s_waitcnt vmcnt(1)
	v_dot4_i32_i8 v21, v26, v22, 0
	s_waitcnt vmcnt(0)
	v_cvt_f32_f16_e32 v20, v20
	v_dot4_i32_i8 v21, v27, v23, v21
	v_cvt_f32_i32_e32 v21, v21
	v_mul_f32_e32 v28, v29, v20
	v_mul_f32_e32 v20, v30, v20
	v_fmac_f32_e32 v13, v28, v21
	v_dot4_i32_i8 v21, v24, v22, 0
	v_dot4_i32_i8 v21, v25, v23, v21
	v_cvt_f32_i32_e32 v21, v21
	v_fmac_f32_e32 v12, v20, v21
	v_add_u32_e32 v20, s15, v16
	v_mad_u64_u32 v[20:21], s[24:25], v20, 36, s[22:23]
	v_add_co_u32_e32 v22, vcc, v20, v19
	v_addc_co_u32_e32 v23, vcc, 0, v21, vcc
	global_load_dwordx2 v[22:23], v[22:23], off offset:4
	s_nop 0
	global_load_dword v20, v[20:21], off
	s_waitcnt vmcnt(1)
	v_dot4_i32_i8 v21, v26, v22, 0
	s_waitcnt vmcnt(0)
	v_cvt_f32_f16_e32 v20, v20
	v_dot4_i32_i8 v21, v27, v23, v21
	v_cvt_f32_i32_e32 v21, v21
	v_mul_f32_e32 v28, v29, v20
	v_mul_f32_e32 v20, v30, v20
	v_fmac_f32_e32 v11, v28, v21
	v_dot4_i32_i8 v21, v24, v22, 0
	v_dot4_i32_i8 v21, v25, v23, v21
	v_cvt_f32_i32_e32 v21, v21
	v_fmac_f32_e32 v10, v20, v21
	v_add_u32_e32 v20, s16, v16
	v_mad_u64_u32 v[20:21], s[24:25], v20, 36, s[22:23]
	v_add_co_u32_e32 v22, vcc, v20, v19
	v_addc_co_u32_e32 v23, vcc, 0, v21, vcc
	global_load_dwordx2 v[22:23], v[22:23], off offset:4
	s_nop 0
	global_load_dword v20, v[20:21], off
	s_waitcnt vmcnt(1)
	v_dot4_i32_i8 v21, v26, v22, 0
	s_waitcnt vmcnt(0)
	v_cvt_f32_f16_e32 v20, v20
	v_dot4_i32_i8 v21, v27, v23, v21
	v_cvt_f32_i32_e32 v21, v21
	v_mul_f32_e32 v28, v29, v20
	v_mul_f32_e32 v20, v30, v20
	v_fmac_f32_e32 v9, v28, v21
	v_dot4_i32_i8 v21, v24, v22, 0
	v_dot4_i32_i8 v21, v25, v23, v21
	v_cvt_f32_i32_e32 v21, v21
	v_fmac_f32_e32 v8, v20, v21
	v_add_u32_e32 v20, s17, v16
	v_mad_u64_u32 v[20:21], s[24:25], v20, 36, s[22:23]
	v_add_co_u32_e32 v22, vcc, v20, v19
	v_addc_co_u32_e32 v23, vcc, 0, v21, vcc
	global_load_dwordx2 v[22:23], v[22:23], off offset:4
	s_nop 0
	global_load_dword v20, v[20:21], off
	s_waitcnt vmcnt(1)
	v_dot4_i32_i8 v21, v26, v22, 0
	s_waitcnt vmcnt(0)
	v_cvt_f32_f16_e32 v20, v20
	v_dot4_i32_i8 v21, v27, v23, v21
	v_cvt_f32_i32_e32 v21, v21
	v_mul_f32_e32 v28, v29, v20
	v_mul_f32_e32 v20, v30, v20
	v_fmac_f32_e32 v7, v28, v21
	v_dot4_i32_i8 v21, v24, v22, 0
	v_dot4_i32_i8 v21, v25, v23, v21
	v_cvt_f32_i32_e32 v21, v21
	v_fmac_f32_e32 v6, v20, v21
	v_add_u32_e32 v20, s19, v16
	v_mad_u64_u32 v[20:21], s[24:25], v20, 36, s[22:23]
	v_add_u32_e32 v16, 16, v16
	v_add_co_u32_e32 v22, vcc, v20, v19
	v_addc_co_u32_e32 v23, vcc, 0, v21, vcc
	global_load_dwordx2 v[22:23], v[22:23], off offset:4
	s_nop 0
	global_load_dword v20, v[20:21], off
	v_add_co_u32_e32 v2, vcc, 0x240, v2
	v_addc_co_u32_e32 v3, vcc, 0, v3, vcc
	v_cmp_le_u32_e32 vcc, s9, v16
	s_or_b64 s[12:13], vcc, s[12:13]
	s_waitcnt vmcnt(1)
	v_dot4_i32_i8 v21, v26, v22, 0
	s_waitcnt vmcnt(0)
	v_cvt_f32_f16_e32 v20, v20
	v_dot4_i32_i8 v21, v27, v23, v21
	v_cvt_f32_i32_e32 v21, v21
	v_mul_f32_e32 v26, v29, v20
	v_mul_f32_e32 v20, v30, v20
	v_fmac_f32_e32 v5, v26, v21
	v_dot4_i32_i8 v21, v24, v22, 0
	v_dot4_i32_i8 v21, v25, v23, v21
	v_cvt_f32_i32_e32 v21, v21
	v_fmac_f32_e32 v4, v20, v21
	s_andn2_b64 exec, exec, s[12:13]
	s_cbranch_execnz .LBB69_2
; %bb.3:
	s_or_b64 exec, exec, s[12:13]
.LBB69_4:
	s_or_b64 exec, exec, s[10:11]
	s_mov_b32 s1, 0
	v_cmp_eq_u32_e32 vcc, 0, v1
	; wave barrier
	s_and_saveexec_b64 s[10:11], vcc
	s_cbranch_execz .LBB69_17
; %bb.5:
	v_mbcnt_lo_u32_b32 v1, -1, 0
	v_mbcnt_hi_u32_b32 v17, -1, v1
	v_and_b32_e32 v1, 64, v17
	v_add_u32_e32 v18, 64, v1
	v_xor_b32_e32 v1, 32, v17
	v_cmp_lt_i32_e32 vcc, v1, v18
	v_cndmask_b32_e32 v1, v17, v1, vcc
	v_lshlrev_b32_e32 v1, 2, v1
	ds_bpermute_b32 v19, v1, v15
	ds_bpermute_b32 v20, v1, v14
	v_xor_b32_e32 v2, 16, v17
	v_cmp_lt_i32_e32 vcc, v2, v18
	v_cndmask_b32_e32 v2, v17, v2, vcc
	v_lshlrev_b32_e32 v2, 2, v2
	s_waitcnt lgkmcnt(1)
	v_add_f32_e32 v15, v15, v19
	s_waitcnt lgkmcnt(0)
	v_add_f32_e32 v14, v14, v20
	ds_bpermute_b32 v19, v2, v15
	ds_bpermute_b32 v20, v2, v14
	v_xor_b32_e32 v3, 8, v17
	v_cmp_lt_i32_e32 vcc, v3, v18
	v_cndmask_b32_e32 v3, v17, v3, vcc
	v_lshlrev_b32_e32 v3, 2, v3
	s_waitcnt lgkmcnt(1)
	v_add_f32_e32 v15, v15, v19
	s_waitcnt lgkmcnt(0)
	v_add_f32_e32 v20, v14, v20
	;; [unrolled: 10-line block ×3, first 2 shown]
	ds_bpermute_b32 v19, v16, v15
	ds_bpermute_b32 v22, v16, v20
	v_xor_b32_e32 v21, 2, v17
	v_cmp_lt_i32_e32 vcc, v21, v18
	v_cndmask_b32_e32 v21, v17, v21, vcc
	v_lshlrev_b32_e32 v14, 2, v21
	v_xor_b32_e32 v21, 1, v17
	v_cmp_lt_i32_e32 vcc, v21, v18
	s_waitcnt lgkmcnt(1)
	v_add_f32_e32 v15, v15, v19
	s_waitcnt lgkmcnt(0)
	v_add_f32_e32 v20, v20, v22
	v_cndmask_b32_e32 v17, v17, v21, vcc
	ds_bpermute_b32 v19, v14, v15
	ds_bpermute_b32 v21, v14, v20
	s_load_dwordx2 s[4:5], s[4:5], 0x38
	s_mul_i32 s3, s14, s7
	v_lshlrev_b32_e32 v18, 2, v17
	s_waitcnt lgkmcnt(0)
	v_add_f32_e32 v15, v15, v19
	v_add_f32_e32 v19, v20, v21
	s_mul_i32 s0, s18, s8
	s_add_i32 s3, s3, s6
	ds_bpermute_b32 v17, v18, v15
	ds_bpermute_b32 v20, v18, v19
	s_add_i32 s0, s3, s0
	s_lshl_b64 s[0:1], s[0:1], 2
	s_add_u32 s4, s4, s0
	v_add_u32_e32 v21, s6, v0
	s_addc_u32 s5, s5, s1
	v_cmp_gt_u32_e32 vcc, 2, v0
	v_cmp_gt_u32_e64 s[0:1], s2, v21
	s_and_b64 s[0:1], vcc, s[0:1]
	s_waitcnt lgkmcnt(1)
	v_add_f32_e32 v15, v15, v17
	s_waitcnt lgkmcnt(0)
	v_add_f32_e32 v17, v19, v20
	s_and_saveexec_b64 s[6:7], s[0:1]
	s_cbranch_execz .LBB69_7
; %bb.6:
	v_cmp_eq_u32_e32 vcc, 1, v0
	v_cndmask_b32_e32 v19, v15, v17, vcc
	v_cmp_eq_u32_e32 vcc, 2, v0
	v_cndmask_b32_e32 v19, v19, v13, vcc
	;; [unrolled: 2-line block ×11, first 2 shown]
	v_lshlrev_b32_e32 v20, 2, v0
	global_store_dword v20, v19, s[4:5]
.LBB69_7:
	s_or_b64 exec, exec, s[6:7]
	ds_bpermute_b32 v19, v1, v13
	ds_bpermute_b32 v20, v1, v12
	s_waitcnt lgkmcnt(1)
	v_add_f32_e32 v13, v13, v19
	s_waitcnt lgkmcnt(0)
	v_add_f32_e32 v12, v12, v20
	ds_bpermute_b32 v19, v2, v13
	ds_bpermute_b32 v20, v2, v12
	s_waitcnt lgkmcnt(1)
	v_add_f32_e32 v13, v13, v19
	s_waitcnt lgkmcnt(0)
	v_add_f32_e32 v12, v12, v20
	;; [unrolled: 6-line block ×6, first 2 shown]
	s_and_saveexec_b64 s[6:7], s[0:1]
	s_cbranch_execz .LBB69_9
; %bb.8:
	v_add_u32_e32 v19, 2, v0
	v_cmp_eq_u32_e32 vcc, 1, v19
	v_cndmask_b32_e32 v20, v15, v17, vcc
	v_cmp_eq_u32_e32 vcc, 2, v19
	v_cndmask_b32_e32 v20, v20, v13, vcc
	;; [unrolled: 2-line block ×11, first 2 shown]
	v_add_u32_e32 v19, s2, v0
	v_mov_b32_e32 v20, 0
	v_lshlrev_b64 v[19:20], 2, v[19:20]
	v_mov_b32_e32 v22, s5
	v_add_co_u32_e32 v19, vcc, s4, v19
	v_addc_co_u32_e32 v20, vcc, v22, v20, vcc
	global_store_dword v[19:20], v21, off
.LBB69_9:
	s_or_b64 exec, exec, s[6:7]
	ds_bpermute_b32 v19, v1, v11
	ds_bpermute_b32 v20, v1, v10
	s_waitcnt lgkmcnt(1)
	v_add_f32_e32 v11, v11, v19
	s_waitcnt lgkmcnt(0)
	v_add_f32_e32 v10, v10, v20
	ds_bpermute_b32 v19, v2, v11
	ds_bpermute_b32 v20, v2, v10
	s_waitcnt lgkmcnt(1)
	v_add_f32_e32 v11, v11, v19
	s_waitcnt lgkmcnt(0)
	v_add_f32_e32 v10, v10, v20
	;; [unrolled: 6-line block ×6, first 2 shown]
	s_and_saveexec_b64 s[6:7], s[0:1]
	s_cbranch_execz .LBB69_11
; %bb.10:
	v_add_u32_e32 v19, 4, v0
	v_cmp_eq_u32_e32 vcc, 1, v19
	v_cndmask_b32_e32 v20, v15, v17, vcc
	v_cmp_eq_u32_e32 vcc, 2, v19
	v_cndmask_b32_e32 v20, v20, v13, vcc
	;; [unrolled: 2-line block ×11, first 2 shown]
	v_lshl_or_b32 v19, s2, 1, v0
	v_mov_b32_e32 v20, 0
	v_lshlrev_b64 v[19:20], 2, v[19:20]
	v_mov_b32_e32 v22, s5
	v_add_co_u32_e32 v19, vcc, s4, v19
	v_addc_co_u32_e32 v20, vcc, v22, v20, vcc
	global_store_dword v[19:20], v21, off
.LBB69_11:
	s_or_b64 exec, exec, s[6:7]
	ds_bpermute_b32 v19, v1, v9
	ds_bpermute_b32 v20, v1, v8
	s_waitcnt lgkmcnt(1)
	v_add_f32_e32 v9, v9, v19
	s_waitcnt lgkmcnt(0)
	v_add_f32_e32 v8, v8, v20
	ds_bpermute_b32 v19, v2, v9
	ds_bpermute_b32 v20, v2, v8
	s_waitcnt lgkmcnt(1)
	v_add_f32_e32 v9, v9, v19
	s_waitcnt lgkmcnt(0)
	v_add_f32_e32 v8, v8, v20
	;; [unrolled: 6-line block ×6, first 2 shown]
	s_and_saveexec_b64 s[6:7], s[0:1]
	s_cbranch_execz .LBB69_13
; %bb.12:
	v_add_u32_e32 v21, 6, v0
	v_cmp_eq_u32_e32 vcc, 1, v21
	v_cndmask_b32_e32 v19, v15, v17, vcc
	v_cmp_eq_u32_e32 vcc, 2, v21
	v_cndmask_b32_e32 v19, v19, v13, vcc
	;; [unrolled: 2-line block ×10, first 2 shown]
	v_mad_u64_u32 v[19:20], s[8:9], s2, 3, v[0:1]
	v_mov_b32_e32 v20, 0
	v_cmp_eq_u32_e32 vcc, 11, v21
	v_lshlrev_b64 v[19:20], 2, v[19:20]
	v_cndmask_b32_e32 v21, v22, v4, vcc
	v_mov_b32_e32 v22, s5
	v_add_co_u32_e32 v19, vcc, s4, v19
	v_addc_co_u32_e32 v20, vcc, v22, v20, vcc
	global_store_dword v[19:20], v21, off
.LBB69_13:
	s_or_b64 exec, exec, s[6:7]
	ds_bpermute_b32 v19, v1, v7
	ds_bpermute_b32 v20, v1, v6
	s_waitcnt lgkmcnt(1)
	v_add_f32_e32 v7, v7, v19
	s_waitcnt lgkmcnt(0)
	v_add_f32_e32 v6, v6, v20
	ds_bpermute_b32 v19, v2, v7
	ds_bpermute_b32 v20, v2, v6
	s_waitcnt lgkmcnt(1)
	v_add_f32_e32 v7, v7, v19
	s_waitcnt lgkmcnt(0)
	v_add_f32_e32 v6, v6, v20
	ds_bpermute_b32 v19, v3, v7
	ds_bpermute_b32 v20, v3, v6
	s_waitcnt lgkmcnt(1)
	v_add_f32_e32 v7, v7, v19
	s_waitcnt lgkmcnt(0)
	v_add_f32_e32 v6, v6, v20
	ds_bpermute_b32 v19, v16, v7
	ds_bpermute_b32 v20, v16, v6
	s_waitcnt lgkmcnt(1)
	v_add_f32_e32 v7, v7, v19
	s_waitcnt lgkmcnt(0)
	v_add_f32_e32 v6, v6, v20
	ds_bpermute_b32 v19, v14, v7
	ds_bpermute_b32 v20, v14, v6
	s_waitcnt lgkmcnt(1)
	v_add_f32_e32 v7, v7, v19
	s_waitcnt lgkmcnt(0)
	v_add_f32_e32 v6, v6, v20
	ds_bpermute_b32 v19, v18, v7
	ds_bpermute_b32 v20, v18, v6
	s_waitcnt lgkmcnt(1)
	v_add_f32_e32 v7, v7, v19
	s_waitcnt lgkmcnt(0)
	v_add_f32_e32 v6, v6, v20
	s_and_saveexec_b64 s[6:7], s[0:1]
	s_cbranch_execz .LBB69_15
; %bb.14:
	v_add_u32_e32 v19, 8, v0
	v_cmp_eq_u32_e32 vcc, 1, v19
	v_cndmask_b32_e32 v20, v15, v17, vcc
	v_cmp_eq_u32_e32 vcc, 2, v19
	v_cndmask_b32_e32 v20, v20, v13, vcc
	;; [unrolled: 2-line block ×11, first 2 shown]
	v_lshl_or_b32 v19, s2, 2, v0
	v_mov_b32_e32 v20, 0
	v_lshlrev_b64 v[19:20], 2, v[19:20]
	v_mov_b32_e32 v22, s5
	v_add_co_u32_e32 v19, vcc, s4, v19
	v_addc_co_u32_e32 v20, vcc, v22, v20, vcc
	global_store_dword v[19:20], v21, off
.LBB69_15:
	s_or_b64 exec, exec, s[6:7]
	ds_bpermute_b32 v19, v1, v5
	ds_bpermute_b32 v1, v1, v4
	s_waitcnt lgkmcnt(1)
	v_add_f32_e32 v5, v5, v19
	s_waitcnt lgkmcnt(0)
	v_add_f32_e32 v1, v4, v1
	ds_bpermute_b32 v4, v2, v5
	ds_bpermute_b32 v2, v2, v1
	s_waitcnt lgkmcnt(1)
	v_add_f32_e32 v4, v5, v4
	s_waitcnt lgkmcnt(0)
	v_add_f32_e32 v1, v1, v2
	ds_bpermute_b32 v2, v3, v4
	ds_bpermute_b32 v3, v3, v1
	s_waitcnt lgkmcnt(1)
	v_add_f32_e32 v2, v4, v2
	s_waitcnt lgkmcnt(0)
	v_add_f32_e32 v1, v1, v3
	ds_bpermute_b32 v3, v16, v2
	ds_bpermute_b32 v4, v16, v1
	s_waitcnt lgkmcnt(1)
	v_add_f32_e32 v2, v2, v3
	s_waitcnt lgkmcnt(0)
	v_add_f32_e32 v3, v1, v4
	ds_bpermute_b32 v1, v14, v2
	ds_bpermute_b32 v4, v14, v3
	s_waitcnt lgkmcnt(1)
	v_add_f32_e32 v1, v2, v1
	s_waitcnt lgkmcnt(0)
	v_add_f32_e32 v2, v3, v4
	ds_bpermute_b32 v3, v18, v1
	ds_bpermute_b32 v4, v18, v2
	s_and_b64 exec, exec, s[0:1]
	s_cbranch_execz .LBB69_17
; %bb.16:
	s_waitcnt lgkmcnt(1)
	v_add_f32_e32 v1, v1, v3
	v_add_u32_e32 v3, 10, v0
	v_cmp_eq_u32_e32 vcc, 1, v3
	s_waitcnt lgkmcnt(0)
	v_add_f32_e32 v2, v2, v4
	v_cndmask_b32_e32 v4, v15, v17, vcc
	v_cmp_eq_u32_e32 vcc, 2, v3
	v_cndmask_b32_e32 v4, v4, v13, vcc
	v_cmp_eq_u32_e32 vcc, 3, v3
	;; [unrolled: 2-line block ×9, first 2 shown]
	v_cndmask_b32_e32 v4, v4, v1, vcc
	v_mad_u64_u32 v[0:1], s[0:1], s2, 5, v[0:1]
	v_mov_b32_e32 v1, 0
	v_cmp_eq_u32_e32 vcc, 11, v3
	v_lshlrev_b64 v[0:1], 2, v[0:1]
	v_cndmask_b32_e32 v2, v4, v2, vcc
	v_mov_b32_e32 v3, s5
	v_add_co_u32_e32 v0, vcc, s4, v0
	v_addc_co_u32_e32 v1, vcc, v3, v1, vcc
	global_store_dword v[0:1], v2, off
.LBB69_17:
	s_endpgm
	.section	.rodata,"a",@progbits
	.p2align	6, 0x0
	.amdhsa_kernel _ZL13mul_mat_vec_qIL9ggml_type8ELi6ELb0ELb0EEvPKvS2_PKi31ggml_cuda_mm_fusion_args_devicePfj15HIP_vector_typeIjLj3EEjjjS8_jjjS8_jjjj
		.amdhsa_group_segment_fixed_size 0
		.amdhsa_private_segment_fixed_size 0
		.amdhsa_kernarg_size 144
		.amdhsa_user_sgpr_count 6
		.amdhsa_user_sgpr_private_segment_buffer 1
		.amdhsa_user_sgpr_dispatch_ptr 0
		.amdhsa_user_sgpr_queue_ptr 0
		.amdhsa_user_sgpr_kernarg_segment_ptr 1
		.amdhsa_user_sgpr_dispatch_id 0
		.amdhsa_user_sgpr_flat_scratch_init 0
		.amdhsa_user_sgpr_private_segment_size 0
		.amdhsa_uses_dynamic_stack 0
		.amdhsa_system_sgpr_private_segment_wavefront_offset 0
		.amdhsa_system_sgpr_workgroup_id_x 1
		.amdhsa_system_sgpr_workgroup_id_y 1
		.amdhsa_system_sgpr_workgroup_id_z 1
		.amdhsa_system_sgpr_workgroup_info 0
		.amdhsa_system_vgpr_workitem_id 1
		.amdhsa_next_free_vgpr 31
		.amdhsa_next_free_sgpr 26
		.amdhsa_reserve_vcc 1
		.amdhsa_reserve_flat_scratch 0
		.amdhsa_float_round_mode_32 0
		.amdhsa_float_round_mode_16_64 0
		.amdhsa_float_denorm_mode_32 3
		.amdhsa_float_denorm_mode_16_64 3
		.amdhsa_dx10_clamp 1
		.amdhsa_ieee_mode 1
		.amdhsa_fp16_overflow 0
		.amdhsa_exception_fp_ieee_invalid_op 0
		.amdhsa_exception_fp_denorm_src 0
		.amdhsa_exception_fp_ieee_div_zero 0
		.amdhsa_exception_fp_ieee_overflow 0
		.amdhsa_exception_fp_ieee_underflow 0
		.amdhsa_exception_fp_ieee_inexact 0
		.amdhsa_exception_int_div_zero 0
	.end_amdhsa_kernel
	.section	.text._ZL13mul_mat_vec_qIL9ggml_type8ELi6ELb0ELb0EEvPKvS2_PKi31ggml_cuda_mm_fusion_args_devicePfj15HIP_vector_typeIjLj3EEjjjS8_jjjS8_jjjj,"axG",@progbits,_ZL13mul_mat_vec_qIL9ggml_type8ELi6ELb0ELb0EEvPKvS2_PKi31ggml_cuda_mm_fusion_args_devicePfj15HIP_vector_typeIjLj3EEjjjS8_jjjS8_jjjj,comdat
.Lfunc_end69:
	.size	_ZL13mul_mat_vec_qIL9ggml_type8ELi6ELb0ELb0EEvPKvS2_PKi31ggml_cuda_mm_fusion_args_devicePfj15HIP_vector_typeIjLj3EEjjjS8_jjjS8_jjjj, .Lfunc_end69-_ZL13mul_mat_vec_qIL9ggml_type8ELi6ELb0ELb0EEvPKvS2_PKi31ggml_cuda_mm_fusion_args_devicePfj15HIP_vector_typeIjLj3EEjjjS8_jjjS8_jjjj
                                        ; -- End function
	.set _ZL13mul_mat_vec_qIL9ggml_type8ELi6ELb0ELb0EEvPKvS2_PKi31ggml_cuda_mm_fusion_args_devicePfj15HIP_vector_typeIjLj3EEjjjS8_jjjS8_jjjj.num_vgpr, 31
	.set _ZL13mul_mat_vec_qIL9ggml_type8ELi6ELb0ELb0EEvPKvS2_PKi31ggml_cuda_mm_fusion_args_devicePfj15HIP_vector_typeIjLj3EEjjjS8_jjjS8_jjjj.num_agpr, 0
	.set _ZL13mul_mat_vec_qIL9ggml_type8ELi6ELb0ELb0EEvPKvS2_PKi31ggml_cuda_mm_fusion_args_devicePfj15HIP_vector_typeIjLj3EEjjjS8_jjjS8_jjjj.numbered_sgpr, 26
	.set _ZL13mul_mat_vec_qIL9ggml_type8ELi6ELb0ELb0EEvPKvS2_PKi31ggml_cuda_mm_fusion_args_devicePfj15HIP_vector_typeIjLj3EEjjjS8_jjjS8_jjjj.num_named_barrier, 0
	.set _ZL13mul_mat_vec_qIL9ggml_type8ELi6ELb0ELb0EEvPKvS2_PKi31ggml_cuda_mm_fusion_args_devicePfj15HIP_vector_typeIjLj3EEjjjS8_jjjS8_jjjj.private_seg_size, 0
	.set _ZL13mul_mat_vec_qIL9ggml_type8ELi6ELb0ELb0EEvPKvS2_PKi31ggml_cuda_mm_fusion_args_devicePfj15HIP_vector_typeIjLj3EEjjjS8_jjjS8_jjjj.uses_vcc, 1
	.set _ZL13mul_mat_vec_qIL9ggml_type8ELi6ELb0ELb0EEvPKvS2_PKi31ggml_cuda_mm_fusion_args_devicePfj15HIP_vector_typeIjLj3EEjjjS8_jjjS8_jjjj.uses_flat_scratch, 0
	.set _ZL13mul_mat_vec_qIL9ggml_type8ELi6ELb0ELb0EEvPKvS2_PKi31ggml_cuda_mm_fusion_args_devicePfj15HIP_vector_typeIjLj3EEjjjS8_jjjS8_jjjj.has_dyn_sized_stack, 0
	.set _ZL13mul_mat_vec_qIL9ggml_type8ELi6ELb0ELb0EEvPKvS2_PKi31ggml_cuda_mm_fusion_args_devicePfj15HIP_vector_typeIjLj3EEjjjS8_jjjS8_jjjj.has_recursion, 0
	.set _ZL13mul_mat_vec_qIL9ggml_type8ELi6ELb0ELb0EEvPKvS2_PKi31ggml_cuda_mm_fusion_args_devicePfj15HIP_vector_typeIjLj3EEjjjS8_jjjS8_jjjj.has_indirect_call, 0
	.section	.AMDGPU.csdata,"",@progbits
; Kernel info:
; codeLenInByte = 3280
; TotalNumSgprs: 30
; NumVgprs: 31
; ScratchSize: 0
; MemoryBound: 0
; FloatMode: 240
; IeeeMode: 1
; LDSByteSize: 0 bytes/workgroup (compile time only)
; SGPRBlocks: 3
; VGPRBlocks: 7
; NumSGPRsForWavesPerEU: 30
; NumVGPRsForWavesPerEU: 31
; Occupancy: 8
; WaveLimiterHint : 0
; COMPUTE_PGM_RSRC2:SCRATCH_EN: 0
; COMPUTE_PGM_RSRC2:USER_SGPR: 6
; COMPUTE_PGM_RSRC2:TRAP_HANDLER: 0
; COMPUTE_PGM_RSRC2:TGID_X_EN: 1
; COMPUTE_PGM_RSRC2:TGID_Y_EN: 1
; COMPUTE_PGM_RSRC2:TGID_Z_EN: 1
; COMPUTE_PGM_RSRC2:TIDIG_COMP_CNT: 1
	.section	.text._ZL13mul_mat_vec_qIL9ggml_type8ELi7ELb0ELb0EEvPKvS2_PKi31ggml_cuda_mm_fusion_args_devicePfj15HIP_vector_typeIjLj3EEjjjS8_jjjS8_jjjj,"axG",@progbits,_ZL13mul_mat_vec_qIL9ggml_type8ELi7ELb0ELb0EEvPKvS2_PKi31ggml_cuda_mm_fusion_args_devicePfj15HIP_vector_typeIjLj3EEjjjS8_jjjS8_jjjj,comdat
	.globl	_ZL13mul_mat_vec_qIL9ggml_type8ELi7ELb0ELb0EEvPKvS2_PKi31ggml_cuda_mm_fusion_args_devicePfj15HIP_vector_typeIjLj3EEjjjS8_jjjS8_jjjj ; -- Begin function _ZL13mul_mat_vec_qIL9ggml_type8ELi7ELb0ELb0EEvPKvS2_PKi31ggml_cuda_mm_fusion_args_devicePfj15HIP_vector_typeIjLj3EEjjjS8_jjjS8_jjjj
	.p2align	8
	.type	_ZL13mul_mat_vec_qIL9ggml_type8ELi7ELb0ELb0EEvPKvS2_PKi31ggml_cuda_mm_fusion_args_devicePfj15HIP_vector_typeIjLj3EEjjjS8_jjjS8_jjjj,@function
_ZL13mul_mat_vec_qIL9ggml_type8ELi7ELb0ELb0EEvPKvS2_PKi31ggml_cuda_mm_fusion_args_devicePfj15HIP_vector_typeIjLj3EEjjjS8_jjjS8_jjjj: ; @_ZL13mul_mat_vec_qIL9ggml_type8ELi7ELb0ELb0EEvPKvS2_PKi31ggml_cuda_mm_fusion_args_devicePfj15HIP_vector_typeIjLj3EEjjjS8_jjjS8_jjjj
; %bb.0:
	s_load_dword s9, s[4:5], 0x40
	s_load_dwordx4 s[0:3], s[4:5], 0x50
	s_load_dword s25, s[4:5], 0x60
	s_load_dwordx4 s[12:15], s[4:5], 0x68
	;; [unrolled: 2-line block ×3, first 2 shown]
	v_lshl_or_b32 v2, v1, 6, v0
	s_waitcnt lgkmcnt(0)
	s_lshr_b32 s9, s9, 5
	v_lshrrev_b32_e32 v20, 2, v2
	s_lshl_b32 s6, s6, 1
	v_cmp_gt_u32_e32 vcc, s9, v20
	v_mov_b32_e32 v6, 0
	v_mov_b32_e32 v7, 0
	;; [unrolled: 1-line block ×14, first 2 shown]
	s_and_saveexec_b64 s[10:11], vcc
	s_cbranch_execz .LBB70_4
; %bb.1:
	s_load_dwordx4 s[20:23], s[4:5], 0x0
	s_mul_i32 s17, s17, s8
	s_mul_hi_u32 s19, s17, 36
	s_mul_i32 s17, s17, 36
	s_mul_i32 s13, s13, s7
	s_waitcnt lgkmcnt(0)
	s_add_u32 s17, s22, s17
	s_addc_u32 s19, s23, s19
	s_mul_hi_u32 s23, s13, 36
	s_mul_i32 s13, s13, 36
	s_add_u32 s22, s17, s13
	s_mul_hi_u32 s3, s3, s7
	s_addc_u32 s23, s19, s23
	s_add_i32 s3, s7, s3
	s_lshr_b32 s3, s3, s25
	s_mul_i32 s3, s3, s12
	s_mul_hi_u32 s12, s15, s8
	s_add_i32 s12, s8, s12
	s_lshr_b32 s12, s12, s24
	s_mul_i32 s12, s12, s16
	v_lshlrev_b32_e32 v3, 1, v0
	s_add_i32 s13, s6, 1
	v_and_b32_e32 v4, 6, v3
	s_add_i32 s12, s12, s3
	s_mul_i32 s3, s6, s0
	s_mul_i32 s0, s0, s13
	v_and_b32_e32 v3, 3, v0
	v_lshrrev_b32_e32 v2, 2, v2
	s_add_i32 s3, s12, s3
	s_add_i32 s0, s12, s0
	v_lshlrev_b32_e32 v21, 3, v3
	v_mad_u64_u32 v[2:3], s[12:13], v2, 36, s[22:23]
	v_lshlrev_b32_e32 v5, 1, v4
	v_mov_b32_e32 v6, 0
	s_lshl_b32 s15, s1, 1
	s_mul_i32 s16, s1, 3
	s_lshl_b32 s17, s1, 2
	s_mul_i32 s19, s1, 5
	s_mul_i32 s24, s1, 6
	s_mov_b64 s[12:13], 0
	v_lshlrev_b32_e32 v22, 1, v5
	v_lshlrev_b32_e32 v23, 2, v4
	v_mov_b32_e32 v7, 0
	v_mov_b32_e32 v8, 0
	;; [unrolled: 1-line block ×13, first 2 shown]
.LBB70_2:                               ; =>This Inner Loop Header: Depth=1
	v_add_co_u32_e32 v4, vcc, v2, v21
	v_addc_co_u32_e32 v5, vcc, 0, v3, vcc
	global_load_dwordx2 v[25:26], v[4:5], off offset:4
	global_load_dword v27, v[2:3], off
	v_add_u32_e32 v24, s3, v20
	s_waitcnt vmcnt(0)
	v_cvt_f32_f16_e32 v33, v27
	v_mad_i64_i32 v[27:28], s[26:27], v24, 34, s[20:21]
	v_add_co_u32_e32 v29, vcc, v27, v22
	v_addc_co_u32_e32 v30, vcc, 0, v28, vcc
	global_load_dwordx2 v[4:5], v[29:30], off offset:2
	global_load_ushort v24, v[27:28], off
	s_waitcnt vmcnt(0)
	v_cvt_f32_f16_e32 v34, v24
	v_dot4_i32_i8 v24, v4, v25, 0
	v_dot4_i32_i8 v24, v5, v26, v24
	v_cvt_f32_i32_e32 v24, v24
	v_mul_f32_e32 v27, v34, v33
	v_fmac_f32_e32 v19, v27, v24
	v_add_u32_e32 v24, s0, v20
	v_mad_i64_i32 v[27:28], s[26:27], v24, 34, s[20:21]
	v_add_co_u32_e32 v29, vcc, v27, v22
	v_addc_co_u32_e32 v30, vcc, 0, v28, vcc
	global_load_dwordx2 v[31:32], v[29:30], off offset:2
	global_load_ushort v24, v[27:28], off
	s_waitcnt vmcnt(1)
	v_dot4_i32_i8 v25, v31, v25, 0
	s_waitcnt vmcnt(0)
	v_cvt_f32_f16_e32 v24, v24
	v_dot4_i32_i8 v25, v32, v26, v25
	v_cvt_f32_i32_e32 v25, v25
	v_mul_f32_e32 v26, v24, v33
	v_fmac_f32_e32 v18, v26, v25
	v_add_u32_e32 v25, s1, v20
	v_mad_u64_u32 v[25:26], s[26:27], v25, 36, s[22:23]
	v_add_co_u32_e32 v27, vcc, v25, v23
	v_addc_co_u32_e32 v28, vcc, 0, v26, vcc
	global_load_dwordx2 v[29:30], v[27:28], off offset:4
	global_load_dword v33, v[25:26], off
	s_waitcnt vmcnt(1)
	v_dot4_i32_i8 v26, v4, v29, 0
	s_waitcnt vmcnt(0)
	v_cvt_f32_f16_e32 v25, v33
	v_dot4_i32_i8 v26, v5, v30, v26
	v_cvt_f32_i32_e32 v26, v26
	v_mul_f32_e32 v27, v34, v25
	v_mul_f32_e32 v25, v24, v25
	v_fmac_f32_e32 v17, v27, v26
	v_dot4_i32_i8 v26, v31, v29, 0
	v_dot4_i32_i8 v26, v32, v30, v26
	v_cvt_f32_i32_e32 v26, v26
	v_fmac_f32_e32 v16, v25, v26
	v_add_u32_e32 v25, s15, v20
	v_mad_u64_u32 v[25:26], s[26:27], v25, 36, s[22:23]
	v_add_co_u32_e32 v27, vcc, v25, v23
	v_addc_co_u32_e32 v28, vcc, 0, v26, vcc
	global_load_dwordx2 v[29:30], v[27:28], off offset:4
	global_load_dword v33, v[25:26], off
	s_waitcnt vmcnt(1)
	v_dot4_i32_i8 v26, v4, v29, 0
	s_waitcnt vmcnt(0)
	v_cvt_f32_f16_e32 v25, v33
	v_dot4_i32_i8 v26, v5, v30, v26
	v_cvt_f32_i32_e32 v26, v26
	v_mul_f32_e32 v27, v34, v25
	v_mul_f32_e32 v25, v24, v25
	v_fmac_f32_e32 v15, v27, v26
	v_dot4_i32_i8 v26, v31, v29, 0
	v_dot4_i32_i8 v26, v32, v30, v26
	v_cvt_f32_i32_e32 v26, v26
	;; [unrolled: 19-line block ×5, first 2 shown]
	v_fmac_f32_e32 v8, v25, v26
	v_add_u32_e32 v25, s24, v20
	v_mad_u64_u32 v[25:26], s[26:27], v25, 36, s[22:23]
	v_add_u32_e32 v20, 16, v20
	v_add_co_u32_e32 v27, vcc, v25, v23
	v_addc_co_u32_e32 v28, vcc, 0, v26, vcc
	global_load_dwordx2 v[29:30], v[27:28], off offset:4
	global_load_dword v33, v[25:26], off
	v_add_co_u32_e32 v2, vcc, 0x240, v2
	v_addc_co_u32_e32 v3, vcc, 0, v3, vcc
	v_cmp_le_u32_e32 vcc, s9, v20
	s_or_b64 s[12:13], vcc, s[12:13]
	s_waitcnt vmcnt(1)
	v_dot4_i32_i8 v4, v4, v29, 0
	s_waitcnt vmcnt(0)
	v_cvt_f32_f16_e32 v25, v33
	v_dot4_i32_i8 v4, v5, v30, v4
	v_cvt_f32_i32_e32 v4, v4
	v_mul_f32_e32 v5, v34, v25
	v_fmac_f32_e32 v7, v5, v4
	v_dot4_i32_i8 v4, v31, v29, 0
	v_dot4_i32_i8 v4, v32, v30, v4
	v_cvt_f32_i32_e32 v4, v4
	v_mul_f32_e32 v5, v24, v25
	v_fmac_f32_e32 v6, v5, v4
	s_andn2_b64 exec, exec, s[12:13]
	s_cbranch_execnz .LBB70_2
; %bb.3:
	s_or_b64 exec, exec, s[12:13]
.LBB70_4:
	s_or_b64 exec, exec, s[10:11]
	s_mov_b32 s1, 0
	v_cmp_eq_u32_e32 vcc, 0, v1
	; wave barrier
	s_and_saveexec_b64 s[10:11], vcc
	s_cbranch_execz .LBB70_19
; %bb.5:
	v_mbcnt_lo_u32_b32 v1, -1, 0
	v_mbcnt_hi_u32_b32 v20, -1, v1
	v_and_b32_e32 v1, 64, v20
	v_add_u32_e32 v21, 64, v1
	v_xor_b32_e32 v1, 32, v20
	v_cmp_lt_i32_e32 vcc, v1, v21
	v_cndmask_b32_e32 v1, v20, v1, vcc
	v_lshlrev_b32_e32 v1, 2, v1
	ds_bpermute_b32 v5, v1, v19
	ds_bpermute_b32 v22, v1, v18
	v_xor_b32_e32 v2, 16, v20
	v_cmp_lt_i32_e32 vcc, v2, v21
	v_cndmask_b32_e32 v2, v20, v2, vcc
	v_lshlrev_b32_e32 v2, 2, v2
	s_waitcnt lgkmcnt(1)
	v_add_f32_e32 v5, v19, v5
	s_waitcnt lgkmcnt(0)
	v_add_f32_e32 v18, v18, v22
	ds_bpermute_b32 v19, v2, v5
	ds_bpermute_b32 v22, v2, v18
	v_xor_b32_e32 v3, 8, v20
	v_cmp_lt_i32_e32 vcc, v3, v21
	v_cndmask_b32_e32 v3, v20, v3, vcc
	v_lshlrev_b32_e32 v3, 2, v3
	s_waitcnt lgkmcnt(1)
	v_add_f32_e32 v19, v5, v19
	s_waitcnt lgkmcnt(0)
	v_add_f32_e32 v18, v18, v22
	;; [unrolled: 10-line block ×3, first 2 shown]
	ds_bpermute_b32 v24, v4, v19
	ds_bpermute_b32 v22, v4, v18
	v_xor_b32_e32 v23, 2, v20
	v_cmp_lt_i32_e32 vcc, v23, v21
	v_cndmask_b32_e32 v23, v20, v23, vcc
	v_lshlrev_b32_e32 v5, 2, v23
	v_xor_b32_e32 v23, 1, v20
	s_waitcnt lgkmcnt(1)
	v_add_f32_e32 v19, v19, v24
	s_waitcnt lgkmcnt(0)
	v_add_f32_e32 v18, v18, v22
	v_cmp_lt_i32_e32 vcc, v23, v21
	ds_bpermute_b32 v21, v5, v19
	ds_bpermute_b32 v22, v5, v18
	s_load_dwordx2 s[4:5], s[4:5], 0x38
	v_cndmask_b32_e32 v20, v20, v23, vcc
	s_mul_i32 s3, s14, s7
	v_lshlrev_b32_e32 v20, 2, v20
	s_waitcnt lgkmcnt(0)
	v_add_f32_e32 v19, v19, v21
	v_add_f32_e32 v22, v18, v22
	s_mul_i32 s0, s18, s8
	s_add_i32 s3, s3, s6
	ds_bpermute_b32 v21, v20, v19
	ds_bpermute_b32 v23, v20, v22
	s_add_i32 s0, s3, s0
	s_lshl_b64 s[0:1], s[0:1], 2
	s_add_u32 s4, s4, s0
	v_add_u32_e32 v18, s6, v0
	s_addc_u32 s5, s5, s1
	v_cmp_gt_u32_e32 vcc, 2, v0
	v_cmp_gt_u32_e64 s[0:1], s2, v18
	s_and_b64 s[0:1], vcc, s[0:1]
	s_waitcnt lgkmcnt(1)
	v_add_f32_e32 v18, v19, v21
	s_waitcnt lgkmcnt(0)
	v_add_f32_e32 v19, v22, v23
	s_and_saveexec_b64 s[6:7], s[0:1]
	s_cbranch_execz .LBB70_7
; %bb.6:
	v_cmp_eq_u32_e32 vcc, 1, v0
	v_cndmask_b32_e32 v21, v18, v19, vcc
	v_cmp_eq_u32_e32 vcc, 2, v0
	v_cndmask_b32_e32 v21, v21, v17, vcc
	;; [unrolled: 2-line block ×13, first 2 shown]
	v_lshlrev_b32_e32 v22, 2, v0
	global_store_dword v22, v21, s[4:5]
.LBB70_7:
	s_or_b64 exec, exec, s[6:7]
	ds_bpermute_b32 v21, v1, v17
	ds_bpermute_b32 v22, v1, v16
	s_waitcnt lgkmcnt(1)
	v_add_f32_e32 v17, v17, v21
	s_waitcnt lgkmcnt(0)
	v_add_f32_e32 v16, v16, v22
	ds_bpermute_b32 v21, v2, v17
	ds_bpermute_b32 v22, v2, v16
	s_waitcnt lgkmcnt(1)
	v_add_f32_e32 v17, v17, v21
	s_waitcnt lgkmcnt(0)
	v_add_f32_e32 v16, v16, v22
	;; [unrolled: 6-line block ×6, first 2 shown]
	s_and_saveexec_b64 s[6:7], s[0:1]
	s_cbranch_execz .LBB70_9
; %bb.8:
	v_add_u32_e32 v21, 2, v0
	v_cmp_eq_u32_e32 vcc, 1, v21
	v_cndmask_b32_e32 v22, v18, v19, vcc
	v_cmp_eq_u32_e32 vcc, 2, v21
	v_cndmask_b32_e32 v22, v22, v17, vcc
	;; [unrolled: 2-line block ×13, first 2 shown]
	v_add_u32_e32 v21, s2, v0
	v_mov_b32_e32 v22, 0
	v_lshlrev_b64 v[21:22], 2, v[21:22]
	v_mov_b32_e32 v24, s5
	v_add_co_u32_e32 v21, vcc, s4, v21
	v_addc_co_u32_e32 v22, vcc, v24, v22, vcc
	global_store_dword v[21:22], v23, off
.LBB70_9:
	s_or_b64 exec, exec, s[6:7]
	ds_bpermute_b32 v21, v1, v15
	ds_bpermute_b32 v22, v1, v14
	s_waitcnt lgkmcnt(1)
	v_add_f32_e32 v15, v15, v21
	s_waitcnt lgkmcnt(0)
	v_add_f32_e32 v14, v14, v22
	ds_bpermute_b32 v21, v2, v15
	ds_bpermute_b32 v22, v2, v14
	s_waitcnt lgkmcnt(1)
	v_add_f32_e32 v15, v15, v21
	s_waitcnt lgkmcnt(0)
	v_add_f32_e32 v14, v14, v22
	;; [unrolled: 6-line block ×6, first 2 shown]
	s_and_saveexec_b64 s[6:7], s[0:1]
	s_cbranch_execz .LBB70_11
; %bb.10:
	v_add_u32_e32 v21, 4, v0
	v_cmp_eq_u32_e32 vcc, 1, v21
	v_cndmask_b32_e32 v22, v18, v19, vcc
	v_cmp_eq_u32_e32 vcc, 2, v21
	v_cndmask_b32_e32 v22, v22, v17, vcc
	;; [unrolled: 2-line block ×13, first 2 shown]
	v_lshl_or_b32 v21, s2, 1, v0
	v_mov_b32_e32 v22, 0
	v_lshlrev_b64 v[21:22], 2, v[21:22]
	v_mov_b32_e32 v24, s5
	v_add_co_u32_e32 v21, vcc, s4, v21
	v_addc_co_u32_e32 v22, vcc, v24, v22, vcc
	global_store_dword v[21:22], v23, off
.LBB70_11:
	s_or_b64 exec, exec, s[6:7]
	ds_bpermute_b32 v21, v1, v13
	ds_bpermute_b32 v22, v1, v12
	s_waitcnt lgkmcnt(1)
	v_add_f32_e32 v13, v13, v21
	s_waitcnt lgkmcnt(0)
	v_add_f32_e32 v12, v12, v22
	ds_bpermute_b32 v21, v2, v13
	ds_bpermute_b32 v22, v2, v12
	s_waitcnt lgkmcnt(1)
	v_add_f32_e32 v13, v13, v21
	s_waitcnt lgkmcnt(0)
	v_add_f32_e32 v12, v12, v22
	;; [unrolled: 6-line block ×6, first 2 shown]
	s_and_saveexec_b64 s[6:7], s[0:1]
	s_cbranch_execz .LBB70_13
; %bb.12:
	v_add_u32_e32 v23, 6, v0
	v_cmp_eq_u32_e32 vcc, 1, v23
	v_cndmask_b32_e32 v21, v18, v19, vcc
	v_cmp_eq_u32_e32 vcc, 2, v23
	v_cndmask_b32_e32 v21, v21, v17, vcc
	;; [unrolled: 2-line block ×12, first 2 shown]
	v_mad_u64_u32 v[21:22], s[8:9], s2, 3, v[0:1]
	v_mov_b32_e32 v22, 0
	v_cmp_eq_u32_e32 vcc, 13, v23
	v_lshlrev_b64 v[21:22], 2, v[21:22]
	v_cndmask_b32_e32 v23, v24, v6, vcc
	v_mov_b32_e32 v24, s5
	v_add_co_u32_e32 v21, vcc, s4, v21
	v_addc_co_u32_e32 v22, vcc, v24, v22, vcc
	global_store_dword v[21:22], v23, off
.LBB70_13:
	s_or_b64 exec, exec, s[6:7]
	ds_bpermute_b32 v21, v1, v11
	ds_bpermute_b32 v22, v1, v10
	s_waitcnt lgkmcnt(1)
	v_add_f32_e32 v11, v11, v21
	s_waitcnt lgkmcnt(0)
	v_add_f32_e32 v10, v10, v22
	ds_bpermute_b32 v21, v2, v11
	ds_bpermute_b32 v22, v2, v10
	s_waitcnt lgkmcnt(1)
	v_add_f32_e32 v11, v11, v21
	s_waitcnt lgkmcnt(0)
	v_add_f32_e32 v10, v10, v22
	;; [unrolled: 6-line block ×6, first 2 shown]
	s_and_saveexec_b64 s[6:7], s[0:1]
	s_cbranch_execz .LBB70_15
; %bb.14:
	v_add_u32_e32 v21, 8, v0
	v_cmp_eq_u32_e32 vcc, 1, v21
	v_cndmask_b32_e32 v22, v18, v19, vcc
	v_cmp_eq_u32_e32 vcc, 2, v21
	v_cndmask_b32_e32 v22, v22, v17, vcc
	;; [unrolled: 2-line block ×13, first 2 shown]
	v_lshl_or_b32 v21, s2, 2, v0
	v_mov_b32_e32 v22, 0
	v_lshlrev_b64 v[21:22], 2, v[21:22]
	v_mov_b32_e32 v24, s5
	v_add_co_u32_e32 v21, vcc, s4, v21
	v_addc_co_u32_e32 v22, vcc, v24, v22, vcc
	global_store_dword v[21:22], v23, off
.LBB70_15:
	s_or_b64 exec, exec, s[6:7]
	ds_bpermute_b32 v21, v1, v9
	ds_bpermute_b32 v22, v1, v8
	s_waitcnt lgkmcnt(1)
	v_add_f32_e32 v9, v9, v21
	s_waitcnt lgkmcnt(0)
	v_add_f32_e32 v8, v8, v22
	ds_bpermute_b32 v21, v2, v9
	ds_bpermute_b32 v22, v2, v8
	s_waitcnt lgkmcnt(1)
	v_add_f32_e32 v9, v9, v21
	s_waitcnt lgkmcnt(0)
	v_add_f32_e32 v8, v8, v22
	;; [unrolled: 6-line block ×6, first 2 shown]
	s_and_saveexec_b64 s[6:7], s[0:1]
	s_cbranch_execz .LBB70_17
; %bb.16:
	v_add_u32_e32 v23, 10, v0
	v_cmp_eq_u32_e32 vcc, 1, v23
	v_cndmask_b32_e32 v21, v18, v19, vcc
	v_cmp_eq_u32_e32 vcc, 2, v23
	v_cndmask_b32_e32 v21, v21, v17, vcc
	;; [unrolled: 2-line block ×12, first 2 shown]
	v_mad_u64_u32 v[21:22], s[8:9], s2, 5, v[0:1]
	v_mov_b32_e32 v22, 0
	v_cmp_eq_u32_e32 vcc, 13, v23
	v_lshlrev_b64 v[21:22], 2, v[21:22]
	v_cndmask_b32_e32 v23, v24, v6, vcc
	v_mov_b32_e32 v24, s5
	v_add_co_u32_e32 v21, vcc, s4, v21
	v_addc_co_u32_e32 v22, vcc, v24, v22, vcc
	global_store_dword v[21:22], v23, off
.LBB70_17:
	s_or_b64 exec, exec, s[6:7]
	ds_bpermute_b32 v21, v1, v7
	ds_bpermute_b32 v1, v1, v6
	s_waitcnt lgkmcnt(1)
	v_add_f32_e32 v7, v7, v21
	s_waitcnt lgkmcnt(0)
	v_add_f32_e32 v1, v6, v1
	ds_bpermute_b32 v6, v2, v7
	ds_bpermute_b32 v2, v2, v1
	s_waitcnt lgkmcnt(1)
	v_add_f32_e32 v6, v7, v6
	s_waitcnt lgkmcnt(0)
	v_add_f32_e32 v1, v1, v2
	;; [unrolled: 6-line block ×5, first 2 shown]
	ds_bpermute_b32 v3, v20, v1
	ds_bpermute_b32 v4, v20, v2
	s_and_b64 exec, exec, s[0:1]
	s_cbranch_execz .LBB70_19
; %bb.18:
	s_waitcnt lgkmcnt(1)
	v_add_f32_e32 v1, v1, v3
	v_add_u32_e32 v3, 12, v0
	v_cmp_eq_u32_e32 vcc, 1, v3
	s_waitcnt lgkmcnt(0)
	v_add_f32_e32 v2, v2, v4
	v_cndmask_b32_e32 v4, v18, v19, vcc
	v_cmp_eq_u32_e32 vcc, 2, v3
	v_cndmask_b32_e32 v4, v4, v17, vcc
	v_cmp_eq_u32_e32 vcc, 3, v3
	;; [unrolled: 2-line block ×12, first 2 shown]
	s_mul_i32 s0, s2, 6
	v_cndmask_b32_e32 v2, v1, v2, vcc
	v_or_b32_e32 v0, s0, v0
	v_mov_b32_e32 v1, 0
	v_lshlrev_b64 v[0:1], 2, v[0:1]
	v_mov_b32_e32 v3, s5
	v_add_co_u32_e32 v0, vcc, s4, v0
	v_addc_co_u32_e32 v1, vcc, v3, v1, vcc
	global_store_dword v[0:1], v2, off
.LBB70_19:
	s_endpgm
	.section	.rodata,"a",@progbits
	.p2align	6, 0x0
	.amdhsa_kernel _ZL13mul_mat_vec_qIL9ggml_type8ELi7ELb0ELb0EEvPKvS2_PKi31ggml_cuda_mm_fusion_args_devicePfj15HIP_vector_typeIjLj3EEjjjS8_jjjS8_jjjj
		.amdhsa_group_segment_fixed_size 0
		.amdhsa_private_segment_fixed_size 0
		.amdhsa_kernarg_size 144
		.amdhsa_user_sgpr_count 6
		.amdhsa_user_sgpr_private_segment_buffer 1
		.amdhsa_user_sgpr_dispatch_ptr 0
		.amdhsa_user_sgpr_queue_ptr 0
		.amdhsa_user_sgpr_kernarg_segment_ptr 1
		.amdhsa_user_sgpr_dispatch_id 0
		.amdhsa_user_sgpr_flat_scratch_init 0
		.amdhsa_user_sgpr_private_segment_size 0
		.amdhsa_uses_dynamic_stack 0
		.amdhsa_system_sgpr_private_segment_wavefront_offset 0
		.amdhsa_system_sgpr_workgroup_id_x 1
		.amdhsa_system_sgpr_workgroup_id_y 1
		.amdhsa_system_sgpr_workgroup_id_z 1
		.amdhsa_system_sgpr_workgroup_info 0
		.amdhsa_system_vgpr_workitem_id 1
		.amdhsa_next_free_vgpr 35
		.amdhsa_next_free_sgpr 28
		.amdhsa_reserve_vcc 1
		.amdhsa_reserve_flat_scratch 0
		.amdhsa_float_round_mode_32 0
		.amdhsa_float_round_mode_16_64 0
		.amdhsa_float_denorm_mode_32 3
		.amdhsa_float_denorm_mode_16_64 3
		.amdhsa_dx10_clamp 1
		.amdhsa_ieee_mode 1
		.amdhsa_fp16_overflow 0
		.amdhsa_exception_fp_ieee_invalid_op 0
		.amdhsa_exception_fp_denorm_src 0
		.amdhsa_exception_fp_ieee_div_zero 0
		.amdhsa_exception_fp_ieee_overflow 0
		.amdhsa_exception_fp_ieee_underflow 0
		.amdhsa_exception_fp_ieee_inexact 0
		.amdhsa_exception_int_div_zero 0
	.end_amdhsa_kernel
	.section	.text._ZL13mul_mat_vec_qIL9ggml_type8ELi7ELb0ELb0EEvPKvS2_PKi31ggml_cuda_mm_fusion_args_devicePfj15HIP_vector_typeIjLj3EEjjjS8_jjjS8_jjjj,"axG",@progbits,_ZL13mul_mat_vec_qIL9ggml_type8ELi7ELb0ELb0EEvPKvS2_PKi31ggml_cuda_mm_fusion_args_devicePfj15HIP_vector_typeIjLj3EEjjjS8_jjjS8_jjjj,comdat
.Lfunc_end70:
	.size	_ZL13mul_mat_vec_qIL9ggml_type8ELi7ELb0ELb0EEvPKvS2_PKi31ggml_cuda_mm_fusion_args_devicePfj15HIP_vector_typeIjLj3EEjjjS8_jjjS8_jjjj, .Lfunc_end70-_ZL13mul_mat_vec_qIL9ggml_type8ELi7ELb0ELb0EEvPKvS2_PKi31ggml_cuda_mm_fusion_args_devicePfj15HIP_vector_typeIjLj3EEjjjS8_jjjS8_jjjj
                                        ; -- End function
	.set _ZL13mul_mat_vec_qIL9ggml_type8ELi7ELb0ELb0EEvPKvS2_PKi31ggml_cuda_mm_fusion_args_devicePfj15HIP_vector_typeIjLj3EEjjjS8_jjjS8_jjjj.num_vgpr, 35
	.set _ZL13mul_mat_vec_qIL9ggml_type8ELi7ELb0ELb0EEvPKvS2_PKi31ggml_cuda_mm_fusion_args_devicePfj15HIP_vector_typeIjLj3EEjjjS8_jjjS8_jjjj.num_agpr, 0
	.set _ZL13mul_mat_vec_qIL9ggml_type8ELi7ELb0ELb0EEvPKvS2_PKi31ggml_cuda_mm_fusion_args_devicePfj15HIP_vector_typeIjLj3EEjjjS8_jjjS8_jjjj.numbered_sgpr, 28
	.set _ZL13mul_mat_vec_qIL9ggml_type8ELi7ELb0ELb0EEvPKvS2_PKi31ggml_cuda_mm_fusion_args_devicePfj15HIP_vector_typeIjLj3EEjjjS8_jjjS8_jjjj.num_named_barrier, 0
	.set _ZL13mul_mat_vec_qIL9ggml_type8ELi7ELb0ELb0EEvPKvS2_PKi31ggml_cuda_mm_fusion_args_devicePfj15HIP_vector_typeIjLj3EEjjjS8_jjjS8_jjjj.private_seg_size, 0
	.set _ZL13mul_mat_vec_qIL9ggml_type8ELi7ELb0ELb0EEvPKvS2_PKi31ggml_cuda_mm_fusion_args_devicePfj15HIP_vector_typeIjLj3EEjjjS8_jjjS8_jjjj.uses_vcc, 1
	.set _ZL13mul_mat_vec_qIL9ggml_type8ELi7ELb0ELb0EEvPKvS2_PKi31ggml_cuda_mm_fusion_args_devicePfj15HIP_vector_typeIjLj3EEjjjS8_jjjS8_jjjj.uses_flat_scratch, 0
	.set _ZL13mul_mat_vec_qIL9ggml_type8ELi7ELb0ELb0EEvPKvS2_PKi31ggml_cuda_mm_fusion_args_devicePfj15HIP_vector_typeIjLj3EEjjjS8_jjjS8_jjjj.has_dyn_sized_stack, 0
	.set _ZL13mul_mat_vec_qIL9ggml_type8ELi7ELb0ELb0EEvPKvS2_PKi31ggml_cuda_mm_fusion_args_devicePfj15HIP_vector_typeIjLj3EEjjjS8_jjjS8_jjjj.has_recursion, 0
	.set _ZL13mul_mat_vec_qIL9ggml_type8ELi7ELb0ELb0EEvPKvS2_PKi31ggml_cuda_mm_fusion_args_devicePfj15HIP_vector_typeIjLj3EEjjjS8_jjjS8_jjjj.has_indirect_call, 0
	.section	.AMDGPU.csdata,"",@progbits
; Kernel info:
; codeLenInByte = 3828
; TotalNumSgprs: 32
; NumVgprs: 35
; ScratchSize: 0
; MemoryBound: 0
; FloatMode: 240
; IeeeMode: 1
; LDSByteSize: 0 bytes/workgroup (compile time only)
; SGPRBlocks: 3
; VGPRBlocks: 8
; NumSGPRsForWavesPerEU: 32
; NumVGPRsForWavesPerEU: 35
; Occupancy: 7
; WaveLimiterHint : 0
; COMPUTE_PGM_RSRC2:SCRATCH_EN: 0
; COMPUTE_PGM_RSRC2:USER_SGPR: 6
; COMPUTE_PGM_RSRC2:TRAP_HANDLER: 0
; COMPUTE_PGM_RSRC2:TGID_X_EN: 1
; COMPUTE_PGM_RSRC2:TGID_Y_EN: 1
; COMPUTE_PGM_RSRC2:TGID_Z_EN: 1
; COMPUTE_PGM_RSRC2:TIDIG_COMP_CNT: 1
	.section	.text._ZL13mul_mat_vec_qIL9ggml_type8ELi8ELb0ELb0EEvPKvS2_PKi31ggml_cuda_mm_fusion_args_devicePfj15HIP_vector_typeIjLj3EEjjjS8_jjjS8_jjjj,"axG",@progbits,_ZL13mul_mat_vec_qIL9ggml_type8ELi8ELb0ELb0EEvPKvS2_PKi31ggml_cuda_mm_fusion_args_devicePfj15HIP_vector_typeIjLj3EEjjjS8_jjjS8_jjjj,comdat
	.globl	_ZL13mul_mat_vec_qIL9ggml_type8ELi8ELb0ELb0EEvPKvS2_PKi31ggml_cuda_mm_fusion_args_devicePfj15HIP_vector_typeIjLj3EEjjjS8_jjjS8_jjjj ; -- Begin function _ZL13mul_mat_vec_qIL9ggml_type8ELi8ELb0ELb0EEvPKvS2_PKi31ggml_cuda_mm_fusion_args_devicePfj15HIP_vector_typeIjLj3EEjjjS8_jjjS8_jjjj
	.p2align	8
	.type	_ZL13mul_mat_vec_qIL9ggml_type8ELi8ELb0ELb0EEvPKvS2_PKi31ggml_cuda_mm_fusion_args_devicePfj15HIP_vector_typeIjLj3EEjjjS8_jjjS8_jjjj,@function
_ZL13mul_mat_vec_qIL9ggml_type8ELi8ELb0ELb0EEvPKvS2_PKi31ggml_cuda_mm_fusion_args_devicePfj15HIP_vector_typeIjLj3EEjjjS8_jjjS8_jjjj: ; @_ZL13mul_mat_vec_qIL9ggml_type8ELi8ELb0ELb0EEvPKvS2_PKi31ggml_cuda_mm_fusion_args_devicePfj15HIP_vector_typeIjLj3EEjjjS8_jjjS8_jjjj
; %bb.0:
	s_load_dword s9, s[4:5], 0x40
	s_load_dwordx4 s[0:3], s[4:5], 0x50
	s_load_dword s25, s[4:5], 0x60
	s_load_dwordx4 s[12:15], s[4:5], 0x68
	;; [unrolled: 2-line block ×3, first 2 shown]
	v_lshl_or_b32 v2, v1, 6, v0
	s_waitcnt lgkmcnt(0)
	s_lshr_b32 s9, s9, 5
	v_lshrrev_b32_e32 v22, 2, v2
	v_mov_b32_e32 v6, 0
	s_lshl_b32 s6, s6, 1
	v_cmp_gt_u32_e32 vcc, s9, v22
	v_mov_b32_e32 v7, v6
	v_mov_b32_e32 v8, v6
	;; [unrolled: 1-line block ×15, first 2 shown]
	s_and_saveexec_b64 s[10:11], vcc
	s_cbranch_execz .LBB71_4
; %bb.1:
	s_load_dwordx4 s[20:23], s[4:5], 0x0
	s_mul_i32 s17, s17, s8
	s_mul_hi_u32 s19, s17, 36
	s_mul_i32 s17, s17, 36
	s_mul_i32 s13, s13, s7
	s_waitcnt lgkmcnt(0)
	s_add_u32 s17, s22, s17
	s_addc_u32 s19, s23, s19
	s_mul_hi_u32 s23, s13, 36
	s_mul_i32 s13, s13, 36
	s_add_u32 s22, s17, s13
	s_mul_hi_u32 s3, s3, s7
	s_addc_u32 s23, s19, s23
	s_add_i32 s3, s7, s3
	s_lshr_b32 s3, s3, s25
	s_mul_i32 s3, s3, s12
	s_mul_hi_u32 s12, s15, s8
	s_add_i32 s12, s8, s12
	s_lshr_b32 s12, s12, s24
	s_mul_i32 s12, s12, s16
	v_lshlrev_b32_e32 v3, 1, v0
	s_add_i32 s13, s6, 1
	v_and_b32_e32 v4, 6, v3
	s_add_i32 s12, s12, s3
	s_mul_i32 s3, s6, s0
	s_mul_i32 s0, s0, s13
	v_and_b32_e32 v3, 3, v0
	v_lshrrev_b32_e32 v2, 2, v2
	s_add_i32 s3, s12, s3
	s_add_i32 s0, s12, s0
	v_lshlrev_b32_e32 v23, 3, v3
	v_mad_u64_u32 v[2:3], s[12:13], v2, 36, s[22:23]
	v_lshlrev_b32_e32 v5, 1, v4
	v_mov_b32_e32 v6, 0
	s_lshl_b32 s15, s1, 1
	s_mul_i32 s16, s1, 3
	s_lshl_b32 s17, s1, 2
	s_mul_i32 s19, s1, 5
	s_mul_i32 s24, s1, 6
	;; [unrolled: 1-line block ×3, first 2 shown]
	s_mov_b64 s[12:13], 0
	v_lshlrev_b32_e32 v24, 1, v5
	v_lshlrev_b32_e32 v25, 2, v4
	v_mov_b32_e32 v7, v6
	v_mov_b32_e32 v8, v6
	;; [unrolled: 1-line block ×15, first 2 shown]
.LBB71_2:                               ; =>This Inner Loop Header: Depth=1
	v_add_co_u32_e32 v4, vcc, v2, v23
	v_addc_co_u32_e32 v5, vcc, 0, v3, vcc
	global_load_dwordx2 v[28:29], v[4:5], off offset:4
	global_load_dword v27, v[2:3], off
	v_add_u32_e32 v26, s3, v22
	s_waitcnt vmcnt(0)
	v_cvt_f32_f16_e32 v34, v27
	v_mad_i64_i32 v[26:27], s[26:27], v26, 34, s[20:21]
	v_add_co_u32_e32 v30, vcc, v26, v24
	v_addc_co_u32_e32 v31, vcc, 0, v27, vcc
	global_load_dwordx2 v[4:5], v[30:31], off offset:2
	global_load_ushort v32, v[26:27], off
	s_waitcnt vmcnt(1)
	v_dot4_i32_i8 v26, v4, v28, 0
	s_waitcnt vmcnt(0)
	v_cvt_f32_f16_e32 v27, v32
	v_dot4_i32_i8 v26, v5, v29, v26
	v_cvt_f32_i32_e32 v26, v26
	v_mul_f32_e32 v30, v27, v34
	v_fmac_f32_e32 v21, v30, v26
	v_add_u32_e32 v26, s0, v22
	v_mad_i64_i32 v[30:31], s[26:27], v26, 34, s[20:21]
	v_add_co_u32_e32 v32, vcc, v30, v24
	v_addc_co_u32_e32 v33, vcc, 0, v31, vcc
	global_load_dwordx2 v[32:33], v[32:33], off offset:2
	s_nop 0
	global_load_ushort v26, v[30:31], off
	s_waitcnt vmcnt(1)
	v_dot4_i32_i8 v28, v32, v28, 0
	s_waitcnt vmcnt(0)
	v_cvt_f32_f16_e32 v26, v26
	v_dot4_i32_i8 v28, v33, v29, v28
	v_cvt_f32_i32_e32 v28, v28
	v_mul_f32_e32 v29, v26, v34
	v_fmac_f32_e32 v20, v29, v28
	v_add_u32_e32 v28, s1, v22
	v_mad_u64_u32 v[28:29], s[26:27], v28, 36, s[22:23]
	v_add_co_u32_e32 v30, vcc, v28, v25
	v_addc_co_u32_e32 v31, vcc, 0, v29, vcc
	global_load_dwordx2 v[30:31], v[30:31], off offset:4
	s_nop 0
	global_load_dword v28, v[28:29], off
	s_waitcnt vmcnt(1)
	v_dot4_i32_i8 v29, v4, v30, 0
	s_waitcnt vmcnt(0)
	v_cvt_f32_f16_e32 v28, v28
	v_dot4_i32_i8 v29, v5, v31, v29
	v_cvt_f32_i32_e32 v29, v29
	v_mul_f32_e32 v34, v27, v28
	v_mul_f32_e32 v28, v26, v28
	v_fmac_f32_e32 v19, v34, v29
	v_dot4_i32_i8 v29, v32, v30, 0
	v_dot4_i32_i8 v29, v33, v31, v29
	v_cvt_f32_i32_e32 v29, v29
	v_fmac_f32_e32 v18, v28, v29
	v_add_u32_e32 v28, s15, v22
	v_mad_u64_u32 v[28:29], s[26:27], v28, 36, s[22:23]
	v_add_co_u32_e32 v30, vcc, v28, v25
	v_addc_co_u32_e32 v31, vcc, 0, v29, vcc
	global_load_dwordx2 v[30:31], v[30:31], off offset:4
	s_nop 0
	global_load_dword v28, v[28:29], off
	s_waitcnt vmcnt(1)
	v_dot4_i32_i8 v29, v4, v30, 0
	s_waitcnt vmcnt(0)
	v_cvt_f32_f16_e32 v28, v28
	v_dot4_i32_i8 v29, v5, v31, v29
	v_cvt_f32_i32_e32 v29, v29
	v_mul_f32_e32 v34, v27, v28
	v_mul_f32_e32 v28, v26, v28
	v_fmac_f32_e32 v17, v34, v29
	v_dot4_i32_i8 v29, v32, v30, 0
	v_dot4_i32_i8 v29, v33, v31, v29
	v_cvt_f32_i32_e32 v29, v29
	;; [unrolled: 20-line block ×6, first 2 shown]
	v_fmac_f32_e32 v8, v28, v29
	v_add_u32_e32 v28, s25, v22
	v_mad_u64_u32 v[28:29], s[26:27], v28, 36, s[22:23]
	v_add_u32_e32 v22, 16, v22
	v_add_co_u32_e32 v30, vcc, v28, v25
	v_addc_co_u32_e32 v31, vcc, 0, v29, vcc
	global_load_dwordx2 v[30:31], v[30:31], off offset:4
	s_nop 0
	global_load_dword v28, v[28:29], off
	v_add_co_u32_e32 v2, vcc, 0x240, v2
	v_addc_co_u32_e32 v3, vcc, 0, v3, vcc
	v_cmp_le_u32_e32 vcc, s9, v22
	s_or_b64 s[12:13], vcc, s[12:13]
	s_waitcnt vmcnt(1)
	v_dot4_i32_i8 v4, v4, v30, 0
	s_waitcnt vmcnt(0)
	v_cvt_f32_f16_e32 v28, v28
	v_dot4_i32_i8 v4, v5, v31, v4
	v_cvt_f32_i32_e32 v4, v4
	v_mul_f32_e32 v5, v27, v28
	v_fmac_f32_e32 v7, v5, v4
	v_dot4_i32_i8 v4, v32, v30, 0
	v_dot4_i32_i8 v4, v33, v31, v4
	v_cvt_f32_i32_e32 v4, v4
	v_mul_f32_e32 v5, v26, v28
	v_fmac_f32_e32 v6, v5, v4
	s_andn2_b64 exec, exec, s[12:13]
	s_cbranch_execnz .LBB71_2
; %bb.3:
	s_or_b64 exec, exec, s[12:13]
.LBB71_4:
	s_or_b64 exec, exec, s[10:11]
	s_mov_b32 s1, 0
	v_cmp_eq_u32_e32 vcc, 0, v1
	; wave barrier
	s_and_saveexec_b64 s[10:11], vcc
	s_cbranch_execz .LBB71_21
; %bb.5:
	v_mbcnt_lo_u32_b32 v1, -1, 0
	v_mbcnt_hi_u32_b32 v22, -1, v1
	v_and_b32_e32 v1, 64, v22
	v_add_u32_e32 v23, 64, v1
	v_xor_b32_e32 v1, 32, v22
	v_cmp_lt_i32_e32 vcc, v1, v23
	v_cndmask_b32_e32 v1, v22, v1, vcc
	v_lshlrev_b32_e32 v1, 2, v1
	ds_bpermute_b32 v5, v1, v21
	ds_bpermute_b32 v24, v1, v20
	v_xor_b32_e32 v2, 16, v22
	v_cmp_lt_i32_e32 vcc, v2, v23
	v_cndmask_b32_e32 v2, v22, v2, vcc
	v_lshlrev_b32_e32 v2, 2, v2
	s_waitcnt lgkmcnt(1)
	v_add_f32_e32 v5, v21, v5
	s_waitcnt lgkmcnt(0)
	v_add_f32_e32 v20, v20, v24
	ds_bpermute_b32 v21, v2, v5
	ds_bpermute_b32 v24, v2, v20
	v_xor_b32_e32 v3, 8, v22
	v_cmp_lt_i32_e32 vcc, v3, v23
	v_cndmask_b32_e32 v3, v22, v3, vcc
	v_lshlrev_b32_e32 v3, 2, v3
	s_waitcnt lgkmcnt(1)
	v_add_f32_e32 v21, v5, v21
	s_waitcnt lgkmcnt(0)
	v_add_f32_e32 v20, v20, v24
	;; [unrolled: 10-line block ×3, first 2 shown]
	ds_bpermute_b32 v26, v4, v21
	ds_bpermute_b32 v24, v4, v20
	v_xor_b32_e32 v25, 2, v22
	v_cmp_lt_i32_e32 vcc, v25, v23
	v_cndmask_b32_e32 v25, v22, v25, vcc
	v_lshlrev_b32_e32 v5, 2, v25
	v_xor_b32_e32 v25, 1, v22
	s_waitcnt lgkmcnt(1)
	v_add_f32_e32 v21, v21, v26
	s_waitcnt lgkmcnt(0)
	v_add_f32_e32 v20, v20, v24
	v_cmp_lt_i32_e32 vcc, v25, v23
	ds_bpermute_b32 v23, v5, v21
	ds_bpermute_b32 v24, v5, v20
	s_load_dwordx2 s[4:5], s[4:5], 0x38
	v_cndmask_b32_e32 v22, v22, v25, vcc
	s_mul_i32 s3, s14, s7
	v_lshlrev_b32_e32 v22, 2, v22
	s_waitcnt lgkmcnt(0)
	v_add_f32_e32 v21, v21, v23
	v_add_f32_e32 v24, v20, v24
	s_mul_i32 s0, s18, s8
	s_add_i32 s3, s3, s6
	ds_bpermute_b32 v23, v22, v21
	ds_bpermute_b32 v25, v22, v24
	s_add_i32 s0, s3, s0
	s_lshl_b64 s[0:1], s[0:1], 2
	s_add_u32 s4, s4, s0
	v_add_u32_e32 v20, s6, v0
	s_addc_u32 s5, s5, s1
	v_cmp_gt_u32_e32 vcc, 2, v0
	v_cmp_gt_u32_e64 s[0:1], s2, v20
	s_and_b64 s[0:1], vcc, s[0:1]
	s_waitcnt lgkmcnt(1)
	v_add_f32_e32 v20, v21, v23
	s_waitcnt lgkmcnt(0)
	v_add_f32_e32 v21, v24, v25
	s_and_saveexec_b64 s[6:7], s[0:1]
	s_cbranch_execz .LBB71_7
; %bb.6:
	v_cmp_eq_u32_e32 vcc, 1, v0
	v_cndmask_b32_e32 v23, v20, v21, vcc
	v_cmp_eq_u32_e32 vcc, 2, v0
	v_cndmask_b32_e32 v23, v23, v19, vcc
	;; [unrolled: 2-line block ×15, first 2 shown]
	v_lshlrev_b32_e32 v24, 2, v0
	global_store_dword v24, v23, s[4:5]
.LBB71_7:
	s_or_b64 exec, exec, s[6:7]
	ds_bpermute_b32 v23, v1, v19
	ds_bpermute_b32 v24, v1, v18
	s_waitcnt lgkmcnt(1)
	v_add_f32_e32 v19, v19, v23
	s_waitcnt lgkmcnt(0)
	v_add_f32_e32 v18, v18, v24
	ds_bpermute_b32 v23, v2, v19
	ds_bpermute_b32 v24, v2, v18
	s_waitcnt lgkmcnt(1)
	v_add_f32_e32 v19, v19, v23
	s_waitcnt lgkmcnt(0)
	v_add_f32_e32 v18, v18, v24
	;; [unrolled: 6-line block ×6, first 2 shown]
	s_and_saveexec_b64 s[6:7], s[0:1]
	s_cbranch_execz .LBB71_9
; %bb.8:
	v_add_u32_e32 v23, 2, v0
	v_cmp_eq_u32_e32 vcc, 1, v23
	v_cndmask_b32_e32 v24, v20, v21, vcc
	v_cmp_eq_u32_e32 vcc, 2, v23
	v_cndmask_b32_e32 v24, v24, v19, vcc
	;; [unrolled: 2-line block ×15, first 2 shown]
	v_add_u32_e32 v23, s2, v0
	v_mov_b32_e32 v24, 0
	v_lshlrev_b64 v[23:24], 2, v[23:24]
	v_mov_b32_e32 v26, s5
	v_add_co_u32_e32 v23, vcc, s4, v23
	v_addc_co_u32_e32 v24, vcc, v26, v24, vcc
	global_store_dword v[23:24], v25, off
.LBB71_9:
	s_or_b64 exec, exec, s[6:7]
	ds_bpermute_b32 v23, v1, v17
	ds_bpermute_b32 v24, v1, v16
	s_waitcnt lgkmcnt(1)
	v_add_f32_e32 v17, v17, v23
	s_waitcnt lgkmcnt(0)
	v_add_f32_e32 v16, v16, v24
	ds_bpermute_b32 v23, v2, v17
	ds_bpermute_b32 v24, v2, v16
	s_waitcnt lgkmcnt(1)
	v_add_f32_e32 v17, v17, v23
	s_waitcnt lgkmcnt(0)
	v_add_f32_e32 v16, v16, v24
	;; [unrolled: 6-line block ×6, first 2 shown]
	s_and_saveexec_b64 s[6:7], s[0:1]
	s_cbranch_execz .LBB71_11
; %bb.10:
	v_add_u32_e32 v23, 4, v0
	v_cmp_eq_u32_e32 vcc, 1, v23
	v_cndmask_b32_e32 v24, v20, v21, vcc
	v_cmp_eq_u32_e32 vcc, 2, v23
	v_cndmask_b32_e32 v24, v24, v19, vcc
	;; [unrolled: 2-line block ×15, first 2 shown]
	v_lshl_or_b32 v23, s2, 1, v0
	v_mov_b32_e32 v24, 0
	v_lshlrev_b64 v[23:24], 2, v[23:24]
	v_mov_b32_e32 v26, s5
	v_add_co_u32_e32 v23, vcc, s4, v23
	v_addc_co_u32_e32 v24, vcc, v26, v24, vcc
	global_store_dword v[23:24], v25, off
.LBB71_11:
	s_or_b64 exec, exec, s[6:7]
	ds_bpermute_b32 v23, v1, v15
	ds_bpermute_b32 v24, v1, v14
	s_waitcnt lgkmcnt(1)
	v_add_f32_e32 v15, v15, v23
	s_waitcnt lgkmcnt(0)
	v_add_f32_e32 v14, v14, v24
	ds_bpermute_b32 v23, v2, v15
	ds_bpermute_b32 v24, v2, v14
	s_waitcnt lgkmcnt(1)
	v_add_f32_e32 v15, v15, v23
	s_waitcnt lgkmcnt(0)
	v_add_f32_e32 v14, v14, v24
	;; [unrolled: 6-line block ×6, first 2 shown]
	s_and_saveexec_b64 s[6:7], s[0:1]
	s_cbranch_execz .LBB71_13
; %bb.12:
	v_add_u32_e32 v25, 6, v0
	v_cmp_eq_u32_e32 vcc, 1, v25
	v_cndmask_b32_e32 v23, v20, v21, vcc
	v_cmp_eq_u32_e32 vcc, 2, v25
	v_cndmask_b32_e32 v23, v23, v19, vcc
	;; [unrolled: 2-line block ×14, first 2 shown]
	v_mad_u64_u32 v[23:24], s[8:9], s2, 3, v[0:1]
	v_mov_b32_e32 v24, 0
	v_cmp_eq_u32_e32 vcc, 15, v25
	v_lshlrev_b64 v[23:24], 2, v[23:24]
	v_cndmask_b32_e32 v25, v26, v6, vcc
	v_mov_b32_e32 v26, s5
	v_add_co_u32_e32 v23, vcc, s4, v23
	v_addc_co_u32_e32 v24, vcc, v26, v24, vcc
	global_store_dword v[23:24], v25, off
.LBB71_13:
	s_or_b64 exec, exec, s[6:7]
	ds_bpermute_b32 v23, v1, v13
	ds_bpermute_b32 v24, v1, v12
	s_waitcnt lgkmcnt(1)
	v_add_f32_e32 v13, v13, v23
	s_waitcnt lgkmcnt(0)
	v_add_f32_e32 v12, v12, v24
	ds_bpermute_b32 v23, v2, v13
	ds_bpermute_b32 v24, v2, v12
	s_waitcnt lgkmcnt(1)
	v_add_f32_e32 v13, v13, v23
	s_waitcnt lgkmcnt(0)
	v_add_f32_e32 v12, v12, v24
	ds_bpermute_b32 v23, v3, v13
	ds_bpermute_b32 v24, v3, v12
	s_waitcnt lgkmcnt(1)
	v_add_f32_e32 v13, v13, v23
	s_waitcnt lgkmcnt(0)
	v_add_f32_e32 v12, v12, v24
	ds_bpermute_b32 v23, v4, v13
	ds_bpermute_b32 v24, v4, v12
	s_waitcnt lgkmcnt(1)
	v_add_f32_e32 v13, v13, v23
	s_waitcnt lgkmcnt(0)
	v_add_f32_e32 v12, v12, v24
	ds_bpermute_b32 v23, v5, v13
	ds_bpermute_b32 v24, v5, v12
	s_waitcnt lgkmcnt(1)
	v_add_f32_e32 v13, v13, v23
	s_waitcnt lgkmcnt(0)
	v_add_f32_e32 v12, v12, v24
	ds_bpermute_b32 v23, v22, v13
	ds_bpermute_b32 v24, v22, v12
	s_waitcnt lgkmcnt(1)
	v_add_f32_e32 v13, v13, v23
	s_waitcnt lgkmcnt(0)
	v_add_f32_e32 v12, v12, v24
	s_and_saveexec_b64 s[6:7], s[0:1]
	s_cbranch_execz .LBB71_15
; %bb.14:
	v_add_u32_e32 v23, 8, v0
	v_cmp_eq_u32_e32 vcc, 1, v23
	v_cndmask_b32_e32 v24, v20, v21, vcc
	v_cmp_eq_u32_e32 vcc, 2, v23
	v_cndmask_b32_e32 v24, v24, v19, vcc
	;; [unrolled: 2-line block ×15, first 2 shown]
	v_lshl_or_b32 v23, s2, 2, v0
	v_mov_b32_e32 v24, 0
	v_lshlrev_b64 v[23:24], 2, v[23:24]
	v_mov_b32_e32 v26, s5
	v_add_co_u32_e32 v23, vcc, s4, v23
	v_addc_co_u32_e32 v24, vcc, v26, v24, vcc
	global_store_dword v[23:24], v25, off
.LBB71_15:
	s_or_b64 exec, exec, s[6:7]
	ds_bpermute_b32 v23, v1, v11
	ds_bpermute_b32 v24, v1, v10
	s_waitcnt lgkmcnt(1)
	v_add_f32_e32 v11, v11, v23
	s_waitcnt lgkmcnt(0)
	v_add_f32_e32 v10, v10, v24
	ds_bpermute_b32 v23, v2, v11
	ds_bpermute_b32 v24, v2, v10
	s_waitcnt lgkmcnt(1)
	v_add_f32_e32 v11, v11, v23
	s_waitcnt lgkmcnt(0)
	v_add_f32_e32 v10, v10, v24
	ds_bpermute_b32 v23, v3, v11
	ds_bpermute_b32 v24, v3, v10
	s_waitcnt lgkmcnt(1)
	v_add_f32_e32 v11, v11, v23
	s_waitcnt lgkmcnt(0)
	v_add_f32_e32 v10, v10, v24
	ds_bpermute_b32 v23, v4, v11
	ds_bpermute_b32 v24, v4, v10
	s_waitcnt lgkmcnt(1)
	v_add_f32_e32 v11, v11, v23
	s_waitcnt lgkmcnt(0)
	v_add_f32_e32 v10, v10, v24
	ds_bpermute_b32 v23, v5, v11
	ds_bpermute_b32 v24, v5, v10
	s_waitcnt lgkmcnt(1)
	v_add_f32_e32 v11, v11, v23
	s_waitcnt lgkmcnt(0)
	v_add_f32_e32 v10, v10, v24
	ds_bpermute_b32 v23, v22, v11
	ds_bpermute_b32 v24, v22, v10
	s_waitcnt lgkmcnt(1)
	v_add_f32_e32 v11, v11, v23
	s_waitcnt lgkmcnt(0)
	v_add_f32_e32 v10, v10, v24
	s_and_saveexec_b64 s[6:7], s[0:1]
	s_cbranch_execz .LBB71_17
; %bb.16:
	v_add_u32_e32 v25, 10, v0
	v_cmp_eq_u32_e32 vcc, 1, v25
	v_cndmask_b32_e32 v23, v20, v21, vcc
	v_cmp_eq_u32_e32 vcc, 2, v25
	v_cndmask_b32_e32 v23, v23, v19, vcc
	;; [unrolled: 2-line block ×14, first 2 shown]
	v_mad_u64_u32 v[23:24], s[8:9], s2, 5, v[0:1]
	v_mov_b32_e32 v24, 0
	v_cmp_eq_u32_e32 vcc, 15, v25
	v_lshlrev_b64 v[23:24], 2, v[23:24]
	v_cndmask_b32_e32 v25, v26, v6, vcc
	v_mov_b32_e32 v26, s5
	v_add_co_u32_e32 v23, vcc, s4, v23
	v_addc_co_u32_e32 v24, vcc, v26, v24, vcc
	global_store_dword v[23:24], v25, off
.LBB71_17:
	s_or_b64 exec, exec, s[6:7]
	ds_bpermute_b32 v23, v1, v9
	ds_bpermute_b32 v24, v1, v8
	s_waitcnt lgkmcnt(1)
	v_add_f32_e32 v9, v9, v23
	s_waitcnt lgkmcnt(0)
	v_add_f32_e32 v8, v8, v24
	ds_bpermute_b32 v23, v2, v9
	ds_bpermute_b32 v24, v2, v8
	s_waitcnt lgkmcnt(1)
	v_add_f32_e32 v9, v9, v23
	s_waitcnt lgkmcnt(0)
	v_add_f32_e32 v8, v8, v24
	;; [unrolled: 6-line block ×6, first 2 shown]
	s_and_saveexec_b64 s[6:7], s[0:1]
	s_cbranch_execz .LBB71_19
; %bb.18:
	v_add_u32_e32 v23, 12, v0
	v_cmp_eq_u32_e32 vcc, 1, v23
	v_cndmask_b32_e32 v24, v20, v21, vcc
	v_cmp_eq_u32_e32 vcc, 2, v23
	v_cndmask_b32_e32 v24, v24, v19, vcc
	v_cmp_eq_u32_e32 vcc, 3, v23
	v_cndmask_b32_e32 v24, v24, v18, vcc
	v_cmp_eq_u32_e32 vcc, 4, v23
	v_cndmask_b32_e32 v24, v24, v17, vcc
	v_cmp_eq_u32_e32 vcc, 5, v23
	v_cndmask_b32_e32 v24, v24, v16, vcc
	v_cmp_eq_u32_e32 vcc, 6, v23
	v_cndmask_b32_e32 v24, v24, v15, vcc
	v_cmp_eq_u32_e32 vcc, 7, v23
	v_cndmask_b32_e32 v24, v24, v14, vcc
	v_cmp_eq_u32_e32 vcc, 8, v23
	v_cndmask_b32_e32 v24, v24, v13, vcc
	v_cmp_eq_u32_e32 vcc, 9, v23
	v_cndmask_b32_e32 v24, v24, v12, vcc
	v_cmp_eq_u32_e32 vcc, 10, v23
	v_cndmask_b32_e32 v24, v24, v11, vcc
	v_cmp_eq_u32_e32 vcc, 11, v23
	v_cndmask_b32_e32 v24, v24, v10, vcc
	v_cmp_eq_u32_e32 vcc, 12, v23
	v_cndmask_b32_e32 v24, v24, v9, vcc
	v_cmp_eq_u32_e32 vcc, 13, v23
	v_cndmask_b32_e32 v24, v24, v8, vcc
	v_cmp_eq_u32_e32 vcc, 14, v23
	v_cndmask_b32_e32 v24, v24, v7, vcc
	v_cmp_eq_u32_e32 vcc, 15, v23
	s_mul_i32 s3, s2, 6
	v_cndmask_b32_e32 v25, v24, v6, vcc
	v_or_b32_e32 v23, s3, v0
	v_mov_b32_e32 v24, 0
	v_lshlrev_b64 v[23:24], 2, v[23:24]
	v_mov_b32_e32 v26, s5
	v_add_co_u32_e32 v23, vcc, s4, v23
	v_addc_co_u32_e32 v24, vcc, v26, v24, vcc
	global_store_dword v[23:24], v25, off
.LBB71_19:
	s_or_b64 exec, exec, s[6:7]
	ds_bpermute_b32 v23, v1, v7
	ds_bpermute_b32 v1, v1, v6
	s_waitcnt lgkmcnt(1)
	v_add_f32_e32 v7, v7, v23
	s_waitcnt lgkmcnt(0)
	v_add_f32_e32 v1, v6, v1
	ds_bpermute_b32 v6, v2, v7
	ds_bpermute_b32 v2, v2, v1
	s_waitcnt lgkmcnt(1)
	v_add_f32_e32 v6, v7, v6
	s_waitcnt lgkmcnt(0)
	v_add_f32_e32 v1, v1, v2
	;; [unrolled: 6-line block ×5, first 2 shown]
	ds_bpermute_b32 v3, v22, v1
	ds_bpermute_b32 v4, v22, v2
	s_and_b64 exec, exec, s[0:1]
	s_cbranch_execz .LBB71_21
; %bb.20:
	s_waitcnt lgkmcnt(1)
	v_add_f32_e32 v1, v1, v3
	v_add_u32_e32 v3, 14, v0
	v_cmp_eq_u32_e32 vcc, 1, v3
	s_waitcnt lgkmcnt(0)
	v_add_f32_e32 v2, v2, v4
	v_cndmask_b32_e32 v4, v20, v21, vcc
	v_cmp_eq_u32_e32 vcc, 2, v3
	v_cndmask_b32_e32 v4, v4, v19, vcc
	v_cmp_eq_u32_e32 vcc, 3, v3
	v_cndmask_b32_e32 v4, v4, v18, vcc
	v_cmp_eq_u32_e32 vcc, 4, v3
	v_cndmask_b32_e32 v4, v4, v17, vcc
	v_cmp_eq_u32_e32 vcc, 5, v3
	v_cndmask_b32_e32 v4, v4, v16, vcc
	v_cmp_eq_u32_e32 vcc, 6, v3
	v_cndmask_b32_e32 v4, v4, v15, vcc
	v_cmp_eq_u32_e32 vcc, 7, v3
	v_cndmask_b32_e32 v4, v4, v14, vcc
	v_cmp_eq_u32_e32 vcc, 8, v3
	v_cndmask_b32_e32 v4, v4, v13, vcc
	v_cmp_eq_u32_e32 vcc, 9, v3
	v_cndmask_b32_e32 v4, v4, v12, vcc
	v_cmp_eq_u32_e32 vcc, 10, v3
	v_cndmask_b32_e32 v4, v4, v11, vcc
	v_cmp_eq_u32_e32 vcc, 11, v3
	v_cndmask_b32_e32 v4, v4, v10, vcc
	v_cmp_eq_u32_e32 vcc, 12, v3
	v_cndmask_b32_e32 v4, v4, v9, vcc
	v_cmp_eq_u32_e32 vcc, 13, v3
	v_cndmask_b32_e32 v4, v4, v8, vcc
	v_cmp_eq_u32_e32 vcc, 14, v3
	v_cndmask_b32_e32 v4, v4, v1, vcc
	v_mad_u64_u32 v[0:1], s[0:1], s2, 7, v[0:1]
	v_mov_b32_e32 v1, 0
	v_cmp_eq_u32_e32 vcc, 15, v3
	v_lshlrev_b64 v[0:1], 2, v[0:1]
	v_cndmask_b32_e32 v2, v4, v2, vcc
	v_mov_b32_e32 v3, s5
	v_add_co_u32_e32 v0, vcc, s4, v0
	v_addc_co_u32_e32 v1, vcc, v3, v1, vcc
	global_store_dword v[0:1], v2, off
.LBB71_21:
	s_endpgm
	.section	.rodata,"a",@progbits
	.p2align	6, 0x0
	.amdhsa_kernel _ZL13mul_mat_vec_qIL9ggml_type8ELi8ELb0ELb0EEvPKvS2_PKi31ggml_cuda_mm_fusion_args_devicePfj15HIP_vector_typeIjLj3EEjjjS8_jjjS8_jjjj
		.amdhsa_group_segment_fixed_size 0
		.amdhsa_private_segment_fixed_size 0
		.amdhsa_kernarg_size 144
		.amdhsa_user_sgpr_count 6
		.amdhsa_user_sgpr_private_segment_buffer 1
		.amdhsa_user_sgpr_dispatch_ptr 0
		.amdhsa_user_sgpr_queue_ptr 0
		.amdhsa_user_sgpr_kernarg_segment_ptr 1
		.amdhsa_user_sgpr_dispatch_id 0
		.amdhsa_user_sgpr_flat_scratch_init 0
		.amdhsa_user_sgpr_private_segment_size 0
		.amdhsa_uses_dynamic_stack 0
		.amdhsa_system_sgpr_private_segment_wavefront_offset 0
		.amdhsa_system_sgpr_workgroup_id_x 1
		.amdhsa_system_sgpr_workgroup_id_y 1
		.amdhsa_system_sgpr_workgroup_id_z 1
		.amdhsa_system_sgpr_workgroup_info 0
		.amdhsa_system_vgpr_workitem_id 1
		.amdhsa_next_free_vgpr 35
		.amdhsa_next_free_sgpr 28
		.amdhsa_reserve_vcc 1
		.amdhsa_reserve_flat_scratch 0
		.amdhsa_float_round_mode_32 0
		.amdhsa_float_round_mode_16_64 0
		.amdhsa_float_denorm_mode_32 3
		.amdhsa_float_denorm_mode_16_64 3
		.amdhsa_dx10_clamp 1
		.amdhsa_ieee_mode 1
		.amdhsa_fp16_overflow 0
		.amdhsa_exception_fp_ieee_invalid_op 0
		.amdhsa_exception_fp_denorm_src 0
		.amdhsa_exception_fp_ieee_div_zero 0
		.amdhsa_exception_fp_ieee_overflow 0
		.amdhsa_exception_fp_ieee_underflow 0
		.amdhsa_exception_fp_ieee_inexact 0
		.amdhsa_exception_int_div_zero 0
	.end_amdhsa_kernel
	.section	.text._ZL13mul_mat_vec_qIL9ggml_type8ELi8ELb0ELb0EEvPKvS2_PKi31ggml_cuda_mm_fusion_args_devicePfj15HIP_vector_typeIjLj3EEjjjS8_jjjS8_jjjj,"axG",@progbits,_ZL13mul_mat_vec_qIL9ggml_type8ELi8ELb0ELb0EEvPKvS2_PKi31ggml_cuda_mm_fusion_args_devicePfj15HIP_vector_typeIjLj3EEjjjS8_jjjS8_jjjj,comdat
.Lfunc_end71:
	.size	_ZL13mul_mat_vec_qIL9ggml_type8ELi8ELb0ELb0EEvPKvS2_PKi31ggml_cuda_mm_fusion_args_devicePfj15HIP_vector_typeIjLj3EEjjjS8_jjjS8_jjjj, .Lfunc_end71-_ZL13mul_mat_vec_qIL9ggml_type8ELi8ELb0ELb0EEvPKvS2_PKi31ggml_cuda_mm_fusion_args_devicePfj15HIP_vector_typeIjLj3EEjjjS8_jjjS8_jjjj
                                        ; -- End function
	.set _ZL13mul_mat_vec_qIL9ggml_type8ELi8ELb0ELb0EEvPKvS2_PKi31ggml_cuda_mm_fusion_args_devicePfj15HIP_vector_typeIjLj3EEjjjS8_jjjS8_jjjj.num_vgpr, 35
	.set _ZL13mul_mat_vec_qIL9ggml_type8ELi8ELb0ELb0EEvPKvS2_PKi31ggml_cuda_mm_fusion_args_devicePfj15HIP_vector_typeIjLj3EEjjjS8_jjjS8_jjjj.num_agpr, 0
	.set _ZL13mul_mat_vec_qIL9ggml_type8ELi8ELb0ELb0EEvPKvS2_PKi31ggml_cuda_mm_fusion_args_devicePfj15HIP_vector_typeIjLj3EEjjjS8_jjjS8_jjjj.numbered_sgpr, 28
	.set _ZL13mul_mat_vec_qIL9ggml_type8ELi8ELb0ELb0EEvPKvS2_PKi31ggml_cuda_mm_fusion_args_devicePfj15HIP_vector_typeIjLj3EEjjjS8_jjjS8_jjjj.num_named_barrier, 0
	.set _ZL13mul_mat_vec_qIL9ggml_type8ELi8ELb0ELb0EEvPKvS2_PKi31ggml_cuda_mm_fusion_args_devicePfj15HIP_vector_typeIjLj3EEjjjS8_jjjS8_jjjj.private_seg_size, 0
	.set _ZL13mul_mat_vec_qIL9ggml_type8ELi8ELb0ELb0EEvPKvS2_PKi31ggml_cuda_mm_fusion_args_devicePfj15HIP_vector_typeIjLj3EEjjjS8_jjjS8_jjjj.uses_vcc, 1
	.set _ZL13mul_mat_vec_qIL9ggml_type8ELi8ELb0ELb0EEvPKvS2_PKi31ggml_cuda_mm_fusion_args_devicePfj15HIP_vector_typeIjLj3EEjjjS8_jjjS8_jjjj.uses_flat_scratch, 0
	.set _ZL13mul_mat_vec_qIL9ggml_type8ELi8ELb0ELb0EEvPKvS2_PKi31ggml_cuda_mm_fusion_args_devicePfj15HIP_vector_typeIjLj3EEjjjS8_jjjS8_jjjj.has_dyn_sized_stack, 0
	.set _ZL13mul_mat_vec_qIL9ggml_type8ELi8ELb0ELb0EEvPKvS2_PKi31ggml_cuda_mm_fusion_args_devicePfj15HIP_vector_typeIjLj3EEjjjS8_jjjS8_jjjj.has_recursion, 0
	.set _ZL13mul_mat_vec_qIL9ggml_type8ELi8ELb0ELb0EEvPKvS2_PKi31ggml_cuda_mm_fusion_args_devicePfj15HIP_vector_typeIjLj3EEjjjS8_jjjS8_jjjj.has_indirect_call, 0
	.section	.AMDGPU.csdata,"",@progbits
; Kernel info:
; codeLenInByte = 4468
; TotalNumSgprs: 32
; NumVgprs: 35
; ScratchSize: 0
; MemoryBound: 0
; FloatMode: 240
; IeeeMode: 1
; LDSByteSize: 0 bytes/workgroup (compile time only)
; SGPRBlocks: 3
; VGPRBlocks: 8
; NumSGPRsForWavesPerEU: 32
; NumVGPRsForWavesPerEU: 35
; Occupancy: 7
; WaveLimiterHint : 0
; COMPUTE_PGM_RSRC2:SCRATCH_EN: 0
; COMPUTE_PGM_RSRC2:USER_SGPR: 6
; COMPUTE_PGM_RSRC2:TRAP_HANDLER: 0
; COMPUTE_PGM_RSRC2:TGID_X_EN: 1
; COMPUTE_PGM_RSRC2:TGID_Y_EN: 1
; COMPUTE_PGM_RSRC2:TGID_Z_EN: 1
; COMPUTE_PGM_RSRC2:TIDIG_COMP_CNT: 1
	.section	.text._ZL17mul_mat_vec_q_moeIL9ggml_type39ELi2EEvPKvS2_PKiPfj15HIP_vector_typeIjLj3EEjjjjjjjjj,"axG",@progbits,_ZL17mul_mat_vec_q_moeIL9ggml_type39ELi2EEvPKvS2_PKiPfj15HIP_vector_typeIjLj3EEjjjjjjjjj,comdat
	.globl	_ZL17mul_mat_vec_q_moeIL9ggml_type39ELi2EEvPKvS2_PKiPfj15HIP_vector_typeIjLj3EEjjjjjjjjj ; -- Begin function _ZL17mul_mat_vec_q_moeIL9ggml_type39ELi2EEvPKvS2_PKiPfj15HIP_vector_typeIjLj3EEjjjjjjjjj
	.p2align	8
	.type	_ZL17mul_mat_vec_q_moeIL9ggml_type39ELi2EEvPKvS2_PKiPfj15HIP_vector_typeIjLj3EEjjjjjjjjj,@function
_ZL17mul_mat_vec_q_moeIL9ggml_type39ELi2EEvPKvS2_PKiPfj15HIP_vector_typeIjLj3EEjjjjjjjjj: ; @_ZL17mul_mat_vec_q_moeIL9ggml_type39ELi2EEvPKvS2_PKiPfj15HIP_vector_typeIjLj3EEjjjjjjjjj
; %bb.0:
	s_load_dwordx8 s[8:15], s[4:5], 0x30
	s_waitcnt lgkmcnt(0)
	v_cmp_gt_u32_e32 vcc, s15, v1
	s_and_saveexec_b64 s[0:1], vcc
	s_cbranch_execz .LBB72_7
; %bb.1:
	s_load_dword s1, s[4:5], 0x20
	s_load_dword s0, s[4:5], 0x50
	s_load_dwordx8 s[16:23], s[4:5], 0x0
	v_lshrrev_b32_e32 v6, 1, v0
	s_lshl_b32 s6, s6, 1
	s_waitcnt lgkmcnt(0)
	s_lshr_b32 s15, s1, 5
	v_cmp_gt_u32_e32 vcc, s15, v6
	v_mov_b32_e32 v2, 0
	v_mov_b32_e32 v3, 0
	s_and_saveexec_b64 s[24:25], vcc
	s_cbranch_execz .LBB72_5
; %bb.2:
	v_mul_lo_u32 v2, s0, v1
	v_mov_b32_e32 v3, 0
	v_mov_b32_e32 v7, s21
	s_load_dwordx4 s[0:3], s[4:5], 0x24
	v_add_u32_e32 v2, s7, v2
	v_lshlrev_b64 v[4:5], 2, v[2:3]
	s_add_i32 s4, s6, 1
	v_add_co_u32_e32 v4, vcc, s20, v4
	v_addc_co_u32_e32 v5, vcc, v7, v5, vcc
	global_load_dword v2, v[4:5], off
	v_mul_lo_u32 v4, s10, v1
	v_lshlrev_b32_e32 v5, 3, v0
	s_waitcnt lgkmcnt(0)
	s_mul_i32 s3, s6, s9
	v_and_b32_e32 v10, 8, v5
	s_mul_i32 s9, s9, s4
	v_mad_u64_u32 v[4:5], s[4:5], v4, 36, 0
	s_mul_hi_u32 s0, s0, s7
	s_add_i32 s0, s7, s0
	v_lshrrev_b32_e32 v12, 1, v0
	s_lshr_b32 s0, s0, s1
	s_mul_i32 s2, s0, s2
	v_mad_u64_u32 v[4:5], s[0:1], v12, 36, v[4:5]
	s_sub_i32 s0, s7, s2
	s_mul_i32 s0, s0, s13
	s_mul_hi_u32 s1, s0, 36
	s_mul_i32 s0, s0, 36
	s_add_u32 s0, s18, s0
	s_addc_u32 s1, s19, s1
	v_and_b32_e32 v11, 1, v0
	v_mov_b32_e32 v12, s1
	v_add_co_u32_e32 v4, vcc, s0, v4
	s_mov_b64 s[20:21], 0
	s_mov_b32 s10, 0xc080604
	s_mov_b32 s26, 0xf4f8fafc
	v_mov_b32_e32 v7, 0x3020100
	v_mov_b32_e32 v8, 0xfdfeff00
	;; [unrolled: 1-line block ×3, first 2 shown]
	v_lshlrev_b32_e32 v11, 3, v11
	v_addc_co_u32_e32 v5, vcc, v12, v5, vcc
	s_waitcnt vmcnt(0)
	v_mul_lo_u32 v2, v2, s12
	v_add_u32_e32 v12, s3, v2
	v_add_u32_e32 v13, s9, v2
	v_mov_b32_e32 v2, v3
.LBB72_3:                               ; =>This Inner Loop Header: Depth=1
	v_add_u32_e32 v16, v12, v6
	v_mad_i64_i32 v[16:17], s[0:1], v16, 17, s[16:17]
	v_add_u32_e32 v18, v13, v6
	v_add_co_u32_e32 v14, vcc, v4, v11
	v_mad_i64_i32 v[18:19], s[0:1], v18, 17, s[16:17]
	v_addc_co_u32_e32 v15, vcc, 0, v5, vcc
	v_add_co_u32_e32 v20, vcc, v16, v10
	v_addc_co_u32_e32 v21, vcc, 0, v17, vcc
	v_add_co_u32_e32 v22, vcc, v18, v10
	v_addc_co_u32_e32 v23, vcc, 0, v19, vcc
	global_load_dwordx2 v[24:25], v[20:21], off offset:1
	global_load_dwordx2 v[26:27], v[22:23], off offset:1
	global_load_ubyte v28, v[18:19], off
	global_load_ubyte v29, v[16:17], off
	v_add_u32_e32 v6, 32, v6
	v_cmp_le_u32_e64 s[4:5], s15, v6
	s_or_b64 s[20:21], s[4:5], s[20:21]
	s_waitcnt vmcnt(3)
	v_lshrrev_b32_e32 v17, 1, v24
	v_and_b32_e32 v16, 0x7070707, v24
	v_lshrrev_b32_e32 v19, 1, v25
	v_and_b32_e32 v17, 0x4040404, v17
	v_and_b32_e32 v18, 0x7070707, v25
	v_perm_b32 v22, s10, v7, v16
	v_perm_b32 v16, s26, v8, v16
	v_or_b32_e32 v17, 0x3020100, v17
	v_and_b32_e32 v19, 0x4040404, v19
	s_waitcnt vmcnt(2)
	v_lshrrev_b32_e32 v21, 1, v26
	v_perm_b32 v22, v16, v22, v17
	v_perm_b32 v17, s10, v7, v18
	;; [unrolled: 1-line block ×3, first 2 shown]
	v_or_b32_e32 v19, 0x3020100, v19
	v_and_b32_e32 v20, 0x7070707, v26
	v_perm_b32 v23, v18, v17, v19
	v_lshrrev_b32_e32 v17, 1, v27
	v_and_b32_e32 v21, 0x4040404, v21
	v_and_b32_e32 v16, 0x7070707, v27
	v_ashrrev_i32_e32 v18, 4, v24
	v_ashrrev_i32_e32 v24, 4, v26
	v_perm_b32 v26, s10, v7, v20
	v_perm_b32 v20, s26, v8, v20
	v_or_b32_e32 v21, 0x3020100, v21
	v_and_b32_e32 v17, 0x4040404, v17
	v_perm_b32 v20, v20, v26, v21
	v_perm_b32 v21, s10, v7, v16
	;; [unrolled: 1-line block ×3, first 2 shown]
	v_and_b32_e32 v26, 0x7070707, v18
	v_lshrrev_b32_e32 v18, 1, v18
	v_or_b32_e32 v17, 0x3020100, v17
	v_perm_b32 v21, v16, v21, v17
	v_lshrrev_b32_e32 v17, 1, v24
	v_and_b32_e32 v18, 0x4040404, v18
	v_ashrrev_i32_e32 v19, 4, v25
	v_and_b32_e32 v16, 0x7070707, v24
	v_perm_b32 v24, s10, v7, v26
	v_perm_b32 v26, s26, v8, v26
	v_or_b32_e32 v18, 0x3020100, v18
	v_and_b32_e32 v17, 0x4040404, v17
	v_ashrrev_i32_e32 v25, 4, v27
	v_perm_b32 v24, v26, v24, v18
	v_and_b32_e32 v18, 0x7070707, v19
	v_lshrrev_b32_e32 v19, 1, v19
	v_perm_b32 v26, s10, v7, v16
	v_perm_b32 v16, s26, v8, v16
	v_or_b32_e32 v17, 0x3020100, v17
	v_perm_b32 v26, v16, v26, v17
	v_lshrrev_b32_e32 v17, 1, v25
	v_and_b32_e32 v19, 0x4040404, v19
	v_and_b32_e32 v16, 0x7070707, v25
	v_perm_b32 v25, s10, v7, v18
	v_perm_b32 v18, s26, v8, v18
	v_or_b32_e32 v19, 0x3020100, v19
	v_and_b32_e32 v17, 0x4040404, v17
	v_perm_b32 v25, v18, v25, v19
	v_perm_b32 v18, s10, v7, v16
	;; [unrolled: 1-line block ×3, first 2 shown]
	v_or_b32_e32 v17, 0x3020100, v17
	v_perm_b32 v27, v16, v18, v17
	global_load_dwordx2 v[16:17], v[14:15], off offset:4
	global_load_dwordx2 v[18:19], v[14:15], off offset:20
	s_waitcnt vmcnt(3)
	v_lshlrev_b32_e32 v15, 23, v28
	v_cmp_ne_u32_e64 s[2:3], 0, v28
	global_load_dword v28, v[4:5], off
	s_waitcnt vmcnt(3)
	v_lshlrev_b32_e32 v14, 23, v29
	v_mul_f32_e32 v14, 0.5, v14
	v_cmp_ne_u32_e64 s[0:1], 0, v29
	v_mul_f32_e32 v15, 0.5, v15
	v_cndmask_b32_e64 v14, v9, v14, s[0:1]
	v_cndmask_b32_e64 v15, v9, v15, s[2:3]
	v_add_co_u32_e32 v4, vcc, 0x480, v4
	v_addc_co_u32_e32 v5, vcc, 0, v5, vcc
	s_waitcnt vmcnt(2)
	v_dot4_i32_i8 v22, v22, v16, 0
	v_dot4_i32_i8 v16, v20, v16, 0
	s_waitcnt vmcnt(1)
	v_dot4_i32_i8 v20, v24, v18, v22
	v_dot4_i32_i8 v16, v26, v18, v16
	;; [unrolled: 1-line block ×4, first 2 shown]
	s_waitcnt vmcnt(0)
	v_cvt_f32_f16_e32 v28, v28
	v_dot4_i32_i8 v17, v25, v19, v18
	v_dot4_i32_i8 v16, v27, v19, v16
	v_cvt_f32_i32_e32 v17, v17
	v_cvt_f32_i32_e32 v16, v16
	v_mul_f32_e32 v14, v14, v28
	v_mul_f32_e32 v15, v15, v28
	v_fmac_f32_e32 v3, v14, v17
	v_fmac_f32_e32 v2, v15, v16
	s_andn2_b64 exec, exec, s[20:21]
	s_cbranch_execnz .LBB72_3
; %bb.4:
	s_or_b64 exec, exec, s[20:21]
.LBB72_5:
	s_or_b64 exec, exec, s[24:25]
	v_mbcnt_lo_u32_b32 v4, -1, 0
	v_mbcnt_hi_u32_b32 v4, -1, v4
	v_and_b32_e32 v5, 64, v4
	v_add_u32_e32 v5, 64, v5
	v_xor_b32_e32 v6, 32, v4
	v_cmp_lt_i32_e32 vcc, v6, v5
	v_cndmask_b32_e32 v6, v4, v6, vcc
	v_lshlrev_b32_e32 v6, 2, v6
	ds_bpermute_b32 v9, v6, v3
	ds_bpermute_b32 v6, v6, v2
	v_xor_b32_e32 v7, 16, v4
	v_cmp_lt_i32_e32 vcc, v7, v5
	v_cndmask_b32_e32 v7, v4, v7, vcc
	v_lshlrev_b32_e32 v7, 2, v7
	s_waitcnt lgkmcnt(1)
	v_add_f32_e32 v3, v3, v9
	s_waitcnt lgkmcnt(0)
	v_add_f32_e32 v2, v2, v6
	ds_bpermute_b32 v9, v7, v3
	ds_bpermute_b32 v6, v7, v2
	v_xor_b32_e32 v8, 8, v4
	v_cmp_lt_i32_e32 vcc, v8, v5
	v_cndmask_b32_e32 v8, v4, v8, vcc
	v_lshlrev_b32_e32 v8, 2, v8
	s_waitcnt lgkmcnt(1)
	v_add_f32_e32 v3, v3, v9
	s_waitcnt lgkmcnt(0)
	v_add_f32_e32 v2, v2, v6
	;; [unrolled: 10-line block ×5, first 2 shown]
	ds_bpermute_b32 v3, v5, v2
	ds_bpermute_b32 v5, v5, v4
	v_add_u32_e32 v6, s6, v0
	v_cmp_gt_u32_e32 vcc, 2, v0
	v_cmp_gt_u32_e64 s[0:1], s8, v6
	s_and_b64 s[0:1], vcc, s[0:1]
	s_and_b64 exec, exec, s[0:1]
	s_cbranch_execz .LBB72_7
; %bb.6:
	v_mul_lo_u32 v1, s11, v1
	v_cmp_eq_u32_e32 vcc, 1, v0
	s_mul_i32 s0, s14, s7
	v_or_b32_e32 v0, s6, v0
	v_add3_u32 v0, v0, v1, s0
	v_mov_b32_e32 v1, 0
	v_lshlrev_b64 v[0:1], 2, v[0:1]
	s_waitcnt lgkmcnt(1)
	v_add_f32_e32 v2, v2, v3
	s_waitcnt lgkmcnt(0)
	v_add_f32_e32 v3, v4, v5
	v_cndmask_b32_e32 v2, v2, v3, vcc
	v_mov_b32_e32 v3, s23
	v_add_co_u32_e32 v0, vcc, s22, v0
	v_addc_co_u32_e32 v1, vcc, v3, v1, vcc
	global_store_dword v[0:1], v2, off
.LBB72_7:
	s_endpgm
	.section	.rodata,"a",@progbits
	.p2align	6, 0x0
	.amdhsa_kernel _ZL17mul_mat_vec_q_moeIL9ggml_type39ELi2EEvPKvS2_PKiPfj15HIP_vector_typeIjLj3EEjjjjjjjjj
		.amdhsa_group_segment_fixed_size 0
		.amdhsa_private_segment_fixed_size 0
		.amdhsa_kernarg_size 84
		.amdhsa_user_sgpr_count 6
		.amdhsa_user_sgpr_private_segment_buffer 1
		.amdhsa_user_sgpr_dispatch_ptr 0
		.amdhsa_user_sgpr_queue_ptr 0
		.amdhsa_user_sgpr_kernarg_segment_ptr 1
		.amdhsa_user_sgpr_dispatch_id 0
		.amdhsa_user_sgpr_flat_scratch_init 0
		.amdhsa_user_sgpr_private_segment_size 0
		.amdhsa_uses_dynamic_stack 0
		.amdhsa_system_sgpr_private_segment_wavefront_offset 0
		.amdhsa_system_sgpr_workgroup_id_x 1
		.amdhsa_system_sgpr_workgroup_id_y 1
		.amdhsa_system_sgpr_workgroup_id_z 0
		.amdhsa_system_sgpr_workgroup_info 0
		.amdhsa_system_vgpr_workitem_id 1
		.amdhsa_next_free_vgpr 30
		.amdhsa_next_free_sgpr 27
		.amdhsa_reserve_vcc 1
		.amdhsa_reserve_flat_scratch 0
		.amdhsa_float_round_mode_32 0
		.amdhsa_float_round_mode_16_64 0
		.amdhsa_float_denorm_mode_32 3
		.amdhsa_float_denorm_mode_16_64 3
		.amdhsa_dx10_clamp 1
		.amdhsa_ieee_mode 1
		.amdhsa_fp16_overflow 0
		.amdhsa_exception_fp_ieee_invalid_op 0
		.amdhsa_exception_fp_denorm_src 0
		.amdhsa_exception_fp_ieee_div_zero 0
		.amdhsa_exception_fp_ieee_overflow 0
		.amdhsa_exception_fp_ieee_underflow 0
		.amdhsa_exception_fp_ieee_inexact 0
		.amdhsa_exception_int_div_zero 0
	.end_amdhsa_kernel
	.section	.text._ZL17mul_mat_vec_q_moeIL9ggml_type39ELi2EEvPKvS2_PKiPfj15HIP_vector_typeIjLj3EEjjjjjjjjj,"axG",@progbits,_ZL17mul_mat_vec_q_moeIL9ggml_type39ELi2EEvPKvS2_PKiPfj15HIP_vector_typeIjLj3EEjjjjjjjjj,comdat
.Lfunc_end72:
	.size	_ZL17mul_mat_vec_q_moeIL9ggml_type39ELi2EEvPKvS2_PKiPfj15HIP_vector_typeIjLj3EEjjjjjjjjj, .Lfunc_end72-_ZL17mul_mat_vec_q_moeIL9ggml_type39ELi2EEvPKvS2_PKiPfj15HIP_vector_typeIjLj3EEjjjjjjjjj
                                        ; -- End function
	.set _ZL17mul_mat_vec_q_moeIL9ggml_type39ELi2EEvPKvS2_PKiPfj15HIP_vector_typeIjLj3EEjjjjjjjjj.num_vgpr, 30
	.set _ZL17mul_mat_vec_q_moeIL9ggml_type39ELi2EEvPKvS2_PKiPfj15HIP_vector_typeIjLj3EEjjjjjjjjj.num_agpr, 0
	.set _ZL17mul_mat_vec_q_moeIL9ggml_type39ELi2EEvPKvS2_PKiPfj15HIP_vector_typeIjLj3EEjjjjjjjjj.numbered_sgpr, 27
	.set _ZL17mul_mat_vec_q_moeIL9ggml_type39ELi2EEvPKvS2_PKiPfj15HIP_vector_typeIjLj3EEjjjjjjjjj.num_named_barrier, 0
	.set _ZL17mul_mat_vec_q_moeIL9ggml_type39ELi2EEvPKvS2_PKiPfj15HIP_vector_typeIjLj3EEjjjjjjjjj.private_seg_size, 0
	.set _ZL17mul_mat_vec_q_moeIL9ggml_type39ELi2EEvPKvS2_PKiPfj15HIP_vector_typeIjLj3EEjjjjjjjjj.uses_vcc, 1
	.set _ZL17mul_mat_vec_q_moeIL9ggml_type39ELi2EEvPKvS2_PKiPfj15HIP_vector_typeIjLj3EEjjjjjjjjj.uses_flat_scratch, 0
	.set _ZL17mul_mat_vec_q_moeIL9ggml_type39ELi2EEvPKvS2_PKiPfj15HIP_vector_typeIjLj3EEjjjjjjjjj.has_dyn_sized_stack, 0
	.set _ZL17mul_mat_vec_q_moeIL9ggml_type39ELi2EEvPKvS2_PKiPfj15HIP_vector_typeIjLj3EEjjjjjjjjj.has_recursion, 0
	.set _ZL17mul_mat_vec_q_moeIL9ggml_type39ELi2EEvPKvS2_PKiPfj15HIP_vector_typeIjLj3EEjjjjjjjjj.has_indirect_call, 0
	.section	.AMDGPU.csdata,"",@progbits
; Kernel info:
; codeLenInByte = 1472
; TotalNumSgprs: 31
; NumVgprs: 30
; ScratchSize: 0
; MemoryBound: 0
; FloatMode: 240
; IeeeMode: 1
; LDSByteSize: 0 bytes/workgroup (compile time only)
; SGPRBlocks: 3
; VGPRBlocks: 7
; NumSGPRsForWavesPerEU: 31
; NumVGPRsForWavesPerEU: 30
; Occupancy: 8
; WaveLimiterHint : 1
; COMPUTE_PGM_RSRC2:SCRATCH_EN: 0
; COMPUTE_PGM_RSRC2:USER_SGPR: 6
; COMPUTE_PGM_RSRC2:TRAP_HANDLER: 0
; COMPUTE_PGM_RSRC2:TGID_X_EN: 1
; COMPUTE_PGM_RSRC2:TGID_Y_EN: 1
; COMPUTE_PGM_RSRC2:TGID_Z_EN: 0
; COMPUTE_PGM_RSRC2:TIDIG_COMP_CNT: 1
	.section	.text._ZL13mul_mat_vec_qIL9ggml_type39ELi1ELb1ELb1EEvPKvS2_PKi31ggml_cuda_mm_fusion_args_devicePfj15HIP_vector_typeIjLj3EEjjjS8_jjjS8_jjjj,"axG",@progbits,_ZL13mul_mat_vec_qIL9ggml_type39ELi1ELb1ELb1EEvPKvS2_PKi31ggml_cuda_mm_fusion_args_devicePfj15HIP_vector_typeIjLj3EEjjjS8_jjjS8_jjjj,comdat
	.globl	_ZL13mul_mat_vec_qIL9ggml_type39ELi1ELb1ELb1EEvPKvS2_PKi31ggml_cuda_mm_fusion_args_devicePfj15HIP_vector_typeIjLj3EEjjjS8_jjjS8_jjjj ; -- Begin function _ZL13mul_mat_vec_qIL9ggml_type39ELi1ELb1ELb1EEvPKvS2_PKi31ggml_cuda_mm_fusion_args_devicePfj15HIP_vector_typeIjLj3EEjjjS8_jjjS8_jjjj
	.p2align	8
	.type	_ZL13mul_mat_vec_qIL9ggml_type39ELi1ELb1ELb1EEvPKvS2_PKi31ggml_cuda_mm_fusion_args_devicePfj15HIP_vector_typeIjLj3EEjjjS8_jjjS8_jjjj,@function
_ZL13mul_mat_vec_qIL9ggml_type39ELi1ELb1ELb1EEvPKvS2_PKi31ggml_cuda_mm_fusion_args_devicePfj15HIP_vector_typeIjLj3EEjjjS8_jjjS8_jjjj: ; @_ZL13mul_mat_vec_qIL9ggml_type39ELi1ELb1ELb1EEvPKvS2_PKi31ggml_cuda_mm_fusion_args_devicePfj15HIP_vector_typeIjLj3EEjjjS8_jjjS8_jjjj
; %bb.0:
	s_load_dwordx8 s[16:23], s[4:5], 0x0
	s_load_dwordx4 s[28:31], s[4:5], 0x20
	s_load_dwordx4 s[36:39], s[4:5], 0x40
	;; [unrolled: 1-line block ×3, first 2 shown]
	s_mov_b32 s34, s7
	s_waitcnt lgkmcnt(0)
	s_cmp_lg_u64 s[20:21], 0
	s_cselect_b64 s[0:1], -1, 0
	s_cmp_eq_u64 s[20:21], 0
	s_mov_b64 s[2:3], 0
	s_cbranch_scc1 .LBB73_5
; %bb.1:
	s_mov_b32 s35, 0
	s_lshl_b64 s[10:11], s[34:35], 2
	s_add_u32 s10, s20, s10
	s_addc_u32 s11, s21, s11
	s_load_dword s35, s[10:11], 0x0
	s_load_dword s33, s[4:5], 0x50
	;; [unrolled: 1-line block ×3, first 2 shown]
	s_andn2_b64 vcc, exec, s[2:3]
	s_cbranch_vccnz .LBB73_3
.LBB73_2:
	s_load_dwordx2 s[2:3], s[4:5], 0x5c
	s_waitcnt lgkmcnt(0)
	s_mul_hi_u32 s2, s2, s34
	s_add_i32 s2, s34, s2
	s_lshr_b32 s35, s2, s3
.LBB73_3:
	s_andn2_b64 vcc, exec, s[0:1]
	s_cbranch_vccnz .LBB73_6
; %bb.4:
	s_mul_hi_u32 s0, s37, s34
	s_add_i32 s0, s34, s0
	s_lshr_b32 s0, s0, s38
	s_mul_i32 s0, s0, s39
	s_sub_i32 s37, s34, s0
	s_waitcnt lgkmcnt(0)
	s_mov_b32 s43, s35
	s_branch .LBB73_7
.LBB73_5:
                                        ; implicit-def: $sgpr35
	s_load_dword s33, s[4:5], 0x50
	s_load_dword s42, s[4:5], 0x78
	s_branch .LBB73_2
.LBB73_6:
	s_mov_b32 s43, s34
	s_mov_b32 s37, s34
.LBB73_7:
	s_load_dword s9, s[4:5], 0x58
	s_load_dwordx4 s[24:27], s[4:5], 0x80
	s_lshl_b32 s20, s6, 1
	s_cmp_eq_u64 s[22:23], 0
	s_cselect_b64 s[0:1], -1, 0
	v_mov_b32_e32 v18, 0
	s_and_b64 vcc, exec, s[0:1]
	v_cmp_gt_u32_e64 s[2:3], 2, v0
	v_cmp_eq_u32_e64 s[6:7], 0, v1
	v_add_u32_e32 v17, s20, v0
	v_mov_b32_e32 v19, 0
	s_cbranch_vccnz .LBB73_11
; %bb.8:
	s_waitcnt lgkmcnt(0)
	v_cmp_gt_u32_e32 vcc, s9, v17
	s_and_b64 s[2:3], s[2:3], vcc
	s_mov_b32 s11, 0
	s_and_b64 s[6:7], s[2:3], s[6:7]
	v_mov_b32_e32 v19, 0
	s_and_saveexec_b64 s[2:3], s[6:7]
	s_cbranch_execz .LBB73_10
; %bb.9:
	s_mul_i32 s10, s26, s8
	s_lshl_b64 s[6:7], s[10:11], 2
	s_add_u32 s21, s22, s6
	s_mul_i32 s10, s43, s14
	s_addc_u32 s22, s23, s7
	s_lshl_b64 s[6:7], s[10:11], 2
	s_add_u32 s10, s21, s6
	s_addc_u32 s11, s22, s7
	s_ashr_i32 s21, s20, 31
	s_lshl_b64 s[6:7], s[20:21], 2
	s_add_u32 s6, s10, s6
	s_addc_u32 s7, s11, s7
	v_lshlrev_b32_e32 v2, 2, v0
	global_load_dword v19, v2, s[6:7]
.LBB73_10:
	s_or_b64 exec, exec, s[2:3]
.LBB73_11:
	s_cmp_lg_u64 s[28:29], 0
	s_cselect_b64 s[38:39], -1, 0
	s_cmp_eq_u64 s[28:29], 0
	s_cselect_b64 s[22:23], -1, 0
	s_cmp_lg_u64 s[30:31], 0
	s_cselect_b64 s[2:3], -1, 0
	s_and_b64 s[6:7], s[2:3], s[38:39]
	s_andn2_b64 vcc, exec, s[6:7]
	s_waitcnt lgkmcnt(0)
	v_cmp_gt_u32_e64 s[6:7], s9, v17
	s_cbranch_vccnz .LBB73_15
; %bb.12:
	v_cmp_gt_u32_e32 vcc, 2, v0
	v_cmp_eq_u32_e64 s[10:11], 0, v1
	s_and_b64 s[6:7], vcc, s[6:7]
	s_mov_b32 s41, 0
	s_and_b64 s[10:11], s[6:7], s[10:11]
	v_mov_b32_e32 v18, 0
	s_and_saveexec_b64 s[6:7], s[10:11]
	s_cbranch_execz .LBB73_14
; %bb.13:
	s_mul_i32 s40, s26, s8
	s_lshl_b64 s[10:11], s[40:41], 2
	s_add_u32 s21, s30, s10
	s_mul_i32 s40, s43, s14
	s_addc_u32 s27, s31, s11
	s_lshl_b64 s[10:11], s[40:41], 2
	s_add_u32 s30, s21, s10
	s_addc_u32 s27, s27, s11
	s_ashr_i32 s21, s20, 31
	s_lshl_b64 s[10:11], s[20:21], 2
	s_add_u32 s10, s30, s10
	s_addc_u32 s11, s27, s11
	v_lshlrev_b32_e32 v2, 2, v0
	global_load_dword v18, v2, s[10:11]
.LBB73_14:
	s_or_b64 exec, exec, s[6:7]
.LBB73_15:
	v_lshlrev_b32_e32 v7, 6, v1
	v_add_u16_e32 v2, v7, v0
	v_lshrrev_b16_e32 v20, 1, v2
	v_mov_b32_e32 v4, 0
	v_cndmask_b32_e64 v2, 0, 1, s[38:39]
	s_lshr_b32 s21, s36, 5
	v_mov_b32_e32 v5, v4
	v_cmp_ne_u32_e64 s[6:7], 1, v2
	v_mov_b32_e32 v2, v4
	v_cmp_gt_u32_e32 vcc, s21, v20
	v_mov_b32_e32 v6, v4
	v_mov_b32_e32 v3, v5
	s_and_saveexec_b64 s[30:31], vcc
	s_cbranch_execz .LBB73_23
; %bb.16:
	s_mul_i32 s11, s37, s13
	s_mul_hi_u32 s13, s15, s8
	s_add_i32 s13, s8, s13
	s_lshr_b32 s13, s13, s42
	s_mul_i32 s12, s35, s12
	s_mul_i32 s13, s13, s24
	s_add_i32 s24, s12, s13
	s_mul_i32 s12, s20, s33
	s_add_i32 s15, s24, s12
	s_add_i32 s12, s20, 1
	s_mul_i32 s10, s25, s8
	s_mul_i32 s33, s33, s12
	s_add_i32 s24, s24, s33
	s_mul_hi_u32 s13, s10, 36
	s_mul_i32 s10, s10, 36
	s_add_u32 s10, s18, s10
	s_mul_hi_u32 s12, s11, 36
	s_mul_i32 s11, s11, 36
	s_addc_u32 s13, s19, s13
	v_add_u32_e32 v2, v7, v0
	s_add_u32 s10, s10, s11
	v_lshrrev_b32_e32 v2, 1, v2
	s_addc_u32 s11, s13, s12
	v_lshlrev_b32_e32 v3, 3, v0
	v_mad_u64_u32 v[7:8], s[10:11], v2, 36, s[10:11]
	v_and_b32_e32 v21, 8, v3
	v_mov_b32_e32 v5, 0
	v_and_b32_e32 v3, 1, v0
	v_lshlrev_b32_e32 v22, 3, v3
	v_mov_b32_e32 v6, v5
	v_mov_b32_e32 v2, v5
	s_mov_b64 s[18:19], 0
	s_mov_b32 s25, 0xc080604
	s_mov_b32 s27, 0xf4f8fafc
	v_mov_b32_e32 v23, 0x3020100
	v_mov_b32_e32 v24, 0xfdfeff00
	v_mov_b32_e32 v25, 0x200000
	v_mov_b32_e32 v26, 23
	v_mov_b32_e32 v3, v6
	v_mov_b32_e32 v6, 0
	v_mov_b32_e32 v4, 0
	s_branch .LBB73_18
.LBB73_17:                              ;   in Loop: Header=BB73_18 Depth=1
	v_ashrrev_i32_e32 v30, 4, v13
	v_and_b32_e32 v31, 0x7070707, v13
	v_lshrrev_b32_e32 v13, 1, v13
	v_and_b32_e32 v33, 0x7070707, v30
	v_and_b32_e32 v13, 0x4040404, v13
	v_lshrrev_b32_e32 v30, 1, v30
	v_perm_b32 v32, s25, v23, v31
	v_perm_b32 v31, s27, v24, v31
	v_or_b32_e32 v13, 0x3020100, v13
	v_and_b32_e32 v30, 0x4040404, v30
	v_perm_b32 v34, s25, v23, v33
	v_perm_b32 v33, s27, v24, v33
	;; [unrolled: 1-line block ×3, first 2 shown]
	v_or_b32_e32 v30, 0x3020100, v30
	v_perm_b32 v30, v33, v34, v30
	v_dot4_i32_i8 v13, v13, v9, 0
	v_dot4_i32_i8 v13, v30, v11, v13
	v_ashrrev_i32_e32 v30, 4, v14
	v_and_b32_e32 v31, 0x7070707, v14
	v_lshrrev_b32_e32 v14, 1, v14
	v_and_b32_e32 v33, 0x7070707, v30
	v_and_b32_e32 v14, 0x4040404, v14
	v_lshrrev_b32_e32 v30, 1, v30
	v_perm_b32 v32, s25, v23, v31
	v_perm_b32 v31, s27, v24, v31
	v_or_b32_e32 v14, 0x3020100, v14
	v_and_b32_e32 v30, 0x4040404, v30
	v_perm_b32 v34, s25, v23, v33
	v_perm_b32 v33, s27, v24, v33
	;; [unrolled: 1-line block ×3, first 2 shown]
	v_or_b32_e32 v30, 0x3020100, v30
	v_perm_b32 v30, v33, v34, v30
	v_dot4_i32_i8 v13, v14, v10, v13
	v_dot4_i32_i8 v13, v30, v12, v13
	v_lshlrev_b32_sdwa v14, v26, v28 dst_sel:DWORD dst_unused:UNUSED_PAD src0_sel:DWORD src1_sel:BYTE_0
	v_cvt_f32_i32_e32 v13, v13
	v_mul_f32_e32 v14, 0.5, v14
	v_cndmask_b32_e64 v14, v25, v14, s[10:11]
	v_mul_f32_e32 v14, v14, v27
	v_fmac_f32_e32 v6, v14, v13
	s_waitcnt vmcnt(0)
	v_ashrrev_i32_e32 v13, 4, v15
	v_and_b32_e32 v14, 0x7070707, v15
	v_lshrrev_b32_e32 v15, 1, v15
	v_and_b32_e32 v30, 0x7070707, v13
	v_and_b32_e32 v15, 0x4040404, v15
	v_lshrrev_b32_e32 v13, 1, v13
	v_perm_b32 v28, s25, v23, v14
	v_perm_b32 v14, s27, v24, v14
	v_or_b32_e32 v15, 0x3020100, v15
	v_and_b32_e32 v13, 0x4040404, v13
	v_perm_b32 v31, s25, v23, v30
	v_perm_b32 v30, s27, v24, v30
	;; [unrolled: 1-line block ×3, first 2 shown]
	v_or_b32_e32 v13, 0x3020100, v13
	v_perm_b32 v13, v30, v31, v13
	v_dot4_i32_i8 v9, v14, v9, 0
	v_dot4_i32_i8 v9, v13, v11, v9
	v_ashrrev_i32_e32 v11, 4, v16
	v_and_b32_e32 v13, 0x7070707, v16
	v_lshrrev_b32_e32 v16, 1, v16
	v_and_b32_e32 v15, 0x7070707, v11
	v_and_b32_e32 v16, 0x4040404, v16
	v_lshrrev_b32_e32 v11, 1, v11
	v_perm_b32 v14, s25, v23, v13
	v_perm_b32 v13, s27, v24, v13
	v_or_b32_e32 v16, 0x3020100, v16
	v_and_b32_e32 v11, 0x4040404, v11
	v_perm_b32 v28, s25, v23, v15
	v_perm_b32 v15, s27, v24, v15
	;; [unrolled: 1-line block ×3, first 2 shown]
	v_or_b32_e32 v11, 0x3020100, v11
	v_perm_b32 v11, v15, v28, v11
	v_dot4_i32_i8 v9, v13, v10, v9
	v_dot4_i32_i8 v9, v11, v12, v9
	v_lshlrev_b32_e32 v10, 23, v29
	v_cvt_f32_i32_e32 v9, v9
	v_mul_f32_e32 v10, 0.5, v10
	v_cndmask_b32_e64 v10, v25, v10, s[12:13]
	v_add_u32_e32 v20, 64, v20
	v_mul_f32_e32 v10, v10, v27
	v_add_co_u32_e32 v7, vcc, 0x900, v7
	v_cmp_le_u32_e64 s[10:11], s21, v20
	v_fmac_f32_e32 v4, v10, v9
	s_or_b64 s[18:19], s[10:11], s[18:19]
	v_addc_co_u32_e32 v8, vcc, 0, v8, vcc
	s_andn2_b64 exec, exec, s[18:19]
	s_cbranch_execz .LBB73_22
.LBB73_18:                              ; =>This Inner Loop Header: Depth=1
	v_add_u32_e32 v15, s15, v20
	v_add_co_u32_e32 v13, vcc, v7, v22
	v_mad_i64_i32 v[29:30], s[10:11], v15, 17, s[16:17]
	v_addc_co_u32_e32 v14, vcc, 0, v8, vcc
	global_load_dwordx2 v[9:10], v[13:14], off offset:4
	global_load_dwordx2 v[11:12], v[13:14], off offset:20
	global_load_dword v16, v[7:8], off
	v_add_co_u32_e32 v31, vcc, v29, v21
	v_addc_co_u32_e32 v32, vcc, 0, v30, vcc
	global_load_dwordx2 v[13:14], v[31:32], off offset:1
	global_load_ubyte v28, v[29:30], off
	s_and_b64 vcc, exec, s[6:7]
	s_waitcnt vmcnt(2)
	v_cvt_f32_f16_e32 v27, v16
	s_cbranch_vccnz .LBB73_20
; %bb.19:                               ;   in Loop: Header=BB73_18 Depth=1
	v_mad_i64_i32 v[15:16], s[10:11], v15, 17, s[28:29]
	v_add_co_u32_e32 v29, vcc, v15, v21
	v_addc_co_u32_e32 v30, vcc, 0, v16, vcc
	global_load_dwordx2 v[29:30], v[29:30], off offset:1
	s_nop 0
	global_load_ubyte v15, v[15:16], off
	s_waitcnt vmcnt(1)
	v_ashrrev_i32_e32 v31, 4, v29
	v_and_b32_e32 v32, 0x7070707, v29
	v_lshrrev_b32_e32 v29, 1, v29
	v_and_b32_e32 v34, 0x7070707, v31
	v_and_b32_e32 v29, 0x4040404, v29
	v_lshrrev_b32_e32 v31, 1, v31
	v_perm_b32 v33, s25, v23, v32
	v_perm_b32 v32, s27, v24, v32
	v_or_b32_e32 v29, 0x3020100, v29
	v_and_b32_e32 v31, 0x4040404, v31
	v_perm_b32 v35, s25, v23, v34
	v_perm_b32 v34, s27, v24, v34
	;; [unrolled: 1-line block ×3, first 2 shown]
	v_or_b32_e32 v31, 0x3020100, v31
	v_perm_b32 v31, v34, v35, v31
	v_dot4_i32_i8 v29, v29, v9, 0
	v_dot4_i32_i8 v29, v31, v11, v29
	v_ashrrev_i32_e32 v31, 4, v30
	v_and_b32_e32 v32, 0x7070707, v30
	v_lshrrev_b32_e32 v30, 1, v30
	v_and_b32_e32 v34, 0x7070707, v31
	v_and_b32_e32 v30, 0x4040404, v30
	v_lshrrev_b32_e32 v31, 1, v31
	v_perm_b32 v33, s25, v23, v32
	v_perm_b32 v32, s27, v24, v32
	v_or_b32_e32 v30, 0x3020100, v30
	v_and_b32_e32 v31, 0x4040404, v31
	v_perm_b32 v35, s25, v23, v34
	v_perm_b32 v34, s27, v24, v34
	;; [unrolled: 1-line block ×3, first 2 shown]
	v_or_b32_e32 v31, 0x3020100, v31
	v_perm_b32 v31, v34, v35, v31
	v_dot4_i32_i8 v29, v30, v10, v29
	v_dot4_i32_i8 v29, v31, v12, v29
	s_waitcnt vmcnt(0)
	v_cmp_ne_u32_e32 vcc, 0, v15
	v_lshlrev_b32_e32 v15, 23, v15
	v_cvt_f32_i32_e32 v16, v29
	v_mul_f32_e32 v15, 0.5, v15
	v_cndmask_b32_e32 v15, v25, v15, vcc
	v_mul_f32_e32 v15, v15, v27
	v_fma_f32 v2, v15, v16, v2
.LBB73_20:                              ;   in Loop: Header=BB73_18 Depth=1
	v_add_u32_e32 v30, s24, v20
	v_mad_i64_i32 v[31:32], s[10:11], v30, 17, s[16:17]
	s_waitcnt vmcnt(0)
	v_cmp_ne_u16_sdwa s[10:11], v28, v5 src0_sel:BYTE_0 src1_sel:DWORD
	v_add_co_u32_e32 v33, vcc, v31, v21
	v_addc_co_u32_e32 v34, vcc, 0, v32, vcc
	global_load_ubyte v29, v[31:32], off
	global_load_dwordx2 v[15:16], v[33:34], off offset:1
	s_and_b64 vcc, exec, s[6:7]
	s_waitcnt vmcnt(1)
	v_cmp_ne_u32_e64 s[12:13], 0, v29
	s_cbranch_vccnz .LBB73_17
; %bb.21:                               ;   in Loop: Header=BB73_18 Depth=1
	v_mad_i64_i32 v[30:31], s[36:37], v30, 17, s[28:29]
	v_add_co_u32_e32 v32, vcc, v30, v21
	v_addc_co_u32_e32 v33, vcc, 0, v31, vcc
	global_load_dwordx2 v[32:33], v[32:33], off offset:1
	s_nop 0
	global_load_ubyte v30, v[30:31], off
	s_waitcnt vmcnt(1)
	v_ashrrev_i32_e32 v34, 4, v32
	v_and_b32_e32 v35, 0x7070707, v32
	v_lshrrev_b32_e32 v32, 1, v32
	v_and_b32_e32 v37, 0x7070707, v34
	v_and_b32_e32 v32, 0x4040404, v32
	v_lshrrev_b32_e32 v34, 1, v34
	v_perm_b32 v36, s25, v23, v35
	v_perm_b32 v35, s27, v24, v35
	v_or_b32_e32 v32, 0x3020100, v32
	v_and_b32_e32 v34, 0x4040404, v34
	v_perm_b32 v38, s25, v23, v37
	v_perm_b32 v37, s27, v24, v37
	v_perm_b32 v32, v35, v36, v32
	v_or_b32_e32 v34, 0x3020100, v34
	v_perm_b32 v34, v37, v38, v34
	v_dot4_i32_i8 v32, v32, v9, 0
	v_dot4_i32_i8 v32, v34, v11, v32
	v_ashrrev_i32_e32 v34, 4, v33
	v_and_b32_e32 v35, 0x7070707, v33
	v_lshrrev_b32_e32 v33, 1, v33
	v_and_b32_e32 v37, 0x7070707, v34
	v_and_b32_e32 v33, 0x4040404, v33
	v_lshrrev_b32_e32 v34, 1, v34
	v_perm_b32 v36, s25, v23, v35
	v_perm_b32 v35, s27, v24, v35
	v_or_b32_e32 v33, 0x3020100, v33
	v_and_b32_e32 v34, 0x4040404, v34
	v_perm_b32 v38, s25, v23, v37
	v_perm_b32 v37, s27, v24, v37
	;; [unrolled: 1-line block ×3, first 2 shown]
	v_or_b32_e32 v34, 0x3020100, v34
	v_perm_b32 v34, v37, v38, v34
	v_dot4_i32_i8 v32, v33, v10, v32
	v_dot4_i32_i8 v32, v34, v12, v32
	s_waitcnt vmcnt(0)
	v_cmp_ne_u32_e32 vcc, 0, v30
	v_lshlrev_b32_e32 v30, 23, v30
	v_cvt_f32_i32_e32 v31, v32
	v_mul_f32_e32 v30, 0.5, v30
	v_cndmask_b32_e32 v30, v25, v30, vcc
	v_mul_f32_e32 v30, v30, v27
	v_fma_f32 v3, v30, v31, v3
	s_branch .LBB73_17
.LBB73_22:
	s_or_b64 exec, exec, s[18:19]
.LBB73_23:
	s_or_b64 exec, exec, s[30:31]
	s_load_dword s15, s[4:5], 0x30
	v_cmp_eq_u32_e64 s[10:11], 0, v1
	v_cmp_ne_u32_e32 vcc, 0, v1
	v_lshlrev_b32_e32 v5, 2, v0
	s_and_saveexec_b64 s[12:13], vcc
	s_cbranch_execz .LBB73_28
; %bb.24:
	v_lshl_or_b32 v1, v1, 9, v5
	v_add_u32_e32 v7, 0xfffffe00, v1
	s_mov_b64 s[16:17], -1
	s_and_b64 vcc, exec, s[22:23]
	ds_write_b32 v7, v6
	s_cbranch_vccz .LBB73_26
; %bb.25:
	ds_write_b32 v7, v4 offset:256
	s_mov_b64 s[16:17], 0
.LBB73_26:
	s_andn2_b64 vcc, exec, s[16:17]
	s_cbranch_vccnz .LBB73_28
; %bb.27:
	ds_write_b32 v7, v4 offset:256
	ds_write2st64_b32 v1, v2, v3 offset1:1
.LBB73_28:
	s_or_b64 exec, exec, s[12:13]
	s_waitcnt vmcnt(0) lgkmcnt(0)
	s_barrier
	s_and_saveexec_b64 s[12:13], s[10:11]
	s_cbranch_execz .LBB73_61
; %bb.29:
	ds_read_b32 v8, v5
	s_and_b64 vcc, exec, s[6:7]
	v_or_b32_e32 v7, 0x200, v5
	s_cbranch_vccnz .LBB73_31
; %bb.30:
	ds_read_b32 v1, v7
	s_waitcnt lgkmcnt(0)
	v_add_f32_e32 v2, v2, v1
.LBB73_31:
	v_mbcnt_lo_u32_b32 v1, -1, 0
	v_mbcnt_hi_u32_b32 v13, -1, v1
	v_and_b32_e32 v1, 64, v13
	v_add_u32_e32 v14, 64, v1
	v_xor_b32_e32 v1, 32, v13
	v_cmp_lt_i32_e32 vcc, v1, v14
	v_cndmask_b32_e32 v1, v13, v1, vcc
	v_lshlrev_b32_e32 v1, 2, v1
	s_waitcnt lgkmcnt(0)
	v_add_f32_e32 v6, v6, v8
	ds_bpermute_b32 v8, v1, v6
	v_xor_b32_e32 v9, 16, v13
	v_cmp_lt_i32_e32 vcc, v9, v14
	v_cndmask_b32_e32 v9, v13, v9, vcc
	v_lshlrev_b32_e32 v9, 2, v9
	s_waitcnt lgkmcnt(0)
	v_add_f32_e32 v6, v6, v8
	ds_bpermute_b32 v8, v9, v6
	;; [unrolled: 7-line block ×6, first 2 shown]
	s_and_b64 vcc, exec, s[6:7]
	s_cbranch_vccnz .LBB73_33
; %bb.32:
	ds_bpermute_b32 v14, v1, v2
	s_waitcnt lgkmcnt(0)
	v_add_f32_e32 v2, v2, v14
	ds_bpermute_b32 v14, v9, v2
	s_waitcnt lgkmcnt(0)
	v_add_f32_e32 v2, v2, v14
	;; [unrolled: 3-line block ×6, first 2 shown]
.LBB73_33:
	ds_read_b32 v14, v5 offset:256
	s_and_b64 vcc, exec, s[6:7]
	s_cbranch_vccnz .LBB73_35
; %bb.34:
	ds_read_b32 v7, v7 offset:256
	s_waitcnt lgkmcnt(0)
	v_add_f32_e32 v3, v3, v7
.LBB73_35:
	s_waitcnt lgkmcnt(0)
	v_add_f32_e32 v4, v4, v14
	ds_bpermute_b32 v7, v1, v4
	s_and_b64 vcc, exec, s[6:7]
	s_waitcnt lgkmcnt(0)
	v_add_f32_e32 v4, v4, v7
	ds_bpermute_b32 v7, v9, v4
	s_waitcnt lgkmcnt(0)
	v_add_f32_e32 v4, v4, v7
	ds_bpermute_b32 v7, v10, v4
	;; [unrolled: 3-line block ×5, first 2 shown]
	s_cbranch_vccnz .LBB73_37
; %bb.36:
	ds_bpermute_b32 v1, v1, v3
	s_waitcnt lgkmcnt(0)
	v_add_f32_e32 v1, v3, v1
	ds_bpermute_b32 v3, v9, v1
	s_waitcnt lgkmcnt(0)
	v_add_f32_e32 v1, v1, v3
	ds_bpermute_b32 v3, v10, v1
	s_waitcnt lgkmcnt(0)
	v_add_f32_e32 v1, v1, v3
	ds_bpermute_b32 v3, v11, v1
	s_waitcnt lgkmcnt(0)
	v_add_f32_e32 v1, v1, v3
	ds_bpermute_b32 v3, v12, v1
	s_waitcnt lgkmcnt(0)
	v_add_f32_e32 v1, v1, v3
	ds_bpermute_b32 v3, v13, v1
	s_waitcnt lgkmcnt(0)
	v_add_f32_e32 v3, v1, v3
.LBB73_37:
	v_cmp_gt_u32_e32 vcc, s9, v17
	v_cmp_gt_u32_e64 s[10:11], 2, v0
	s_and_b64 s[10:11], s[10:11], vcc
	s_and_b64 exec, exec, s[10:11]
	s_cbranch_execz .LBB73_61
; %bb.38:
	v_add_f32_e32 v1, v6, v8
	s_waitcnt lgkmcnt(0)
	v_add_f32_e32 v4, v4, v7
	v_cmp_eq_u32_e64 s[10:11], 1, v0
	v_cndmask_b32_e64 v0, v1, v4, s[10:11]
	v_add_f32_e32 v1, v19, v0
	s_and_b64 vcc, exec, s[6:7]
	v_cndmask_b32_e64 v0, v1, v0, s[0:1]
	s_cbranch_vccnz .LBB73_60
; %bb.39:
	v_cndmask_b32_e64 v1, v2, v3, s[10:11]
	v_add_f32_e32 v2, v18, v1
	v_cndmask_b32_e64 v1, v1, v2, s[2:3]
	s_cmp_lt_i32 s15, 2
	s_mov_b64 s[0:1], 0
	s_cbranch_scc1 .LBB73_43
; %bb.40:
	s_cmp_gt_i32 s15, 2
	s_cbranch_scc0 .LBB73_44
; %bb.41:
	s_cmp_eq_u32 s15, 3
	s_cbranch_scc0 .LBB73_45
; %bb.42:
	v_max_f32_e32 v2, v1, v1
	v_min_f32_e32 v2, 0x40e00000, v2
	v_mul_f32_e32 v3, 0xbfd9db23, v2
	s_mov_b32 s2, 0x3fb8aa3b
	v_mul_f32_e32 v4, 0x3fb8aa3b, v3
	v_fma_f32 v6, v3, s2, -v4
	v_rndne_f32_e32 v7, v4
	v_fmac_f32_e32 v6, 0x32a5705f, v3
	v_sub_f32_e32 v4, v4, v7
	v_add_f32_e32 v4, v4, v6
	v_exp_f32_e32 v4, v4
	v_cvt_i32_f32_e32 v6, v7
	s_mov_b32 s2, 0xc2ce8ed0
	v_cmp_ngt_f32_e32 vcc, s2, v3
	s_mov_b32 s2, 0x42b17218
	v_ldexp_f32 v4, v4, v6
	v_cndmask_b32_e32 v4, 0, v4, vcc
	v_mov_b32_e32 v6, 0x7f800000
	v_cmp_nlt_f32_e32 vcc, s2, v3
	v_cndmask_b32_e32 v3, v6, v4, vcc
	v_add_f32_e32 v3, 1.0, v3
	v_div_scale_f32 v4, s[2:3], v3, v3, v2
	v_div_scale_f32 v6, vcc, v2, v3, v2
	s_mov_b64 s[2:3], 0
	v_rcp_f32_e32 v7, v4
	v_fma_f32 v8, -v4, v7, 1.0
	v_fmac_f32_e32 v7, v8, v7
	v_mul_f32_e32 v8, v6, v7
	v_fma_f32 v9, -v4, v8, v6
	v_fmac_f32_e32 v8, v9, v7
	v_fma_f32 v4, -v4, v8, v6
	v_div_fmas_f32 v4, v4, v7, v8
	v_max_f32_e32 v6, v0, v0
	v_min_f32_e32 v6, 0x40e00000, v6
	v_max_f32_e32 v6, 0xc0e00000, v6
	v_add_f32_e32 v6, 1.0, v6
	v_div_fixup_f32 v2, v4, v3, v2
	v_mul_f32_e32 v2, v6, v2
	s_branch .LBB73_46
.LBB73_43:
                                        ; implicit-def: $vgpr2
	s_mov_b64 s[2:3], 0
	s_cbranch_execnz .LBB73_50
	s_branch .LBB73_51
.LBB73_44:
	s_mov_b64 s[6:7], -1
	s_mov_b64 s[2:3], 0
                                        ; implicit-def: $vgpr2
	s_branch .LBB73_47
.LBB73_45:
	s_mov_b64 s[2:3], -1
                                        ; implicit-def: $vgpr2
.LBB73_46:
	s_mov_b64 s[6:7], 0
.LBB73_47:
	s_and_b64 vcc, exec, s[6:7]
	s_cbranch_vccz .LBB73_49
; %bb.48:
	v_mul_f32_e32 v2, 0xbfb8aa3b, v1
	s_mov_b32 s6, 0xbfb8aa3b
	v_rndne_f32_e32 v3, v2
	v_sub_f32_e32 v4, v2, v3
	v_fma_f32 v2, v1, s6, -v2
	v_fmac_f32_e32 v2, 0xb2a5705f, v1
	v_add_f32_e32 v2, v4, v2
	v_exp_f32_e32 v2, v2
	v_cvt_i32_f32_e32 v3, v3
	s_mov_b32 s6, 0x42ce8ed0
	v_cmp_nlt_f32_e32 vcc, s6, v1
	s_mov_b32 s6, 0xc2b17218
	v_ldexp_f32 v2, v2, v3
	v_cndmask_b32_e32 v2, 0, v2, vcc
	v_mov_b32_e32 v3, 0x7f800000
	v_cmp_ngt_f32_e32 vcc, s6, v1
	v_cndmask_b32_e32 v2, v3, v2, vcc
	v_add_f32_e32 v2, 1.0, v2
	v_div_scale_f32 v3, s[6:7], v2, v2, v1
	v_div_scale_f32 v4, vcc, v1, v2, v1
	v_rcp_f32_e32 v6, v3
	v_fma_f32 v7, -v3, v6, 1.0
	v_fmac_f32_e32 v6, v7, v6
	v_mul_f32_e32 v7, v4, v6
	v_fma_f32 v8, -v3, v7, v4
	v_fmac_f32_e32 v7, v8, v6
	v_fma_f32 v3, -v3, v7, v4
	v_div_fmas_f32 v3, v3, v6, v7
	v_div_fixup_f32 v2, v3, v2, v1
	v_mul_f32_e32 v2, v0, v2
.LBB73_49:
	s_branch .LBB73_51
.LBB73_50:
	s_cmp_lg_u32 s15, 1
	s_mov_b64 s[0:1], -1
	s_cselect_b64 s[2:3], -1, 0
.LBB73_51:
	s_andn2_b64 vcc, exec, s[2:3]
	s_cbranch_vccz .LBB73_53
; %bb.52:
	s_andn2_b64 vcc, exec, s[0:1]
	s_cbranch_vccz .LBB73_54
	s_branch .LBB73_59
.LBB73_53:
	v_mul_f32_e32 v2, v1, v0
	s_cbranch_execnz .LBB73_59
.LBB73_54:
	v_mul_f32_e32 v3, 0x3d372713, v1
	v_mul_f32_e32 v2, 0x3f4c422a, v1
	v_fma_f32 v3, v1, v3, 1.0
	v_mul_f32_e32 v2, v2, v3
	s_mov_b32 s0, 0x3f200000
	v_cmp_nlt_f32_e64 s[0:1], |v2|, s0
                                        ; implicit-def: $vgpr3
	s_and_saveexec_b64 s[2:3], s[0:1]
	s_xor_b64 s[0:1], exec, s[2:3]
	s_cbranch_execz .LBB73_56
; %bb.55:
	v_add_f32_e64 v3, |v2|, |v2|
	v_mul_f32_e32 v4, 0x3fb8aa3b, v3
	s_mov_b32 s2, 0x3fb8aa3b
	v_rndne_f32_e32 v6, v4
	v_sub_f32_e32 v7, v4, v6
	v_fma_f32 v4, v3, s2, -v4
	v_fmac_f32_e32 v4, 0x32a5705f, v3
	v_add_f32_e32 v4, v7, v4
	v_exp_f32_e32 v4, v4
	v_cvt_i32_f32_e32 v6, v6
	s_mov_b32 s2, 0xc2ce8ed0
	v_cmp_ngt_f32_e32 vcc, s2, v3
	s_mov_b32 s2, 0x42b17218
	v_ldexp_f32 v4, v4, v6
	v_cndmask_b32_e32 v4, 0, v4, vcc
	v_mov_b32_e32 v6, 0x7f800000
	v_cmp_nlt_f32_e32 vcc, s2, v3
	v_cndmask_b32_e32 v3, v6, v4, vcc
	v_add_f32_e32 v3, 1.0, v3
	v_rcp_f32_e32 v3, v3
	v_fma_f32 v3, v3, -2.0, 1.0
.LBB73_56:
	s_andn2_saveexec_b64 s[0:1], s[0:1]
	s_cbranch_execz .LBB73_58
; %bb.57:
	v_mul_f32_e32 v3, v2, v2
	v_mov_b32_e32 v4, 0x3ca908c9
	v_fmac_f32_e32 v4, 0xbbbac73d, v3
	v_mov_b32_e32 v6, 0xbd5c1c4e
	v_fmac_f32_e32 v6, v3, v4
	;; [unrolled: 2-line block ×4, first 2 shown]
	v_mul_f32_e64 v4, |v2|, v6
	v_fma_f32 v3, v3, v4, |v2|
.LBB73_58:
	s_or_b64 exec, exec, s[0:1]
	s_brev_b32 s0, -2
	v_bfi_b32 v2, s0, v3, v2
	v_mul_f32_e32 v1, 0.5, v1
	v_add_f32_e32 v2, 1.0, v2
	v_mul_f32_e32 v1, v1, v2
	v_mul_f32_e32 v2, v0, v1
.LBB73_59:
	v_mov_b32_e32 v0, v2
.LBB73_60:
	s_load_dwordx2 s[0:1], s[4:5], 0x38
	s_mul_i32 s3, s14, s34
	s_mul_i32 s2, s26, s8
	s_add_i32 s3, s3, s20
	s_add_i32 s2, s3, s2
	s_mov_b32 s3, 0
	s_lshl_b64 s[2:3], s[2:3], 2
	s_waitcnt lgkmcnt(0)
	s_add_u32 s0, s0, s2
	s_addc_u32 s1, s1, s3
	global_store_dword v5, v0, s[0:1]
.LBB73_61:
	s_endpgm
	.section	.rodata,"a",@progbits
	.p2align	6, 0x0
	.amdhsa_kernel _ZL13mul_mat_vec_qIL9ggml_type39ELi1ELb1ELb1EEvPKvS2_PKi31ggml_cuda_mm_fusion_args_devicePfj15HIP_vector_typeIjLj3EEjjjS8_jjjS8_jjjj
		.amdhsa_group_segment_fixed_size 1024
		.amdhsa_private_segment_fixed_size 0
		.amdhsa_kernarg_size 144
		.amdhsa_user_sgpr_count 6
		.amdhsa_user_sgpr_private_segment_buffer 1
		.amdhsa_user_sgpr_dispatch_ptr 0
		.amdhsa_user_sgpr_queue_ptr 0
		.amdhsa_user_sgpr_kernarg_segment_ptr 1
		.amdhsa_user_sgpr_dispatch_id 0
		.amdhsa_user_sgpr_flat_scratch_init 0
		.amdhsa_user_sgpr_private_segment_size 0
		.amdhsa_uses_dynamic_stack 0
		.amdhsa_system_sgpr_private_segment_wavefront_offset 0
		.amdhsa_system_sgpr_workgroup_id_x 1
		.amdhsa_system_sgpr_workgroup_id_y 1
		.amdhsa_system_sgpr_workgroup_id_z 1
		.amdhsa_system_sgpr_workgroup_info 0
		.amdhsa_system_vgpr_workitem_id 1
		.amdhsa_next_free_vgpr 39
		.amdhsa_next_free_sgpr 44
		.amdhsa_reserve_vcc 1
		.amdhsa_reserve_flat_scratch 0
		.amdhsa_float_round_mode_32 0
		.amdhsa_float_round_mode_16_64 0
		.amdhsa_float_denorm_mode_32 3
		.amdhsa_float_denorm_mode_16_64 3
		.amdhsa_dx10_clamp 1
		.amdhsa_ieee_mode 1
		.amdhsa_fp16_overflow 0
		.amdhsa_exception_fp_ieee_invalid_op 0
		.amdhsa_exception_fp_denorm_src 0
		.amdhsa_exception_fp_ieee_div_zero 0
		.amdhsa_exception_fp_ieee_overflow 0
		.amdhsa_exception_fp_ieee_underflow 0
		.amdhsa_exception_fp_ieee_inexact 0
		.amdhsa_exception_int_div_zero 0
	.end_amdhsa_kernel
	.section	.text._ZL13mul_mat_vec_qIL9ggml_type39ELi1ELb1ELb1EEvPKvS2_PKi31ggml_cuda_mm_fusion_args_devicePfj15HIP_vector_typeIjLj3EEjjjS8_jjjS8_jjjj,"axG",@progbits,_ZL13mul_mat_vec_qIL9ggml_type39ELi1ELb1ELb1EEvPKvS2_PKi31ggml_cuda_mm_fusion_args_devicePfj15HIP_vector_typeIjLj3EEjjjS8_jjjS8_jjjj,comdat
.Lfunc_end73:
	.size	_ZL13mul_mat_vec_qIL9ggml_type39ELi1ELb1ELb1EEvPKvS2_PKi31ggml_cuda_mm_fusion_args_devicePfj15HIP_vector_typeIjLj3EEjjjS8_jjjS8_jjjj, .Lfunc_end73-_ZL13mul_mat_vec_qIL9ggml_type39ELi1ELb1ELb1EEvPKvS2_PKi31ggml_cuda_mm_fusion_args_devicePfj15HIP_vector_typeIjLj3EEjjjS8_jjjS8_jjjj
                                        ; -- End function
	.set _ZL13mul_mat_vec_qIL9ggml_type39ELi1ELb1ELb1EEvPKvS2_PKi31ggml_cuda_mm_fusion_args_devicePfj15HIP_vector_typeIjLj3EEjjjS8_jjjS8_jjjj.num_vgpr, 39
	.set _ZL13mul_mat_vec_qIL9ggml_type39ELi1ELb1ELb1EEvPKvS2_PKi31ggml_cuda_mm_fusion_args_devicePfj15HIP_vector_typeIjLj3EEjjjS8_jjjS8_jjjj.num_agpr, 0
	.set _ZL13mul_mat_vec_qIL9ggml_type39ELi1ELb1ELb1EEvPKvS2_PKi31ggml_cuda_mm_fusion_args_devicePfj15HIP_vector_typeIjLj3EEjjjS8_jjjS8_jjjj.numbered_sgpr, 44
	.set _ZL13mul_mat_vec_qIL9ggml_type39ELi1ELb1ELb1EEvPKvS2_PKi31ggml_cuda_mm_fusion_args_devicePfj15HIP_vector_typeIjLj3EEjjjS8_jjjS8_jjjj.num_named_barrier, 0
	.set _ZL13mul_mat_vec_qIL9ggml_type39ELi1ELb1ELb1EEvPKvS2_PKi31ggml_cuda_mm_fusion_args_devicePfj15HIP_vector_typeIjLj3EEjjjS8_jjjS8_jjjj.private_seg_size, 0
	.set _ZL13mul_mat_vec_qIL9ggml_type39ELi1ELb1ELb1EEvPKvS2_PKi31ggml_cuda_mm_fusion_args_devicePfj15HIP_vector_typeIjLj3EEjjjS8_jjjS8_jjjj.uses_vcc, 1
	.set _ZL13mul_mat_vec_qIL9ggml_type39ELi1ELb1ELb1EEvPKvS2_PKi31ggml_cuda_mm_fusion_args_devicePfj15HIP_vector_typeIjLj3EEjjjS8_jjjS8_jjjj.uses_flat_scratch, 0
	.set _ZL13mul_mat_vec_qIL9ggml_type39ELi1ELb1ELb1EEvPKvS2_PKi31ggml_cuda_mm_fusion_args_devicePfj15HIP_vector_typeIjLj3EEjjjS8_jjjS8_jjjj.has_dyn_sized_stack, 0
	.set _ZL13mul_mat_vec_qIL9ggml_type39ELi1ELb1ELb1EEvPKvS2_PKi31ggml_cuda_mm_fusion_args_devicePfj15HIP_vector_typeIjLj3EEjjjS8_jjjS8_jjjj.has_recursion, 0
	.set _ZL13mul_mat_vec_qIL9ggml_type39ELi1ELb1ELb1EEvPKvS2_PKi31ggml_cuda_mm_fusion_args_devicePfj15HIP_vector_typeIjLj3EEjjjS8_jjjS8_jjjj.has_indirect_call, 0
	.section	.AMDGPU.csdata,"",@progbits
; Kernel info:
; codeLenInByte = 3856
; TotalNumSgprs: 48
; NumVgprs: 39
; ScratchSize: 0
; MemoryBound: 0
; FloatMode: 240
; IeeeMode: 1
; LDSByteSize: 1024 bytes/workgroup (compile time only)
; SGPRBlocks: 5
; VGPRBlocks: 9
; NumSGPRsForWavesPerEU: 48
; NumVGPRsForWavesPerEU: 39
; Occupancy: 6
; WaveLimiterHint : 0
; COMPUTE_PGM_RSRC2:SCRATCH_EN: 0
; COMPUTE_PGM_RSRC2:USER_SGPR: 6
; COMPUTE_PGM_RSRC2:TRAP_HANDLER: 0
; COMPUTE_PGM_RSRC2:TGID_X_EN: 1
; COMPUTE_PGM_RSRC2:TGID_Y_EN: 1
; COMPUTE_PGM_RSRC2:TGID_Z_EN: 1
; COMPUTE_PGM_RSRC2:TIDIG_COMP_CNT: 1
	.section	.text._ZL13mul_mat_vec_qIL9ggml_type39ELi1ELb0ELb1EEvPKvS2_PKi31ggml_cuda_mm_fusion_args_devicePfj15HIP_vector_typeIjLj3EEjjjS8_jjjS8_jjjj,"axG",@progbits,_ZL13mul_mat_vec_qIL9ggml_type39ELi1ELb0ELb1EEvPKvS2_PKi31ggml_cuda_mm_fusion_args_devicePfj15HIP_vector_typeIjLj3EEjjjS8_jjjS8_jjjj,comdat
	.globl	_ZL13mul_mat_vec_qIL9ggml_type39ELi1ELb0ELb1EEvPKvS2_PKi31ggml_cuda_mm_fusion_args_devicePfj15HIP_vector_typeIjLj3EEjjjS8_jjjS8_jjjj ; -- Begin function _ZL13mul_mat_vec_qIL9ggml_type39ELi1ELb0ELb1EEvPKvS2_PKi31ggml_cuda_mm_fusion_args_devicePfj15HIP_vector_typeIjLj3EEjjjS8_jjjS8_jjjj
	.p2align	8
	.type	_ZL13mul_mat_vec_qIL9ggml_type39ELi1ELb0ELb1EEvPKvS2_PKi31ggml_cuda_mm_fusion_args_devicePfj15HIP_vector_typeIjLj3EEjjjS8_jjjS8_jjjj,@function
_ZL13mul_mat_vec_qIL9ggml_type39ELi1ELb0ELb1EEvPKvS2_PKi31ggml_cuda_mm_fusion_args_devicePfj15HIP_vector_typeIjLj3EEjjjS8_jjjS8_jjjj: ; @_ZL13mul_mat_vec_qIL9ggml_type39ELi1ELb0ELb1EEvPKvS2_PKi31ggml_cuda_mm_fusion_args_devicePfj15HIP_vector_typeIjLj3EEjjjS8_jjjS8_jjjj
; %bb.0:
	s_load_dwordx2 s[12:13], s[4:5], 0x10
	s_load_dwordx4 s[0:3], s[4:5], 0x40
	s_mov_b32 s10, s7
	s_mov_b64 s[18:19], 0
	s_waitcnt lgkmcnt(0)
	s_cmp_lg_u64 s[12:13], 0
	s_cselect_b64 s[16:17], -1, 0
	s_cmp_eq_u64 s[12:13], 0
	s_cbranch_scc1 .LBB74_5
; %bb.1:
	s_mov_b32 s11, 0
	s_lshl_b64 s[14:15], s[10:11], 2
	s_add_u32 s12, s12, s14
	s_addc_u32 s13, s13, s15
	s_load_dword s25, s[12:13], 0x0
	s_nop 0
	s_load_dwordx4 s[12:15], s[4:5], 0x68
	s_load_dword s24, s[4:5], 0x50
	s_andn2_b64 vcc, exec, s[18:19]
	s_cbranch_vccnz .LBB74_3
.LBB74_2:
	s_load_dwordx2 s[18:19], s[4:5], 0x5c
	s_waitcnt lgkmcnt(0)
	s_mul_hi_u32 s7, s18, s10
	s_add_i32 s7, s10, s7
	s_lshr_b32 s25, s7, s19
.LBB74_3:
	s_load_dword s26, s[4:5], 0x78
	s_andn2_b64 vcc, exec, s[16:17]
	s_cbranch_vccnz .LBB74_6
; %bb.4:
	s_mul_hi_u32 s1, s1, s10
	s_add_i32 s1, s10, s1
	s_lshr_b32 s1, s1, s2
	s_mul_i32 s1, s1, s3
	s_sub_i32 s1, s10, s1
	s_branch .LBB74_7
.LBB74_5:
                                        ; implicit-def: $sgpr25
	s_load_dwordx4 s[12:15], s[4:5], 0x68
	s_load_dword s24, s[4:5], 0x50
	s_branch .LBB74_2
.LBB74_6:
	s_mov_b32 s1, s10
.LBB74_7:
	s_load_dwordx4 s[16:19], s[4:5], 0x80
	v_lshlrev_b32_e32 v2, 6, v1
	v_add_u16_e32 v3, v2, v0
	s_lshr_b32 s11, s0, 5
	v_lshrrev_b16_e32 v6, 1, v3
	s_lshl_b32 s9, s6, 1
	v_cmp_gt_u32_e32 vcc, s11, v6
	v_mov_b32_e32 v5, 0
	v_mov_b32_e32 v4, 0
	s_and_saveexec_b64 s[6:7], vcc
	s_cbranch_execz .LBB74_11
; %bb.8:
	s_waitcnt lgkmcnt(0)
	s_mul_hi_u32 s3, s15, s8
	s_add_i32 s3, s8, s3
	s_lshr_b32 s3, s3, s26
	s_load_dwordx4 s[20:23], s[4:5], 0x0
	s_mul_i32 s2, s25, s12
	s_mul_i32 s3, s3, s16
	s_add_i32 s16, s2, s3
	s_mul_i32 s2, s9, s24
	s_add_i32 s15, s16, s2
	s_add_i32 s2, s9, 1
	s_mul_i32 s0, s17, s8
	s_mul_i32 s24, s24, s2
	s_add_i32 s16, s16, s24
	s_mul_hi_u32 s3, s0, 36
	s_mul_i32 s0, s0, 36
	s_mul_i32 s1, s1, s13
	s_waitcnt lgkmcnt(0)
	s_add_u32 s0, s22, s0
	s_mul_hi_u32 s2, s1, 36
	s_mul_i32 s1, s1, 36
	s_addc_u32 s3, s23, s3
	v_add_u32_e32 v2, v2, v0
	v_lshlrev_b32_e32 v3, 3, v0
	s_add_u32 s0, s0, s1
	v_and_b32_e32 v7, 8, v3
	v_and_b32_e32 v3, 1, v0
	v_lshrrev_b32_e32 v2, 1, v2
	s_addc_u32 s1, s3, s2
	v_lshlrev_b32_e32 v8, 3, v3
	v_mad_u64_u32 v[2:3], s[0:1], v2, 36, s[0:1]
	v_mov_b32_e32 v4, 0
	s_mov_b64 s[12:13], 0
	s_mov_b32 s17, 0xc080604
	v_mov_b32_e32 v9, 0x3020100
	s_mov_b32 s19, 0xf4f8fafc
	v_mov_b32_e32 v10, 0xfdfeff00
	v_mov_b32_e32 v11, 0x200000
	;; [unrolled: 1-line block ×3, first 2 shown]
.LBB74_9:                               ; =>This Inner Loop Header: Depth=1
	v_add_u32_e32 v14, s15, v6
	v_mad_i64_i32 v[14:15], s[0:1], v14, 17, s[20:21]
	v_add_u32_e32 v16, s16, v6
	v_add_co_u32_e32 v12, vcc, v2, v8
	v_mad_i64_i32 v[16:17], s[0:1], v16, 17, s[20:21]
	v_addc_co_u32_e32 v13, vcc, 0, v3, vcc
	v_add_co_u32_e32 v18, vcc, v14, v7
	v_addc_co_u32_e32 v19, vcc, 0, v15, vcc
	v_add_co_u32_e32 v20, vcc, v16, v7
	v_addc_co_u32_e32 v21, vcc, 0, v17, vcc
	global_load_dwordx2 v[22:23], v[18:19], off offset:1
	global_load_dwordx2 v[24:25], v[20:21], off offset:1
	global_load_ubyte v26, v[16:17], off
	global_load_ubyte v27, v[14:15], off
	v_add_u32_e32 v6, 64, v6
	s_waitcnt vmcnt(3)
	v_lshrrev_b32_e32 v15, 1, v22
	v_and_b32_e32 v14, 0x7070707, v22
	v_and_b32_e32 v15, 0x4040404, v15
	v_lshrrev_b32_e32 v17, 1, v23
	v_perm_b32 v19, s17, v9, v14
	v_perm_b32 v14, s19, v10, v14
	v_or_b32_e32 v15, 0x3020100, v15
	v_and_b32_e32 v16, 0x7070707, v23
	v_perm_b32 v19, v14, v19, v15
	s_waitcnt vmcnt(2)
	v_lshrrev_b32_e32 v14, 1, v24
	v_and_b32_e32 v17, 0x4040404, v17
	v_and_b32_e32 v18, 0x7070707, v24
	v_perm_b32 v15, s17, v9, v16
	v_perm_b32 v16, s19, v10, v16
	v_or_b32_e32 v17, 0x3020100, v17
	v_and_b32_e32 v14, 0x4040404, v14
	v_perm_b32 v20, v16, v15, v17
	v_perm_b32 v16, s17, v9, v18
	;; [unrolled: 1-line block ×3, first 2 shown]
	v_or_b32_e32 v14, 0x3020100, v14
	v_perm_b32 v18, v17, v16, v14
	v_lshrrev_b32_e32 v14, 1, v25
	v_and_b32_e32 v15, 0x7070707, v25
	v_and_b32_e32 v14, 0x4040404, v14
	v_ashrrev_i32_e32 v16, 4, v22
	v_ashrrev_i32_e32 v17, 4, v23
	v_perm_b32 v23, s17, v9, v15
	v_perm_b32 v15, s19, v10, v15
	v_or_b32_e32 v14, 0x3020100, v14
	v_perm_b32 v23, v15, v23, v14
	v_lshrrev_b32_e32 v15, 1, v16
	v_and_b32_e32 v14, 0x7070707, v16
	v_and_b32_e32 v15, 0x4040404, v15
	v_ashrrev_i32_e32 v21, 4, v24
	v_perm_b32 v16, s17, v9, v14
	v_perm_b32 v14, s19, v10, v14
	v_or_b32_e32 v15, 0x3020100, v15
	v_perm_b32 v24, v14, v16, v15
	v_lshrrev_b32_e32 v15, 1, v21
	v_and_b32_e32 v14, 0x7070707, v21
	v_and_b32_e32 v15, 0x4040404, v15
	v_perm_b32 v16, s17, v9, v14
	v_perm_b32 v14, s19, v10, v14
	v_or_b32_e32 v15, 0x3020100, v15
	v_perm_b32 v21, v14, v16, v15
	v_lshrrev_b32_e32 v15, 1, v17
	v_and_b32_e32 v14, 0x7070707, v17
	v_and_b32_e32 v15, 0x4040404, v15
	v_ashrrev_i32_e32 v22, 4, v25
	v_perm_b32 v16, s17, v9, v14
	v_perm_b32 v14, s19, v10, v14
	v_or_b32_e32 v15, 0x3020100, v15
	v_perm_b32 v25, v14, v16, v15
	s_waitcnt vmcnt(1)
	v_lshlrev_b32_e32 v14, 23, v26
	v_lshrrev_b32_e32 v16, 1, v22
	s_waitcnt vmcnt(0)
	v_lshlrev_b32_e32 v15, 23, v27
	v_mul_f32_e32 v28, 0.5, v14
	v_and_b32_e32 v14, 0x7070707, v22
	v_and_b32_e32 v16, 0x4040404, v16
	v_mul_f32_e32 v22, 0.5, v15
	v_perm_b32 v15, s17, v9, v14
	v_perm_b32 v14, s19, v10, v14
	v_or_b32_e32 v16, 0x3020100, v16
	v_cmp_ne_u32_e64 s[0:1], 0, v26
	v_perm_b32 v26, v14, v15, v16
	global_load_dwordx2 v[14:15], v[12:13], off offset:4
	global_load_dwordx2 v[16:17], v[12:13], off offset:20
	v_cmp_ne_u32_e64 s[2:3], 0, v27
	global_load_dword v13, v[2:3], off
	v_add_co_u32_e32 v2, vcc, 0x900, v2
	v_addc_co_u32_e32 v3, vcc, 0, v3, vcc
	v_cmp_le_u32_e32 vcc, s11, v6
	s_or_b64 s[12:13], vcc, s[12:13]
	s_waitcnt vmcnt(2)
	v_dot4_i32_i8 v12, v19, v14, 0
	v_dot4_i32_i8 v14, v18, v14, 0
	s_waitcnt vmcnt(1)
	v_dot4_i32_i8 v12, v24, v16, v12
	v_dot4_i32_i8 v14, v21, v16, v14
	;; [unrolled: 1-line block ×4, first 2 shown]
	s_waitcnt vmcnt(0)
	v_cvt_f32_f16_e32 v13, v13
	v_dot4_i32_i8 v12, v25, v17, v12
	v_dot4_i32_i8 v14, v26, v17, v14
	v_cvt_f32_i32_e32 v12, v12
	v_cvt_f32_i32_e32 v14, v14
	v_cndmask_b32_e64 v19, v11, v22, s[2:3]
	v_cndmask_b32_e64 v22, v11, v28, s[0:1]
	v_mul_f32_e32 v15, v19, v13
	v_mul_f32_e32 v13, v22, v13
	v_fmac_f32_e32 v4, v15, v12
	v_fmac_f32_e32 v5, v13, v14
	s_andn2_b64 exec, exec, s[12:13]
	s_cbranch_execnz .LBB74_9
; %bb.10:
	s_or_b64 exec, exec, s[12:13]
.LBB74_11:
	s_or_b64 exec, exec, s[6:7]
	v_cmp_eq_u32_e32 vcc, 0, v1
	v_cmp_ne_u32_e64 s[0:1], 0, v1
	v_lshlrev_b32_e32 v2, 2, v0
	s_and_saveexec_b64 s[2:3], s[0:1]
; %bb.12:
	v_lshl_or_b32 v1, v1, 9, v2
	v_add_u32_e32 v1, 0xfffffe00, v1
	ds_write2st64_b32 v1, v4, v5 offset1:1
; %bb.13:
	s_or_b64 exec, exec, s[2:3]
	s_waitcnt lgkmcnt(0)
	s_barrier
	s_and_saveexec_b64 s[0:1], vcc
	s_cbranch_execz .LBB74_16
; %bb.14:
	v_mbcnt_lo_u32_b32 v1, -1, 0
	v_mbcnt_hi_u32_b32 v1, -1, v1
	v_and_b32_e32 v3, 64, v1
	v_add_u32_e32 v3, 64, v3
	v_xor_b32_e32 v6, 32, v1
	v_cmp_lt_i32_e32 vcc, v6, v3
	v_cndmask_b32_e32 v6, v1, v6, vcc
	v_lshlrev_b32_e32 v8, 2, v6
	v_xor_b32_e32 v6, 16, v1
	v_cmp_lt_i32_e32 vcc, v6, v3
	v_cndmask_b32_e32 v6, v1, v6, vcc
	v_lshlrev_b32_e32 v9, 2, v6
	ds_read2st64_b32 v[6:7], v2 offset1:1
	v_xor_b32_e32 v10, 8, v1
	v_cmp_lt_i32_e32 vcc, v10, v3
	v_cndmask_b32_e32 v10, v1, v10, vcc
	v_lshlrev_b32_e32 v10, 2, v10
	s_waitcnt lgkmcnt(0)
	v_add_f32_e32 v4, v4, v6
	v_add_f32_e32 v5, v5, v7
	ds_bpermute_b32 v6, v8, v4
	ds_bpermute_b32 v7, v8, v5
	v_xor_b32_e32 v11, 4, v1
	v_cmp_lt_i32_e32 vcc, v11, v3
	v_cndmask_b32_e32 v8, v1, v11, vcc
	s_waitcnt lgkmcnt(1)
	v_add_f32_e32 v4, v4, v6
	s_waitcnt lgkmcnt(0)
	v_add_f32_e32 v5, v5, v7
	ds_bpermute_b32 v6, v9, v4
	ds_bpermute_b32 v7, v9, v5
	v_lshlrev_b32_e32 v8, 2, v8
	v_xor_b32_e32 v9, 2, v1
	v_cmp_lt_i32_e32 vcc, v9, v3
	s_waitcnt lgkmcnt(1)
	v_add_f32_e32 v4, v4, v6
	s_waitcnt lgkmcnt(0)
	v_add_f32_e32 v5, v5, v7
	ds_bpermute_b32 v6, v10, v4
	ds_bpermute_b32 v7, v10, v5
	v_cndmask_b32_e32 v9, v1, v9, vcc
	s_load_dword s0, s[4:5], 0x58
	s_mov_b32 s3, 0
	s_waitcnt lgkmcnt(0)
	v_add_f32_e32 v4, v4, v6
	v_add_f32_e32 v5, v5, v7
	ds_bpermute_b32 v6, v8, v4
	ds_bpermute_b32 v7, v8, v5
	v_lshlrev_b32_e32 v8, 2, v9
	v_xor_b32_e32 v9, 1, v1
	v_cmp_lt_i32_e32 vcc, v9, v3
	s_waitcnt lgkmcnt(1)
	v_add_f32_e32 v4, v4, v6
	s_waitcnt lgkmcnt(0)
	v_add_f32_e32 v5, v5, v7
	ds_bpermute_b32 v6, v8, v4
	ds_bpermute_b32 v7, v8, v5
	v_cndmask_b32_e32 v1, v1, v9, vcc
	v_lshlrev_b32_e32 v8, 2, v1
	s_waitcnt lgkmcnt(1)
	v_add_f32_e32 v1, v4, v6
	s_waitcnt lgkmcnt(0)
	v_add_f32_e32 v4, v5, v7
	ds_bpermute_b32 v3, v8, v1
	ds_bpermute_b32 v5, v8, v4
	v_or_b32_e32 v6, s9, v0
	v_cmp_gt_u32_e32 vcc, s0, v6
	v_cmp_gt_u32_e64 s[0:1], 2, v0
	s_and_b64 s[0:1], s[0:1], vcc
	s_and_b64 exec, exec, s[0:1]
	s_cbranch_execz .LBB74_16
; %bb.15:
	s_load_dwordx2 s[0:1], s[4:5], 0x38
	s_mul_i32 s2, s14, s10
	s_add_i32 s2, s2, s9
	s_mul_i32 s4, s18, s8
	s_add_i32 s2, s2, s4
	s_lshl_b64 s[2:3], s[2:3], 2
	s_waitcnt lgkmcnt(0)
	s_add_u32 s0, s0, s2
	v_add_f32_e32 v4, v4, v5
	v_add_f32_e32 v1, v1, v3
	v_cmp_eq_u32_e32 vcc, 1, v0
	s_addc_u32 s1, s1, s3
	v_cndmask_b32_e32 v0, v1, v4, vcc
	global_store_dword v2, v0, s[0:1]
.LBB74_16:
	s_endpgm
	.section	.rodata,"a",@progbits
	.p2align	6, 0x0
	.amdhsa_kernel _ZL13mul_mat_vec_qIL9ggml_type39ELi1ELb0ELb1EEvPKvS2_PKi31ggml_cuda_mm_fusion_args_devicePfj15HIP_vector_typeIjLj3EEjjjS8_jjjS8_jjjj
		.amdhsa_group_segment_fixed_size 512
		.amdhsa_private_segment_fixed_size 0
		.amdhsa_kernarg_size 144
		.amdhsa_user_sgpr_count 6
		.amdhsa_user_sgpr_private_segment_buffer 1
		.amdhsa_user_sgpr_dispatch_ptr 0
		.amdhsa_user_sgpr_queue_ptr 0
		.amdhsa_user_sgpr_kernarg_segment_ptr 1
		.amdhsa_user_sgpr_dispatch_id 0
		.amdhsa_user_sgpr_flat_scratch_init 0
		.amdhsa_user_sgpr_private_segment_size 0
		.amdhsa_uses_dynamic_stack 0
		.amdhsa_system_sgpr_private_segment_wavefront_offset 0
		.amdhsa_system_sgpr_workgroup_id_x 1
		.amdhsa_system_sgpr_workgroup_id_y 1
		.amdhsa_system_sgpr_workgroup_id_z 1
		.amdhsa_system_sgpr_workgroup_info 0
		.amdhsa_system_vgpr_workitem_id 1
		.amdhsa_next_free_vgpr 29
		.amdhsa_next_free_sgpr 27
		.amdhsa_reserve_vcc 1
		.amdhsa_reserve_flat_scratch 0
		.amdhsa_float_round_mode_32 0
		.amdhsa_float_round_mode_16_64 0
		.amdhsa_float_denorm_mode_32 3
		.amdhsa_float_denorm_mode_16_64 3
		.amdhsa_dx10_clamp 1
		.amdhsa_ieee_mode 1
		.amdhsa_fp16_overflow 0
		.amdhsa_exception_fp_ieee_invalid_op 0
		.amdhsa_exception_fp_denorm_src 0
		.amdhsa_exception_fp_ieee_div_zero 0
		.amdhsa_exception_fp_ieee_overflow 0
		.amdhsa_exception_fp_ieee_underflow 0
		.amdhsa_exception_fp_ieee_inexact 0
		.amdhsa_exception_int_div_zero 0
	.end_amdhsa_kernel
	.section	.text._ZL13mul_mat_vec_qIL9ggml_type39ELi1ELb0ELb1EEvPKvS2_PKi31ggml_cuda_mm_fusion_args_devicePfj15HIP_vector_typeIjLj3EEjjjS8_jjjS8_jjjj,"axG",@progbits,_ZL13mul_mat_vec_qIL9ggml_type39ELi1ELb0ELb1EEvPKvS2_PKi31ggml_cuda_mm_fusion_args_devicePfj15HIP_vector_typeIjLj3EEjjjS8_jjjS8_jjjj,comdat
.Lfunc_end74:
	.size	_ZL13mul_mat_vec_qIL9ggml_type39ELi1ELb0ELb1EEvPKvS2_PKi31ggml_cuda_mm_fusion_args_devicePfj15HIP_vector_typeIjLj3EEjjjS8_jjjS8_jjjj, .Lfunc_end74-_ZL13mul_mat_vec_qIL9ggml_type39ELi1ELb0ELb1EEvPKvS2_PKi31ggml_cuda_mm_fusion_args_devicePfj15HIP_vector_typeIjLj3EEjjjS8_jjjS8_jjjj
                                        ; -- End function
	.set _ZL13mul_mat_vec_qIL9ggml_type39ELi1ELb0ELb1EEvPKvS2_PKi31ggml_cuda_mm_fusion_args_devicePfj15HIP_vector_typeIjLj3EEjjjS8_jjjS8_jjjj.num_vgpr, 29
	.set _ZL13mul_mat_vec_qIL9ggml_type39ELi1ELb0ELb1EEvPKvS2_PKi31ggml_cuda_mm_fusion_args_devicePfj15HIP_vector_typeIjLj3EEjjjS8_jjjS8_jjjj.num_agpr, 0
	.set _ZL13mul_mat_vec_qIL9ggml_type39ELi1ELb0ELb1EEvPKvS2_PKi31ggml_cuda_mm_fusion_args_devicePfj15HIP_vector_typeIjLj3EEjjjS8_jjjS8_jjjj.numbered_sgpr, 27
	.set _ZL13mul_mat_vec_qIL9ggml_type39ELi1ELb0ELb1EEvPKvS2_PKi31ggml_cuda_mm_fusion_args_devicePfj15HIP_vector_typeIjLj3EEjjjS8_jjjS8_jjjj.num_named_barrier, 0
	.set _ZL13mul_mat_vec_qIL9ggml_type39ELi1ELb0ELb1EEvPKvS2_PKi31ggml_cuda_mm_fusion_args_devicePfj15HIP_vector_typeIjLj3EEjjjS8_jjjS8_jjjj.private_seg_size, 0
	.set _ZL13mul_mat_vec_qIL9ggml_type39ELi1ELb0ELb1EEvPKvS2_PKi31ggml_cuda_mm_fusion_args_devicePfj15HIP_vector_typeIjLj3EEjjjS8_jjjS8_jjjj.uses_vcc, 1
	.set _ZL13mul_mat_vec_qIL9ggml_type39ELi1ELb0ELb1EEvPKvS2_PKi31ggml_cuda_mm_fusion_args_devicePfj15HIP_vector_typeIjLj3EEjjjS8_jjjS8_jjjj.uses_flat_scratch, 0
	.set _ZL13mul_mat_vec_qIL9ggml_type39ELi1ELb0ELb1EEvPKvS2_PKi31ggml_cuda_mm_fusion_args_devicePfj15HIP_vector_typeIjLj3EEjjjS8_jjjS8_jjjj.has_dyn_sized_stack, 0
	.set _ZL13mul_mat_vec_qIL9ggml_type39ELi1ELb0ELb1EEvPKvS2_PKi31ggml_cuda_mm_fusion_args_devicePfj15HIP_vector_typeIjLj3EEjjjS8_jjjS8_jjjj.has_recursion, 0
	.set _ZL13mul_mat_vec_qIL9ggml_type39ELi1ELb0ELb1EEvPKvS2_PKi31ggml_cuda_mm_fusion_args_devicePfj15HIP_vector_typeIjLj3EEjjjS8_jjjS8_jjjj.has_indirect_call, 0
	.section	.AMDGPU.csdata,"",@progbits
; Kernel info:
; codeLenInByte = 1644
; TotalNumSgprs: 31
; NumVgprs: 29
; ScratchSize: 0
; MemoryBound: 0
; FloatMode: 240
; IeeeMode: 1
; LDSByteSize: 512 bytes/workgroup (compile time only)
; SGPRBlocks: 3
; VGPRBlocks: 7
; NumSGPRsForWavesPerEU: 31
; NumVGPRsForWavesPerEU: 29
; Occupancy: 8
; WaveLimiterHint : 0
; COMPUTE_PGM_RSRC2:SCRATCH_EN: 0
; COMPUTE_PGM_RSRC2:USER_SGPR: 6
; COMPUTE_PGM_RSRC2:TRAP_HANDLER: 0
; COMPUTE_PGM_RSRC2:TGID_X_EN: 1
; COMPUTE_PGM_RSRC2:TGID_Y_EN: 1
; COMPUTE_PGM_RSRC2:TGID_Z_EN: 1
; COMPUTE_PGM_RSRC2:TIDIG_COMP_CNT: 1
	.section	.text._ZL13mul_mat_vec_qIL9ggml_type39ELi1ELb1ELb0EEvPKvS2_PKi31ggml_cuda_mm_fusion_args_devicePfj15HIP_vector_typeIjLj3EEjjjS8_jjjS8_jjjj,"axG",@progbits,_ZL13mul_mat_vec_qIL9ggml_type39ELi1ELb1ELb0EEvPKvS2_PKi31ggml_cuda_mm_fusion_args_devicePfj15HIP_vector_typeIjLj3EEjjjS8_jjjS8_jjjj,comdat
	.globl	_ZL13mul_mat_vec_qIL9ggml_type39ELi1ELb1ELb0EEvPKvS2_PKi31ggml_cuda_mm_fusion_args_devicePfj15HIP_vector_typeIjLj3EEjjjS8_jjjS8_jjjj ; -- Begin function _ZL13mul_mat_vec_qIL9ggml_type39ELi1ELb1ELb0EEvPKvS2_PKi31ggml_cuda_mm_fusion_args_devicePfj15HIP_vector_typeIjLj3EEjjjS8_jjjS8_jjjj
	.p2align	8
	.type	_ZL13mul_mat_vec_qIL9ggml_type39ELi1ELb1ELb0EEvPKvS2_PKi31ggml_cuda_mm_fusion_args_devicePfj15HIP_vector_typeIjLj3EEjjjS8_jjjS8_jjjj,@function
_ZL13mul_mat_vec_qIL9ggml_type39ELi1ELb1ELb0EEvPKvS2_PKi31ggml_cuda_mm_fusion_args_devicePfj15HIP_vector_typeIjLj3EEjjjS8_jjjS8_jjjj: ; @_ZL13mul_mat_vec_qIL9ggml_type39ELi1ELb1ELb0EEvPKvS2_PKi31ggml_cuda_mm_fusion_args_devicePfj15HIP_vector_typeIjLj3EEjjjS8_jjjS8_jjjj
; %bb.0:
	s_load_dwordx8 s[16:23], s[4:5], 0x0
	s_load_dwordx4 s[36:39], s[4:5], 0x20
	s_load_dwordx4 s[12:15], s[4:5], 0x40
	;; [unrolled: 1-line block ×3, first 2 shown]
	s_mov_b32 s34, s7
	s_waitcnt lgkmcnt(0)
	s_cmp_lg_u64 s[20:21], 0
	s_cselect_b64 s[0:1], -1, 0
	s_cmp_eq_u64 s[20:21], 0
	s_mov_b64 s[2:3], 0
	s_cbranch_scc1 .LBB75_5
; %bb.1:
	s_mov_b32 s35, 0
	s_lshl_b64 s[10:11], s[34:35], 2
	s_add_u32 s10, s20, s10
	s_addc_u32 s11, s21, s11
	s_load_dword s9, s[10:11], 0x0
	s_load_dword s33, s[4:5], 0x50
	;; [unrolled: 1-line block ×3, first 2 shown]
	s_andn2_b64 vcc, exec, s[2:3]
	s_cbranch_vccnz .LBB75_3
.LBB75_2:
	s_load_dwordx2 s[2:3], s[4:5], 0x5c
	s_waitcnt lgkmcnt(0)
	s_mul_hi_u32 s2, s2, s34
	s_add_i32 s2, s34, s2
	s_lshr_b32 s9, s2, s3
.LBB75_3:
	s_andn2_b64 vcc, exec, s[0:1]
	s_cbranch_vccnz .LBB75_6
; %bb.4:
	s_mul_hi_u32 s0, s13, s34
	s_add_i32 s0, s34, s0
	s_lshr_b32 s0, s0, s14
	s_mul_i32 s0, s0, s15
	s_sub_i32 s40, s34, s0
	s_waitcnt lgkmcnt(0)
	s_mov_b32 s2, s9
	s_branch .LBB75_7
.LBB75_5:
                                        ; implicit-def: $sgpr9
	s_load_dword s33, s[4:5], 0x50
	s_load_dword s35, s[4:5], 0x78
	s_branch .LBB75_2
.LBB75_6:
	s_mov_b32 s2, s34
	s_mov_b32 s40, s34
.LBB75_7:
	s_load_dwordx4 s[28:31], s[4:5], 0x80
	s_cmp_lg_u64 s[22:23], 0
	v_or_b32_e32 v2, v0, v1
	s_cselect_b64 s[0:1], -1, 0
	v_cmp_eq_u32_e32 vcc, 0, v2
	s_mov_b32 s15, 0
	s_and_b64 s[20:21], s[0:1], vcc
	v_mov_b32_e32 v11, 0
	s_mul_i32 s10, s2, s26
	v_lshlrev_b32_e32 v10, 2, v0
	v_mov_b32_e32 v12, 0
	s_and_saveexec_b64 s[2:3], s[20:21]
	s_cbranch_execz .LBB75_9
; %bb.8:
	s_waitcnt lgkmcnt(0)
	s_mul_i32 s14, s30, s8
	s_lshl_b64 s[20:21], s[14:15], 2
	s_add_u32 s7, s22, s20
	s_mov_b32 s11, s15
	s_addc_u32 s13, s23, s21
	s_lshl_b64 s[14:15], s[10:11], 2
	s_add_u32 s11, s7, s14
	s_addc_u32 s13, s13, s15
	s_ashr_i32 s7, s6, 31
	s_lshl_b64 s[14:15], s[6:7], 2
	s_add_u32 s14, s11, s14
	s_addc_u32 s15, s13, s15
	global_load_dword v12, v10, s[14:15]
.LBB75_9:
	s_or_b64 exec, exec, s[2:3]
	s_cmp_lg_u64 s[36:37], 0
	s_cselect_b64 s[14:15], -1, 0
	s_cmp_lg_u64 s[38:39], 0
	s_cselect_b64 s[2:3], -1, 0
	s_and_b64 s[20:21], s[2:3], s[14:15]
	s_and_b64 s[22:23], s[20:21], vcc
	s_and_saveexec_b64 s[20:21], s[22:23]
	s_cbranch_execz .LBB75_11
; %bb.10:
	s_waitcnt lgkmcnt(0)
	s_mul_i32 s22, s30, s8
	s_mov_b32 s23, 0
	s_lshl_b64 s[42:43], s[22:23], 2
	s_add_u32 s7, s38, s42
	s_mov_b32 s11, s23
	s_addc_u32 s13, s39, s43
	s_lshl_b64 s[10:11], s[10:11], 2
	s_add_u32 s22, s7, s10
	s_addc_u32 s13, s13, s11
	s_ashr_i32 s7, s6, 31
	s_lshl_b64 s[10:11], s[6:7], 2
	s_add_u32 s10, s22, s10
	s_addc_u32 s11, s13, s11
	global_load_dword v11, v10, s[10:11]
.LBB75_11:
	s_or_b64 exec, exec, s[20:21]
	v_lshlrev_b32_e32 v2, 6, v1
	v_add_u16_e32 v3, v2, v0
	s_lshr_b32 s7, s12, 5
	v_lshrrev_b16_e32 v15, 1, v3
	v_cndmask_b32_e64 v3, 0, 1, s[14:15]
	v_cmp_gt_u32_e32 vcc, s7, v15
	v_mov_b32_e32 v14, 0
	v_cmp_ne_u32_e64 s[12:13], 1, v3
	v_mov_b32_e32 v13, 0
	s_and_saveexec_b64 s[20:21], vcc
	s_cbranch_execz .LBB75_17
; %bb.12:
	s_mul_hi_u32 s22, s27, s8
	s_add_i32 s22, s8, s22
	s_waitcnt lgkmcnt(0)
	s_lshr_b32 s22, s22, s35
	s_mul_i32 s33, s33, s6
	s_mul_i32 s22, s22, s28
	;; [unrolled: 1-line block ×4, first 2 shown]
	s_add_i32 s22, s22, s33
	s_add_i32 s9, s9, s22
	s_mul_hi_u32 s23, s10, 36
	s_mul_i32 s10, s10, 36
	s_mul_i32 s11, s40, s25
	s_add_u32 s10, s18, s10
	s_mul_hi_u32 s22, s11, 36
	s_mul_i32 s11, s11, 36
	s_addc_u32 s18, s19, s23
	v_add_u32_e32 v2, v2, v0
	v_lshlrev_b32_e32 v3, 3, v0
	s_add_u32 s10, s10, s11
	v_and_b32_e32 v16, 8, v3
	v_and_b32_e32 v3, 1, v0
	v_lshrrev_b32_e32 v2, 1, v2
	s_addc_u32 s11, s18, s22
	v_lshlrev_b32_e32 v18, 3, v3
	v_mad_u64_u32 v[2:3], s[10:11], v2, 36, s[10:11]
	v_mov_b32_e32 v17, 0
	s_mov_b64 s[18:19], 0
	s_mov_b32 s22, 0xc080604
	s_mov_b32 s23, 0xf4f8fafc
	v_mov_b32_e32 v19, 0x3020100
	v_mov_b32_e32 v20, 0xfdfeff00
	;; [unrolled: 1-line block ×6, first 2 shown]
	s_branch .LBB75_14
.LBB75_13:                              ;   in Loop: Header=BB75_14 Depth=1
	v_ashrrev_i32_e32 v25, 4, v8
	v_and_b32_e32 v26, 0x7070707, v8
	v_lshrrev_b32_e32 v8, 1, v8
	v_and_b32_e32 v28, 0x7070707, v25
	v_and_b32_e32 v8, 0x4040404, v8
	v_lshrrev_b32_e32 v25, 1, v25
	v_perm_b32 v27, s22, v19, v26
	v_perm_b32 v26, s23, v20, v26
	v_or_b32_e32 v8, 0x3020100, v8
	v_and_b32_e32 v25, 0x4040404, v25
	v_perm_b32 v29, s22, v19, v28
	v_perm_b32 v28, s23, v20, v28
	;; [unrolled: 1-line block ×3, first 2 shown]
	v_or_b32_e32 v25, 0x3020100, v25
	v_perm_b32 v25, v28, v29, v25
	v_dot4_i32_i8 v4, v8, v4, 0
	v_dot4_i32_i8 v4, v25, v6, v4
	v_ashrrev_i32_e32 v6, 4, v9
	v_and_b32_e32 v8, 0x7070707, v9
	v_lshrrev_b32_e32 v9, 1, v9
	v_and_b32_e32 v26, 0x7070707, v6
	v_and_b32_e32 v9, 0x4040404, v9
	v_lshrrev_b32_e32 v6, 1, v6
	v_perm_b32 v25, s22, v19, v8
	v_perm_b32 v8, s23, v20, v8
	v_or_b32_e32 v9, 0x3020100, v9
	v_and_b32_e32 v6, 0x4040404, v6
	v_perm_b32 v27, s22, v19, v26
	v_perm_b32 v26, s23, v20, v26
	;; [unrolled: 1-line block ×3, first 2 shown]
	v_or_b32_e32 v6, 0x3020100, v6
	v_perm_b32 v6, v26, v27, v6
	v_dot4_i32_i8 v4, v8, v5, v4
	v_dot4_i32_i8 v4, v6, v7, v4
	v_lshlrev_b32_sdwa v5, v22, v23 dst_sel:DWORD dst_unused:UNUSED_PAD src0_sel:DWORD src1_sel:BYTE_0
	v_cvt_f32_i32_e32 v4, v4
	v_mul_f32_e32 v5, 0.5, v5
	v_cmp_ne_u16_sdwa vcc, v23, v17 src0_sel:BYTE_0 src1_sel:DWORD
	v_cndmask_b32_e32 v5, v21, v5, vcc
	v_add_u32_e32 v15, 64, v15
	v_mul_f32_e32 v5, v5, v24
	v_add_co_u32_e32 v2, vcc, 0x900, v2
	v_cmp_le_u32_e64 s[10:11], s7, v15
	v_fmac_f32_e32 v14, v5, v4
	s_or_b64 s[18:19], s[10:11], s[18:19]
	v_addc_co_u32_e32 v3, vcc, 0, v3, vcc
	s_andn2_b64 exec, exec, s[18:19]
	s_cbranch_execz .LBB75_16
.LBB75_14:                              ; =>This Inner Loop Header: Depth=1
	v_add_u32_e32 v25, s9, v15
	v_mad_i64_i32 v[26:27], s[10:11], v25, 17, s[16:17]
	v_add_co_u32_e32 v28, vcc, v2, v18
	v_addc_co_u32_e32 v29, vcc, 0, v3, vcc
	v_add_co_u32_e32 v30, vcc, v26, v16
	v_addc_co_u32_e32 v31, vcc, 0, v27, vcc
	global_load_dwordx2 v[8:9], v[30:31], off offset:1
	global_load_dwordx2 v[4:5], v[28:29], off offset:4
	;; [unrolled: 1-line block ×3, first 2 shown]
	global_load_ubyte v23, v[26:27], off
	global_load_dword v24, v[2:3], off
	s_and_b64 vcc, exec, s[12:13]
	s_waitcnt vmcnt(0)
	v_cvt_f32_f16_e32 v24, v24
	s_cbranch_vccnz .LBB75_13
; %bb.15:                               ;   in Loop: Header=BB75_14 Depth=1
	v_mad_i64_i32 v[25:26], s[10:11], v25, 17, s[36:37]
	v_add_co_u32_e32 v27, vcc, v25, v16
	v_addc_co_u32_e32 v28, vcc, 0, v26, vcc
	global_load_dwordx2 v[27:28], v[27:28], off offset:1
	s_nop 0
	global_load_ubyte v25, v[25:26], off
	s_waitcnt vmcnt(1)
	v_ashrrev_i32_e32 v29, 4, v27
	v_and_b32_e32 v30, 0x7070707, v27
	v_lshrrev_b32_e32 v27, 1, v27
	v_and_b32_e32 v32, 0x7070707, v29
	v_and_b32_e32 v27, 0x4040404, v27
	v_lshrrev_b32_e32 v29, 1, v29
	v_perm_b32 v31, s22, v19, v30
	v_perm_b32 v30, s23, v20, v30
	v_or_b32_e32 v27, 0x3020100, v27
	v_and_b32_e32 v29, 0x4040404, v29
	v_perm_b32 v33, s22, v19, v32
	v_perm_b32 v32, s23, v20, v32
	;; [unrolled: 1-line block ×3, first 2 shown]
	v_or_b32_e32 v29, 0x3020100, v29
	v_perm_b32 v29, v32, v33, v29
	v_dot4_i32_i8 v27, v27, v4, 0
	v_dot4_i32_i8 v27, v29, v6, v27
	v_ashrrev_i32_e32 v29, 4, v28
	v_and_b32_e32 v30, 0x7070707, v28
	v_lshrrev_b32_e32 v28, 1, v28
	v_and_b32_e32 v32, 0x7070707, v29
	v_and_b32_e32 v28, 0x4040404, v28
	v_lshrrev_b32_e32 v29, 1, v29
	v_perm_b32 v31, s22, v19, v30
	v_perm_b32 v30, s23, v20, v30
	v_or_b32_e32 v28, 0x3020100, v28
	v_and_b32_e32 v29, 0x4040404, v29
	v_perm_b32 v33, s22, v19, v32
	v_perm_b32 v32, s23, v20, v32
	;; [unrolled: 1-line block ×3, first 2 shown]
	v_or_b32_e32 v29, 0x3020100, v29
	v_perm_b32 v29, v32, v33, v29
	v_dot4_i32_i8 v27, v28, v5, v27
	v_dot4_i32_i8 v27, v29, v7, v27
	s_waitcnt vmcnt(0)
	v_cmp_ne_u32_e32 vcc, 0, v25
	v_lshlrev_b32_e32 v25, 23, v25
	v_cvt_f32_i32_e32 v26, v27
	v_mul_f32_e32 v25, 0.5, v25
	v_cndmask_b32_e32 v25, v21, v25, vcc
	v_mul_f32_e32 v25, v25, v24
	v_fmac_f32_e32 v13, v25, v26
	s_branch .LBB75_13
.LBB75_16:
	s_or_b64 exec, exec, s[18:19]
.LBB75_17:
	s_or_b64 exec, exec, s[20:21]
	s_load_dword s7, s[4:5], 0x30
	v_cmp_eq_u32_e64 s[10:11], 0, v1
	v_cmp_ne_u32_e32 vcc, 0, v1
	s_and_saveexec_b64 s[16:17], vcc
	s_cbranch_execz .LBB75_21
; %bb.18:
	s_and_b64 vcc, exec, s[14:15]
	s_cbranch_vccz .LBB75_20
; %bb.19:
	v_lshl_add_u32 v2, v1, 8, v10
	ds_write_b32 v2, v13
.LBB75_20:
	v_lshlrev_b32_e32 v1, 8, v1
	s_waitcnt lgkmcnt(0)
	s_movk_i32 s9, 0xff00
	v_add3_u32 v1, v1, v10, s9
	ds_write_b32 v1, v14
.LBB75_21:
	s_or_b64 exec, exec, s[16:17]
	s_waitcnt vmcnt(0) lgkmcnt(0)
	s_barrier
	s_and_saveexec_b64 s[14:15], s[10:11]
	s_cbranch_execz .LBB75_50
; %bb.22:
	ds_read_b32 v2, v10
	s_and_b64 vcc, exec, s[12:13]
	s_cbranch_vccnz .LBB75_24
; %bb.23:
	ds_read_b32 v1, v10 offset:256
	s_waitcnt lgkmcnt(0)
	v_add_f32_e32 v13, v13, v1
.LBB75_24:
	v_mbcnt_lo_u32_b32 v1, -1, 0
	v_mbcnt_hi_u32_b32 v3, -1, v1
	v_and_b32_e32 v1, 64, v3
	v_add_u32_e32 v4, 64, v1
	v_xor_b32_e32 v1, 32, v3
	v_cmp_lt_i32_e32 vcc, v1, v4
	v_cndmask_b32_e32 v1, v3, v1, vcc
	v_lshlrev_b32_e32 v1, 2, v1
	s_waitcnt lgkmcnt(0)
	v_add_f32_e32 v5, v14, v2
	ds_bpermute_b32 v6, v1, v5
	v_xor_b32_e32 v2, 16, v3
	v_cmp_lt_i32_e32 vcc, v2, v4
	v_cndmask_b32_e32 v2, v3, v2, vcc
	v_lshlrev_b32_e32 v2, 2, v2
	s_waitcnt lgkmcnt(0)
	v_add_f32_e32 v6, v5, v6
	ds_bpermute_b32 v7, v2, v6
	;; [unrolled: 7-line block ×6, first 2 shown]
	s_and_b64 vcc, exec, s[12:13]
	s_cbranch_vccnz .LBB75_26
; %bb.25:
	ds_bpermute_b32 v1, v1, v13
	s_waitcnt lgkmcnt(0)
	v_add_f32_e32 v1, v13, v1
	ds_bpermute_b32 v2, v2, v1
	s_waitcnt lgkmcnt(0)
	v_add_f32_e32 v1, v1, v2
	;; [unrolled: 3-line block ×6, first 2 shown]
.LBB75_26:
	v_cmp_eq_u32_e32 vcc, 0, v0
	s_and_b64 exec, exec, vcc
	s_cbranch_execz .LBB75_50
; %bb.27:
	s_waitcnt lgkmcnt(0)
	v_add_f32_e32 v0, v3, v4
	v_add_f32_e32 v1, v12, v0
	s_and_b64 vcc, exec, s[12:13]
	v_cndmask_b32_e64 v0, v0, v1, s[0:1]
	s_cbranch_vccnz .LBB75_49
; %bb.28:
	v_add_f32_e32 v1, v11, v13
	v_cndmask_b32_e64 v1, v13, v1, s[2:3]
	s_cmp_lt_i32 s7, 2
	s_mov_b64 s[0:1], 0
	s_cbranch_scc1 .LBB75_32
; %bb.29:
	s_cmp_gt_i32 s7, 2
	s_cbranch_scc0 .LBB75_33
; %bb.30:
	s_cmp_eq_u32 s7, 3
	s_cbranch_scc0 .LBB75_34
; %bb.31:
	v_max_f32_e32 v2, v1, v1
	v_min_f32_e32 v2, 0x40e00000, v2
	v_mul_f32_e32 v3, 0xbfd9db23, v2
	s_mov_b32 s2, 0x3fb8aa3b
	v_mul_f32_e32 v4, 0x3fb8aa3b, v3
	v_fma_f32 v5, v3, s2, -v4
	v_rndne_f32_e32 v6, v4
	v_fmac_f32_e32 v5, 0x32a5705f, v3
	v_sub_f32_e32 v4, v4, v6
	v_add_f32_e32 v4, v4, v5
	v_exp_f32_e32 v4, v4
	v_cvt_i32_f32_e32 v5, v6
	s_mov_b32 s2, 0xc2ce8ed0
	v_cmp_ngt_f32_e32 vcc, s2, v3
	s_mov_b32 s2, 0x42b17218
	v_ldexp_f32 v4, v4, v5
	v_cndmask_b32_e32 v4, 0, v4, vcc
	v_mov_b32_e32 v5, 0x7f800000
	v_cmp_nlt_f32_e32 vcc, s2, v3
	v_cndmask_b32_e32 v3, v5, v4, vcc
	v_add_f32_e32 v3, 1.0, v3
	v_div_scale_f32 v4, s[2:3], v3, v3, v2
	v_div_scale_f32 v5, vcc, v2, v3, v2
	s_mov_b64 s[2:3], 0
	v_rcp_f32_e32 v6, v4
	v_fma_f32 v7, -v4, v6, 1.0
	v_fmac_f32_e32 v6, v7, v6
	v_mul_f32_e32 v7, v5, v6
	v_fma_f32 v8, -v4, v7, v5
	v_fmac_f32_e32 v7, v8, v6
	v_fma_f32 v4, -v4, v7, v5
	v_div_fmas_f32 v4, v4, v6, v7
	v_max_f32_e32 v5, v0, v0
	v_min_f32_e32 v5, 0x40e00000, v5
	v_max_f32_e32 v5, 0xc0e00000, v5
	v_add_f32_e32 v5, 1.0, v5
	v_div_fixup_f32 v2, v4, v3, v2
	v_mul_f32_e32 v2, v5, v2
	s_branch .LBB75_35
.LBB75_32:
                                        ; implicit-def: $vgpr2
	s_mov_b64 s[2:3], 0
	s_cbranch_execnz .LBB75_39
	s_branch .LBB75_40
.LBB75_33:
	s_mov_b64 s[10:11], -1
	s_mov_b64 s[2:3], 0
                                        ; implicit-def: $vgpr2
	s_branch .LBB75_36
.LBB75_34:
	s_mov_b64 s[2:3], -1
                                        ; implicit-def: $vgpr2
.LBB75_35:
	s_mov_b64 s[10:11], 0
.LBB75_36:
	s_and_b64 vcc, exec, s[10:11]
	s_cbranch_vccz .LBB75_38
; %bb.37:
	v_mul_f32_e32 v2, 0xbfb8aa3b, v1
	s_mov_b32 s9, 0xbfb8aa3b
	v_rndne_f32_e32 v3, v2
	v_sub_f32_e32 v4, v2, v3
	v_fma_f32 v2, v1, s9, -v2
	v_fmac_f32_e32 v2, 0xb2a5705f, v1
	v_add_f32_e32 v2, v4, v2
	v_exp_f32_e32 v2, v2
	v_cvt_i32_f32_e32 v3, v3
	s_mov_b32 s9, 0x42ce8ed0
	v_cmp_nlt_f32_e32 vcc, s9, v1
	s_mov_b32 s9, 0xc2b17218
	v_ldexp_f32 v2, v2, v3
	v_cndmask_b32_e32 v2, 0, v2, vcc
	v_mov_b32_e32 v3, 0x7f800000
	v_cmp_ngt_f32_e32 vcc, s9, v1
	v_cndmask_b32_e32 v2, v3, v2, vcc
	v_add_f32_e32 v2, 1.0, v2
	v_div_scale_f32 v3, s[10:11], v2, v2, v1
	v_div_scale_f32 v4, vcc, v1, v2, v1
	v_rcp_f32_e32 v5, v3
	v_fma_f32 v6, -v3, v5, 1.0
	v_fmac_f32_e32 v5, v6, v5
	v_mul_f32_e32 v6, v4, v5
	v_fma_f32 v7, -v3, v6, v4
	v_fmac_f32_e32 v6, v7, v5
	v_fma_f32 v3, -v3, v6, v4
	v_div_fmas_f32 v3, v3, v5, v6
	v_div_fixup_f32 v2, v3, v2, v1
	v_mul_f32_e32 v2, v0, v2
.LBB75_38:
	s_branch .LBB75_40
.LBB75_39:
	s_cmp_lg_u32 s7, 1
	s_mov_b64 s[0:1], -1
	s_cselect_b64 s[2:3], -1, 0
.LBB75_40:
	s_andn2_b64 vcc, exec, s[2:3]
	s_cbranch_vccz .LBB75_42
; %bb.41:
	s_andn2_b64 vcc, exec, s[0:1]
	s_cbranch_vccz .LBB75_43
	s_branch .LBB75_48
.LBB75_42:
	v_mul_f32_e32 v2, v1, v0
	s_cbranch_execnz .LBB75_48
.LBB75_43:
	v_mul_f32_e32 v3, 0x3d372713, v1
	v_mul_f32_e32 v2, 0x3f4c422a, v1
	v_fma_f32 v3, v1, v3, 1.0
	v_mul_f32_e32 v2, v2, v3
	s_mov_b32 s0, 0x3f200000
	v_cmp_nlt_f32_e64 s[0:1], |v2|, s0
                                        ; implicit-def: $vgpr3
	s_and_saveexec_b64 s[2:3], s[0:1]
	s_xor_b64 s[0:1], exec, s[2:3]
	s_cbranch_execz .LBB75_45
; %bb.44:
	v_add_f32_e64 v3, |v2|, |v2|
	v_mul_f32_e32 v4, 0x3fb8aa3b, v3
	s_mov_b32 s2, 0x3fb8aa3b
	v_rndne_f32_e32 v5, v4
	v_sub_f32_e32 v6, v4, v5
	v_fma_f32 v4, v3, s2, -v4
	v_fmac_f32_e32 v4, 0x32a5705f, v3
	v_add_f32_e32 v4, v6, v4
	v_exp_f32_e32 v4, v4
	v_cvt_i32_f32_e32 v5, v5
	s_mov_b32 s2, 0xc2ce8ed0
	v_cmp_ngt_f32_e32 vcc, s2, v3
	s_mov_b32 s2, 0x42b17218
	v_ldexp_f32 v4, v4, v5
	v_cndmask_b32_e32 v4, 0, v4, vcc
	v_mov_b32_e32 v5, 0x7f800000
	v_cmp_nlt_f32_e32 vcc, s2, v3
	v_cndmask_b32_e32 v3, v5, v4, vcc
	v_add_f32_e32 v3, 1.0, v3
	v_rcp_f32_e32 v3, v3
	v_fma_f32 v3, v3, -2.0, 1.0
.LBB75_45:
	s_andn2_saveexec_b64 s[0:1], s[0:1]
	s_cbranch_execz .LBB75_47
; %bb.46:
	v_mul_f32_e32 v3, v2, v2
	v_mov_b32_e32 v4, 0x3ca908c9
	v_fmac_f32_e32 v4, 0xbbbac73d, v3
	v_mov_b32_e32 v5, 0xbd5c1c4e
	v_fmac_f32_e32 v5, v3, v4
	;; [unrolled: 2-line block ×4, first 2 shown]
	v_mul_f32_e64 v4, |v2|, v5
	v_fma_f32 v3, v3, v4, |v2|
.LBB75_47:
	s_or_b64 exec, exec, s[0:1]
	s_brev_b32 s0, -2
	v_bfi_b32 v2, s0, v3, v2
	v_mul_f32_e32 v1, 0.5, v1
	v_add_f32_e32 v2, 1.0, v2
	v_mul_f32_e32 v1, v1, v2
	v_mul_f32_e32 v2, v0, v1
.LBB75_48:
	v_mov_b32_e32 v0, v2
.LBB75_49:
	s_load_dwordx2 s[0:1], s[4:5], 0x38
	s_mul_i32 s3, s26, s34
	s_mul_i32 s2, s30, s8
	s_add_i32 s3, s3, s6
	s_add_i32 s2, s3, s2
	s_mov_b32 s3, 0
	s_lshl_b64 s[2:3], s[2:3], 2
	s_waitcnt lgkmcnt(0)
	s_add_u32 s0, s0, s2
	s_addc_u32 s1, s1, s3
	global_store_dword v10, v0, s[0:1]
.LBB75_50:
	s_endpgm
	.section	.rodata,"a",@progbits
	.p2align	6, 0x0
	.amdhsa_kernel _ZL13mul_mat_vec_qIL9ggml_type39ELi1ELb1ELb0EEvPKvS2_PKi31ggml_cuda_mm_fusion_args_devicePfj15HIP_vector_typeIjLj3EEjjjS8_jjjS8_jjjj
		.amdhsa_group_segment_fixed_size 512
		.amdhsa_private_segment_fixed_size 0
		.amdhsa_kernarg_size 144
		.amdhsa_user_sgpr_count 6
		.amdhsa_user_sgpr_private_segment_buffer 1
		.amdhsa_user_sgpr_dispatch_ptr 0
		.amdhsa_user_sgpr_queue_ptr 0
		.amdhsa_user_sgpr_kernarg_segment_ptr 1
		.amdhsa_user_sgpr_dispatch_id 0
		.amdhsa_user_sgpr_flat_scratch_init 0
		.amdhsa_user_sgpr_private_segment_size 0
		.amdhsa_uses_dynamic_stack 0
		.amdhsa_system_sgpr_private_segment_wavefront_offset 0
		.amdhsa_system_sgpr_workgroup_id_x 1
		.amdhsa_system_sgpr_workgroup_id_y 1
		.amdhsa_system_sgpr_workgroup_id_z 1
		.amdhsa_system_sgpr_workgroup_info 0
		.amdhsa_system_vgpr_workitem_id 1
		.amdhsa_next_free_vgpr 34
		.amdhsa_next_free_sgpr 44
		.amdhsa_reserve_vcc 1
		.amdhsa_reserve_flat_scratch 0
		.amdhsa_float_round_mode_32 0
		.amdhsa_float_round_mode_16_64 0
		.amdhsa_float_denorm_mode_32 3
		.amdhsa_float_denorm_mode_16_64 3
		.amdhsa_dx10_clamp 1
		.amdhsa_ieee_mode 1
		.amdhsa_fp16_overflow 0
		.amdhsa_exception_fp_ieee_invalid_op 0
		.amdhsa_exception_fp_denorm_src 0
		.amdhsa_exception_fp_ieee_div_zero 0
		.amdhsa_exception_fp_ieee_overflow 0
		.amdhsa_exception_fp_ieee_underflow 0
		.amdhsa_exception_fp_ieee_inexact 0
		.amdhsa_exception_int_div_zero 0
	.end_amdhsa_kernel
	.section	.text._ZL13mul_mat_vec_qIL9ggml_type39ELi1ELb1ELb0EEvPKvS2_PKi31ggml_cuda_mm_fusion_args_devicePfj15HIP_vector_typeIjLj3EEjjjS8_jjjS8_jjjj,"axG",@progbits,_ZL13mul_mat_vec_qIL9ggml_type39ELi1ELb1ELb0EEvPKvS2_PKi31ggml_cuda_mm_fusion_args_devicePfj15HIP_vector_typeIjLj3EEjjjS8_jjjS8_jjjj,comdat
.Lfunc_end75:
	.size	_ZL13mul_mat_vec_qIL9ggml_type39ELi1ELb1ELb0EEvPKvS2_PKi31ggml_cuda_mm_fusion_args_devicePfj15HIP_vector_typeIjLj3EEjjjS8_jjjS8_jjjj, .Lfunc_end75-_ZL13mul_mat_vec_qIL9ggml_type39ELi1ELb1ELb0EEvPKvS2_PKi31ggml_cuda_mm_fusion_args_devicePfj15HIP_vector_typeIjLj3EEjjjS8_jjjS8_jjjj
                                        ; -- End function
	.set _ZL13mul_mat_vec_qIL9ggml_type39ELi1ELb1ELb0EEvPKvS2_PKi31ggml_cuda_mm_fusion_args_devicePfj15HIP_vector_typeIjLj3EEjjjS8_jjjS8_jjjj.num_vgpr, 34
	.set _ZL13mul_mat_vec_qIL9ggml_type39ELi1ELb1ELb0EEvPKvS2_PKi31ggml_cuda_mm_fusion_args_devicePfj15HIP_vector_typeIjLj3EEjjjS8_jjjS8_jjjj.num_agpr, 0
	.set _ZL13mul_mat_vec_qIL9ggml_type39ELi1ELb1ELb0EEvPKvS2_PKi31ggml_cuda_mm_fusion_args_devicePfj15HIP_vector_typeIjLj3EEjjjS8_jjjS8_jjjj.numbered_sgpr, 44
	.set _ZL13mul_mat_vec_qIL9ggml_type39ELi1ELb1ELb0EEvPKvS2_PKi31ggml_cuda_mm_fusion_args_devicePfj15HIP_vector_typeIjLj3EEjjjS8_jjjS8_jjjj.num_named_barrier, 0
	.set _ZL13mul_mat_vec_qIL9ggml_type39ELi1ELb1ELb0EEvPKvS2_PKi31ggml_cuda_mm_fusion_args_devicePfj15HIP_vector_typeIjLj3EEjjjS8_jjjS8_jjjj.private_seg_size, 0
	.set _ZL13mul_mat_vec_qIL9ggml_type39ELi1ELb1ELb0EEvPKvS2_PKi31ggml_cuda_mm_fusion_args_devicePfj15HIP_vector_typeIjLj3EEjjjS8_jjjS8_jjjj.uses_vcc, 1
	.set _ZL13mul_mat_vec_qIL9ggml_type39ELi1ELb1ELb0EEvPKvS2_PKi31ggml_cuda_mm_fusion_args_devicePfj15HIP_vector_typeIjLj3EEjjjS8_jjjS8_jjjj.uses_flat_scratch, 0
	.set _ZL13mul_mat_vec_qIL9ggml_type39ELi1ELb1ELb0EEvPKvS2_PKi31ggml_cuda_mm_fusion_args_devicePfj15HIP_vector_typeIjLj3EEjjjS8_jjjS8_jjjj.has_dyn_sized_stack, 0
	.set _ZL13mul_mat_vec_qIL9ggml_type39ELi1ELb1ELb0EEvPKvS2_PKi31ggml_cuda_mm_fusion_args_devicePfj15HIP_vector_typeIjLj3EEjjjS8_jjjS8_jjjj.has_recursion, 0
	.set _ZL13mul_mat_vec_qIL9ggml_type39ELi1ELb1ELb0EEvPKvS2_PKi31ggml_cuda_mm_fusion_args_devicePfj15HIP_vector_typeIjLj3EEjjjS8_jjjS8_jjjj.has_indirect_call, 0
	.section	.AMDGPU.csdata,"",@progbits
; Kernel info:
; codeLenInByte = 2760
; TotalNumSgprs: 48
; NumVgprs: 34
; ScratchSize: 0
; MemoryBound: 0
; FloatMode: 240
; IeeeMode: 1
; LDSByteSize: 512 bytes/workgroup (compile time only)
; SGPRBlocks: 5
; VGPRBlocks: 8
; NumSGPRsForWavesPerEU: 48
; NumVGPRsForWavesPerEU: 34
; Occupancy: 7
; WaveLimiterHint : 0
; COMPUTE_PGM_RSRC2:SCRATCH_EN: 0
; COMPUTE_PGM_RSRC2:USER_SGPR: 6
; COMPUTE_PGM_RSRC2:TRAP_HANDLER: 0
; COMPUTE_PGM_RSRC2:TGID_X_EN: 1
; COMPUTE_PGM_RSRC2:TGID_Y_EN: 1
; COMPUTE_PGM_RSRC2:TGID_Z_EN: 1
; COMPUTE_PGM_RSRC2:TIDIG_COMP_CNT: 1
	.section	.text._ZL13mul_mat_vec_qIL9ggml_type39ELi1ELb0ELb0EEvPKvS2_PKi31ggml_cuda_mm_fusion_args_devicePfj15HIP_vector_typeIjLj3EEjjjS8_jjjS8_jjjj,"axG",@progbits,_ZL13mul_mat_vec_qIL9ggml_type39ELi1ELb0ELb0EEvPKvS2_PKi31ggml_cuda_mm_fusion_args_devicePfj15HIP_vector_typeIjLj3EEjjjS8_jjjS8_jjjj,comdat
	.globl	_ZL13mul_mat_vec_qIL9ggml_type39ELi1ELb0ELb0EEvPKvS2_PKi31ggml_cuda_mm_fusion_args_devicePfj15HIP_vector_typeIjLj3EEjjjS8_jjjS8_jjjj ; -- Begin function _ZL13mul_mat_vec_qIL9ggml_type39ELi1ELb0ELb0EEvPKvS2_PKi31ggml_cuda_mm_fusion_args_devicePfj15HIP_vector_typeIjLj3EEjjjS8_jjjS8_jjjj
	.p2align	8
	.type	_ZL13mul_mat_vec_qIL9ggml_type39ELi1ELb0ELb0EEvPKvS2_PKi31ggml_cuda_mm_fusion_args_devicePfj15HIP_vector_typeIjLj3EEjjjS8_jjjS8_jjjj,@function
_ZL13mul_mat_vec_qIL9ggml_type39ELi1ELb0ELb0EEvPKvS2_PKi31ggml_cuda_mm_fusion_args_devicePfj15HIP_vector_typeIjLj3EEjjjS8_jjjS8_jjjj: ; @_ZL13mul_mat_vec_qIL9ggml_type39ELi1ELb0ELb0EEvPKvS2_PKi31ggml_cuda_mm_fusion_args_devicePfj15HIP_vector_typeIjLj3EEjjjS8_jjjS8_jjjj
; %bb.0:
	s_load_dwordx2 s[0:1], s[4:5], 0x10
	s_load_dwordx4 s[16:19], s[4:5], 0x40
	s_mov_b32 s10, s7
	s_mov_b64 s[14:15], 0
	s_waitcnt lgkmcnt(0)
	s_cmp_lg_u64 s[0:1], 0
	s_cselect_b64 s[12:13], -1, 0
	s_cmp_eq_u64 s[0:1], 0
	s_cbranch_scc1 .LBB76_5
; %bb.1:
	s_mov_b32 s11, 0
	s_lshl_b64 s[2:3], s[10:11], 2
	s_add_u32 s0, s0, s2
	s_addc_u32 s1, s1, s3
	s_load_dword s9, s[0:1], 0x0
	s_nop 0
	s_load_dwordx4 s[0:3], s[4:5], 0x68
	s_load_dword s11, s[4:5], 0x50
	s_andn2_b64 vcc, exec, s[14:15]
	s_cbranch_vccnz .LBB76_3
.LBB76_2:
	s_load_dwordx2 s[14:15], s[4:5], 0x5c
	s_waitcnt lgkmcnt(0)
	s_mul_hi_u32 s7, s14, s10
	s_add_i32 s7, s10, s7
	s_lshr_b32 s9, s7, s15
.LBB76_3:
	s_load_dword s22, s[4:5], 0x78
	s_andn2_b64 vcc, exec, s[12:13]
	s_cbranch_vccnz .LBB76_6
; %bb.4:
	s_mul_hi_u32 s7, s17, s10
	s_add_i32 s7, s10, s7
	s_lshr_b32 s7, s7, s18
	s_mul_i32 s7, s7, s19
	s_sub_i32 s23, s10, s7
	s_branch .LBB76_7
.LBB76_5:
                                        ; implicit-def: $sgpr9
	s_load_dwordx4 s[0:3], s[4:5], 0x68
	s_load_dword s11, s[4:5], 0x50
	s_branch .LBB76_2
.LBB76_6:
	s_mov_b32 s23, s10
.LBB76_7:
	s_load_dwordx4 s[12:15], s[4:5], 0x80
	v_lshlrev_b32_e32 v2, 6, v1
	v_add_u16_e32 v3, v2, v0
	s_lshr_b32 s7, s16, 5
	v_lshrrev_b16_e32 v5, 1, v3
	v_cmp_gt_u32_e32 vcc, s7, v5
	v_mov_b32_e32 v4, 0
	s_and_saveexec_b64 s[20:21], vcc
	s_cbranch_execz .LBB76_11
; %bb.8:
	s_waitcnt lgkmcnt(0)
	s_mul_hi_u32 s3, s3, s8
	s_load_dwordx4 s[16:19], s[4:5], 0x0
	s_add_i32 s3, s8, s3
	s_lshr_b32 s3, s3, s22
	s_mul_i32 s11, s11, s6
	s_mul_i32 s3, s3, s12
	;; [unrolled: 1-line block ×4, first 2 shown]
	s_add_i32 s3, s3, s11
	s_add_i32 s3, s0, s3
	s_mul_hi_u32 s0, s13, 36
	s_mul_i32 s13, s13, 36
	s_mul_i32 s1, s23, s1
	s_waitcnt lgkmcnt(0)
	s_add_u32 s11, s18, s13
	s_mul_hi_u32 s9, s1, 36
	s_mul_i32 s1, s1, 36
	s_addc_u32 s12, s19, s0
	v_add_u32_e32 v2, v2, v0
	v_lshlrev_b32_e32 v3, 3, v0
	s_add_u32 s0, s11, s1
	v_and_b32_e32 v6, 8, v3
	v_and_b32_e32 v3, 1, v0
	v_lshrrev_b32_e32 v2, 1, v2
	s_addc_u32 s1, s12, s9
	v_lshlrev_b32_e32 v7, 3, v3
	v_mad_u64_u32 v[2:3], s[0:1], v2, 36, s[0:1]
	v_mov_b32_e32 v4, 0
	s_mov_b64 s[0:1], 0
	s_mov_b32 s9, 0xc080604
	v_mov_b32_e32 v8, 0x3020100
	s_mov_b32 s11, 0xf4f8fafc
	v_mov_b32_e32 v9, 0xfdfeff00
	v_mov_b32_e32 v10, 0x200000
.LBB76_9:                               ; =>This Inner Loop Header: Depth=1
	v_add_u32_e32 v13, s3, v5
	v_mad_i64_i32 v[13:14], s[12:13], v13, 17, s[16:17]
	v_add_co_u32_e32 v11, vcc, v2, v7
	v_addc_co_u32_e32 v12, vcc, 0, v3, vcc
	v_add_co_u32_e32 v15, vcc, v13, v6
	v_addc_co_u32_e32 v16, vcc, 0, v14, vcc
	global_load_dwordx2 v[15:16], v[15:16], off offset:1
	v_add_u32_e32 v5, 64, v5
	global_load_dword v19, v[2:3], off
	v_add_co_u32_e32 v2, vcc, 0x900, v2
	v_addc_co_u32_e32 v3, vcc, 0, v3, vcc
	v_cmp_le_u32_e32 vcc, s7, v5
	s_or_b64 s[0:1], vcc, s[0:1]
	s_waitcnt vmcnt(1)
	v_ashrrev_i32_e32 v17, 4, v15
	v_and_b32_e32 v18, 0x7070707, v15
	v_lshrrev_b32_e32 v15, 1, v15
	v_and_b32_e32 v15, 0x4040404, v15
	v_perm_b32 v20, s9, v8, v18
	v_perm_b32 v18, s11, v9, v18
	v_or_b32_e32 v15, 0x3020100, v15
	v_perm_b32 v20, v18, v20, v15
	v_ashrrev_i32_e32 v15, 4, v16
	v_and_b32_e32 v18, 0x7070707, v16
	v_lshrrev_b32_e32 v16, 1, v16
	v_and_b32_e32 v16, 0x4040404, v16
	v_perm_b32 v21, s9, v8, v18
	v_perm_b32 v18, s11, v9, v18
	v_or_b32_e32 v16, 0x3020100, v16
	v_perm_b32 v21, v18, v21, v16
	v_and_b32_e32 v16, 0x7070707, v17
	v_lshrrev_b32_e32 v17, 1, v17
	v_and_b32_e32 v17, 0x4040404, v17
	v_perm_b32 v18, s9, v8, v16
	v_perm_b32 v16, s11, v9, v16
	v_or_b32_e32 v17, 0x3020100, v17
	v_perm_b32 v22, v16, v18, v17
	;; [unrolled: 7-line block ×3, first 2 shown]
	global_load_dwordx2 v[15:16], v[11:12], off offset:4
	global_load_dwordx2 v[17:18], v[11:12], off offset:20
                                        ; kill: killed $vgpr11 killed $vgpr12
	s_nop 0
	global_load_ubyte v11, v[13:14], off
	s_waitcnt vmcnt(3)
	v_cvt_f32_f16_e32 v12, v19
	s_waitcnt vmcnt(2)
	v_dot4_i32_i8 v14, v20, v15, 0
	s_waitcnt vmcnt(1)
	v_dot4_i32_i8 v14, v22, v17, v14
	v_dot4_i32_i8 v14, v21, v16, v14
	;; [unrolled: 1-line block ×3, first 2 shown]
	s_waitcnt vmcnt(0)
	v_lshlrev_b32_e32 v13, 23, v11
	v_cvt_f32_i32_e32 v14, v14
	v_mul_f32_e32 v13, 0.5, v13
	v_cmp_ne_u32_e32 vcc, 0, v11
	v_cndmask_b32_e32 v11, v10, v13, vcc
	v_mul_f32_e32 v11, v11, v12
	v_fmac_f32_e32 v4, v11, v14
	s_andn2_b64 exec, exec, s[0:1]
	s_cbranch_execnz .LBB76_9
; %bb.10:
	s_or_b64 exec, exec, s[0:1]
.LBB76_11:
	s_or_b64 exec, exec, s[20:21]
	v_cmp_eq_u32_e32 vcc, 0, v1
	s_waitcnt lgkmcnt(0)
	v_cmp_ne_u32_e64 s[0:1], 0, v1
	v_lshlrev_b32_e32 v2, 2, v0
	s_and_saveexec_b64 s[12:13], s[0:1]
; %bb.12:
	v_lshlrev_b32_e32 v1, 8, v1
	s_movk_i32 s0, 0xff00
	v_add3_u32 v1, v1, v2, s0
	ds_write_b32 v1, v4
; %bb.13:
	s_or_b64 exec, exec, s[12:13]
	s_waitcnt lgkmcnt(0)
	s_barrier
	s_and_saveexec_b64 s[0:1], vcc
	s_cbranch_execz .LBB76_16
; %bb.14:
	ds_read_b32 v1, v2
	v_mbcnt_lo_u32_b32 v2, -1, 0
	v_mbcnt_hi_u32_b32 v2, -1, v2
	v_and_b32_e32 v3, 64, v2
	v_add_u32_e32 v3, 64, v3
	v_xor_b32_e32 v5, 32, v2
	v_cmp_lt_i32_e32 vcc, v5, v3
	v_cndmask_b32_e32 v5, v2, v5, vcc
	v_lshlrev_b32_e32 v5, 2, v5
	s_waitcnt lgkmcnt(0)
	v_add_f32_e32 v1, v4, v1
	ds_bpermute_b32 v4, v5, v1
	v_xor_b32_e32 v5, 16, v2
	v_cmp_lt_i32_e32 vcc, v5, v3
	v_cndmask_b32_e32 v5, v2, v5, vcc
	v_lshlrev_b32_e32 v5, 2, v5
	s_waitcnt lgkmcnt(0)
	v_add_f32_e32 v1, v1, v4
	ds_bpermute_b32 v4, v5, v1
	;; [unrolled: 7-line block ×6, first 2 shown]
	s_mov_b32 s1, 0
	v_cmp_eq_u32_e32 vcc, 0, v0
	s_and_b64 exec, exec, vcc
	s_cbranch_execz .LBB76_16
; %bb.15:
	s_load_dwordx2 s[4:5], s[4:5], 0x38
	s_mul_i32 s0, s2, s10
	s_add_i32 s0, s0, s6
	s_mul_i32 s2, s14, s8
	s_add_i32 s0, s0, s2
	s_lshl_b64 s[0:1], s[0:1], 2
	s_waitcnt lgkmcnt(0)
	s_add_u32 s0, s4, s0
	v_add_f32_e32 v0, v1, v2
	s_addc_u32 s1, s5, s1
	v_mov_b32_e32 v1, 0
	global_store_dword v1, v0, s[0:1]
.LBB76_16:
	s_endpgm
	.section	.rodata,"a",@progbits
	.p2align	6, 0x0
	.amdhsa_kernel _ZL13mul_mat_vec_qIL9ggml_type39ELi1ELb0ELb0EEvPKvS2_PKi31ggml_cuda_mm_fusion_args_devicePfj15HIP_vector_typeIjLj3EEjjjS8_jjjS8_jjjj
		.amdhsa_group_segment_fixed_size 256
		.amdhsa_private_segment_fixed_size 0
		.amdhsa_kernarg_size 144
		.amdhsa_user_sgpr_count 6
		.amdhsa_user_sgpr_private_segment_buffer 1
		.amdhsa_user_sgpr_dispatch_ptr 0
		.amdhsa_user_sgpr_queue_ptr 0
		.amdhsa_user_sgpr_kernarg_segment_ptr 1
		.amdhsa_user_sgpr_dispatch_id 0
		.amdhsa_user_sgpr_flat_scratch_init 0
		.amdhsa_user_sgpr_private_segment_size 0
		.amdhsa_uses_dynamic_stack 0
		.amdhsa_system_sgpr_private_segment_wavefront_offset 0
		.amdhsa_system_sgpr_workgroup_id_x 1
		.amdhsa_system_sgpr_workgroup_id_y 1
		.amdhsa_system_sgpr_workgroup_id_z 1
		.amdhsa_system_sgpr_workgroup_info 0
		.amdhsa_system_vgpr_workitem_id 1
		.amdhsa_next_free_vgpr 24
		.amdhsa_next_free_sgpr 24
		.amdhsa_reserve_vcc 1
		.amdhsa_reserve_flat_scratch 0
		.amdhsa_float_round_mode_32 0
		.amdhsa_float_round_mode_16_64 0
		.amdhsa_float_denorm_mode_32 3
		.amdhsa_float_denorm_mode_16_64 3
		.amdhsa_dx10_clamp 1
		.amdhsa_ieee_mode 1
		.amdhsa_fp16_overflow 0
		.amdhsa_exception_fp_ieee_invalid_op 0
		.amdhsa_exception_fp_denorm_src 0
		.amdhsa_exception_fp_ieee_div_zero 0
		.amdhsa_exception_fp_ieee_overflow 0
		.amdhsa_exception_fp_ieee_underflow 0
		.amdhsa_exception_fp_ieee_inexact 0
		.amdhsa_exception_int_div_zero 0
	.end_amdhsa_kernel
	.section	.text._ZL13mul_mat_vec_qIL9ggml_type39ELi1ELb0ELb0EEvPKvS2_PKi31ggml_cuda_mm_fusion_args_devicePfj15HIP_vector_typeIjLj3EEjjjS8_jjjS8_jjjj,"axG",@progbits,_ZL13mul_mat_vec_qIL9ggml_type39ELi1ELb0ELb0EEvPKvS2_PKi31ggml_cuda_mm_fusion_args_devicePfj15HIP_vector_typeIjLj3EEjjjS8_jjjS8_jjjj,comdat
.Lfunc_end76:
	.size	_ZL13mul_mat_vec_qIL9ggml_type39ELi1ELb0ELb0EEvPKvS2_PKi31ggml_cuda_mm_fusion_args_devicePfj15HIP_vector_typeIjLj3EEjjjS8_jjjS8_jjjj, .Lfunc_end76-_ZL13mul_mat_vec_qIL9ggml_type39ELi1ELb0ELb0EEvPKvS2_PKi31ggml_cuda_mm_fusion_args_devicePfj15HIP_vector_typeIjLj3EEjjjS8_jjjS8_jjjj
                                        ; -- End function
	.set _ZL13mul_mat_vec_qIL9ggml_type39ELi1ELb0ELb0EEvPKvS2_PKi31ggml_cuda_mm_fusion_args_devicePfj15HIP_vector_typeIjLj3EEjjjS8_jjjS8_jjjj.num_vgpr, 24
	.set _ZL13mul_mat_vec_qIL9ggml_type39ELi1ELb0ELb0EEvPKvS2_PKi31ggml_cuda_mm_fusion_args_devicePfj15HIP_vector_typeIjLj3EEjjjS8_jjjS8_jjjj.num_agpr, 0
	.set _ZL13mul_mat_vec_qIL9ggml_type39ELi1ELb0ELb0EEvPKvS2_PKi31ggml_cuda_mm_fusion_args_devicePfj15HIP_vector_typeIjLj3EEjjjS8_jjjS8_jjjj.numbered_sgpr, 24
	.set _ZL13mul_mat_vec_qIL9ggml_type39ELi1ELb0ELb0EEvPKvS2_PKi31ggml_cuda_mm_fusion_args_devicePfj15HIP_vector_typeIjLj3EEjjjS8_jjjS8_jjjj.num_named_barrier, 0
	.set _ZL13mul_mat_vec_qIL9ggml_type39ELi1ELb0ELb0EEvPKvS2_PKi31ggml_cuda_mm_fusion_args_devicePfj15HIP_vector_typeIjLj3EEjjjS8_jjjS8_jjjj.private_seg_size, 0
	.set _ZL13mul_mat_vec_qIL9ggml_type39ELi1ELb0ELb0EEvPKvS2_PKi31ggml_cuda_mm_fusion_args_devicePfj15HIP_vector_typeIjLj3EEjjjS8_jjjS8_jjjj.uses_vcc, 1
	.set _ZL13mul_mat_vec_qIL9ggml_type39ELi1ELb0ELb0EEvPKvS2_PKi31ggml_cuda_mm_fusion_args_devicePfj15HIP_vector_typeIjLj3EEjjjS8_jjjS8_jjjj.uses_flat_scratch, 0
	.set _ZL13mul_mat_vec_qIL9ggml_type39ELi1ELb0ELb0EEvPKvS2_PKi31ggml_cuda_mm_fusion_args_devicePfj15HIP_vector_typeIjLj3EEjjjS8_jjjS8_jjjj.has_dyn_sized_stack, 0
	.set _ZL13mul_mat_vec_qIL9ggml_type39ELi1ELb0ELb0EEvPKvS2_PKi31ggml_cuda_mm_fusion_args_devicePfj15HIP_vector_typeIjLj3EEjjjS8_jjjS8_jjjj.has_recursion, 0
	.set _ZL13mul_mat_vec_qIL9ggml_type39ELi1ELb0ELb0EEvPKvS2_PKi31ggml_cuda_mm_fusion_args_devicePfj15HIP_vector_typeIjLj3EEjjjS8_jjjS8_jjjj.has_indirect_call, 0
	.section	.AMDGPU.csdata,"",@progbits
; Kernel info:
; codeLenInByte = 1172
; TotalNumSgprs: 28
; NumVgprs: 24
; ScratchSize: 0
; MemoryBound: 0
; FloatMode: 240
; IeeeMode: 1
; LDSByteSize: 256 bytes/workgroup (compile time only)
; SGPRBlocks: 3
; VGPRBlocks: 5
; NumSGPRsForWavesPerEU: 28
; NumVGPRsForWavesPerEU: 24
; Occupancy: 10
; WaveLimiterHint : 0
; COMPUTE_PGM_RSRC2:SCRATCH_EN: 0
; COMPUTE_PGM_RSRC2:USER_SGPR: 6
; COMPUTE_PGM_RSRC2:TRAP_HANDLER: 0
; COMPUTE_PGM_RSRC2:TGID_X_EN: 1
; COMPUTE_PGM_RSRC2:TGID_Y_EN: 1
; COMPUTE_PGM_RSRC2:TGID_Z_EN: 1
; COMPUTE_PGM_RSRC2:TIDIG_COMP_CNT: 1
	.section	.text._ZL13mul_mat_vec_qIL9ggml_type39ELi2ELb0ELb0EEvPKvS2_PKi31ggml_cuda_mm_fusion_args_devicePfj15HIP_vector_typeIjLj3EEjjjS8_jjjS8_jjjj,"axG",@progbits,_ZL13mul_mat_vec_qIL9ggml_type39ELi2ELb0ELb0EEvPKvS2_PKi31ggml_cuda_mm_fusion_args_devicePfj15HIP_vector_typeIjLj3EEjjjS8_jjjS8_jjjj,comdat
	.globl	_ZL13mul_mat_vec_qIL9ggml_type39ELi2ELb0ELb0EEvPKvS2_PKi31ggml_cuda_mm_fusion_args_devicePfj15HIP_vector_typeIjLj3EEjjjS8_jjjS8_jjjj ; -- Begin function _ZL13mul_mat_vec_qIL9ggml_type39ELi2ELb0ELb0EEvPKvS2_PKi31ggml_cuda_mm_fusion_args_devicePfj15HIP_vector_typeIjLj3EEjjjS8_jjjS8_jjjj
	.p2align	8
	.type	_ZL13mul_mat_vec_qIL9ggml_type39ELi2ELb0ELb0EEvPKvS2_PKi31ggml_cuda_mm_fusion_args_devicePfj15HIP_vector_typeIjLj3EEjjjS8_jjjS8_jjjj,@function
_ZL13mul_mat_vec_qIL9ggml_type39ELi2ELb0ELb0EEvPKvS2_PKi31ggml_cuda_mm_fusion_args_devicePfj15HIP_vector_typeIjLj3EEjjjS8_jjjS8_jjjj: ; @_ZL13mul_mat_vec_qIL9ggml_type39ELi2ELb0ELb0EEvPKvS2_PKi31ggml_cuda_mm_fusion_args_devicePfj15HIP_vector_typeIjLj3EEjjjS8_jjjS8_jjjj
; %bb.0:
	v_lshlrev_b32_e32 v2, 6, v1
	s_load_dword s9, s[4:5], 0x40
	s_load_dwordx4 s[12:15], s[4:5], 0x50
	s_load_dword s25, s[4:5], 0x60
	s_load_dwordx4 s[0:3], s[4:5], 0x68
	s_load_dword s24, s[4:5], 0x78
	s_load_dwordx4 s[16:19], s[4:5], 0x80
	v_add_u16_e32 v2, v2, v0
	s_waitcnt lgkmcnt(0)
	s_lshr_b32 s9, s9, 5
	v_lshrrev_b16_e32 v8, 1, v2
	s_lshl_b32 s6, s6, 1
	v_cmp_gt_u32_e32 vcc, s9, v8
	v_mov_b32_e32 v6, 0
	v_mov_b32_e32 v7, 0
	;; [unrolled: 1-line block ×4, first 2 shown]
	s_and_saveexec_b64 s[10:11], vcc
	s_cbranch_execz .LBB77_4
; %bb.1:
	s_load_dwordx4 s[20:23], s[4:5], 0x0
	s_mul_i32 s17, s17, s8
	s_mul_hi_u32 s19, s17, 36
	s_mul_i32 s17, s17, 36
	s_mul_i32 s1, s1, s7
	s_waitcnt lgkmcnt(0)
	s_add_u32 s17, s22, s17
	s_addc_u32 s19, s23, s19
	s_mul_hi_u32 s23, s1, 36
	s_mul_i32 s1, s1, 36
	s_add_u32 s22, s17, s1
	s_mul_hi_u32 s1, s15, s7
	s_addc_u32 s23, s19, s23
	s_add_i32 s1, s7, s1
	s_lshr_b32 s1, s1, s25
	s_mul_i32 s1, s1, s0
	s_mul_hi_u32 s0, s3, s8
	s_add_i32 s0, s8, s0
	s_lshr_b32 s0, s0, s24
	s_mul_i32 s0, s0, s16
	s_add_i32 s0, s0, s1
	s_mul_i32 s1, s6, s12
	v_lshlrev_b32_e32 v3, 1, v0
	s_add_i32 s3, s0, s1
	s_add_i32 s1, s6, 1
	v_and_b32_e32 v5, 2, v3
	s_mul_i32 s1, s12, s1
	v_and_b32_e32 v3, 1, v0
	v_lshrrev_b16_e32 v2, 1, v2
	s_add_i32 s12, s0, s1
	v_lshlrev_b32_e32 v10, 3, v3
	v_mad_u64_u32 v[2:3], s[0:1], v2, 36, s[22:23]
	v_mov_b32_e32 v4, 0
	v_lshlrev_b32_e32 v9, 2, v5
	s_mov_b64 s[16:17], 0
	s_mov_b32 s15, 0xc080604
	v_mov_b32_e32 v11, 0x3020100
	s_mov_b32 s19, 0xf4f8fafc
	v_mov_b32_e32 v12, 0xfdfeff00
	v_mov_b32_e32 v13, 0x200000
	v_lshlrev_b32_e32 v14, 2, v5
	v_mov_b32_e32 v5, 0
	v_mov_b32_e32 v6, 0
	;; [unrolled: 1-line block ×3, first 2 shown]
.LBB77_2:                               ; =>This Inner Loop Header: Depth=1
	v_add_u32_e32 v17, s12, v8
	v_mad_i64_i32 v[17:18], s[0:1], v17, 17, s[20:21]
	v_add_u32_e32 v19, s3, v8
	v_add_co_u32_e32 v15, vcc, v2, v10
	v_mad_i64_i32 v[19:20], s[0:1], v19, 17, s[20:21]
	v_addc_co_u32_e32 v16, vcc, 0, v3, vcc
	v_add_u32_e32 v25, s13, v8
	global_load_dword v33, v[2:3], off
	global_load_dwordx2 v[21:22], v[15:16], off offset:4
	global_load_dwordx2 v[23:24], v[15:16], off offset:20
	v_mad_u64_u32 v[15:16], s[0:1], v25, 36, s[22:23]
	v_add_co_u32_e32 v25, vcc, v17, v9
	v_addc_co_u32_e32 v26, vcc, 0, v18, vcc
	v_add_co_u32_e32 v27, vcc, v19, v9
	v_addc_co_u32_e32 v28, vcc, 0, v20, vcc
	global_load_ubyte v34, v[17:18], off
	global_load_dwordx2 v[29:30], v[25:26], off offset:1
	global_load_dwordx2 v[31:32], v[27:28], off offset:1
	global_load_ubyte v35, v[19:20], off
	v_add_u32_e32 v8, 64, v8
	s_waitcnt vmcnt(2)
	v_and_b32_e32 v25, 0x7070707, v29
	s_waitcnt vmcnt(1)
	v_lshrrev_b32_e32 v18, 1, v31
	v_and_b32_e32 v17, 0x7070707, v31
	v_and_b32_e32 v18, 0x4040404, v18
	v_lshrrev_b32_e32 v20, 1, v32
	v_perm_b32 v26, s15, v11, v17
	v_perm_b32 v17, s19, v12, v17
	v_or_b32_e32 v18, 0x3020100, v18
	v_and_b32_e32 v19, 0x7070707, v32
	v_perm_b32 v26, v17, v26, v18
	v_lshrrev_b32_e32 v17, 1, v29
	v_and_b32_e32 v20, 0x4040404, v20
	v_perm_b32 v18, s15, v11, v19
	v_perm_b32 v19, s19, v12, v19
	v_or_b32_e32 v20, 0x3020100, v20
	v_and_b32_e32 v17, 0x4040404, v17
	v_perm_b32 v19, v19, v18, v20
	v_perm_b32 v20, s15, v11, v25
	;; [unrolled: 1-line block ×3, first 2 shown]
	v_or_b32_e32 v17, 0x3020100, v17
	v_perm_b32 v20, v25, v20, v17
	v_lshrrev_b32_e32 v17, 1, v30
	v_and_b32_e32 v18, 0x7070707, v30
	v_and_b32_e32 v17, 0x4040404, v17
	v_ashrrev_i32_e32 v25, 4, v31
	v_ashrrev_i32_e32 v28, 4, v29
	;; [unrolled: 1-line block ×3, first 2 shown]
	v_perm_b32 v30, s15, v11, v18
	v_perm_b32 v18, s19, v12, v18
	v_or_b32_e32 v17, 0x3020100, v17
	v_perm_b32 v30, v18, v30, v17
	v_lshrrev_b32_e32 v18, 1, v25
	v_and_b32_e32 v17, 0x7070707, v25
	v_and_b32_e32 v18, 0x4040404, v18
	v_perm_b32 v25, s15, v11, v17
	v_perm_b32 v17, s19, v12, v17
	v_or_b32_e32 v18, 0x3020100, v18
	v_perm_b32 v25, v17, v25, v18
	v_lshrrev_b32_e32 v18, 1, v28
	v_and_b32_e32 v17, 0x7070707, v28
	v_and_b32_e32 v18, 0x4040404, v18
	v_ashrrev_i32_e32 v27, 4, v32
	v_perm_b32 v28, s15, v11, v17
	v_perm_b32 v17, s19, v12, v17
	v_or_b32_e32 v18, 0x3020100, v18
	v_perm_b32 v28, v17, v28, v18
	v_lshrrev_b32_e32 v18, 1, v27
	v_and_b32_e32 v17, 0x7070707, v27
	v_and_b32_e32 v18, 0x4040404, v18
	v_perm_b32 v27, s15, v11, v17
	v_perm_b32 v17, s19, v12, v17
	v_or_b32_e32 v18, 0x3020100, v18
	v_perm_b32 v27, v17, v27, v18
	v_lshrrev_b32_e32 v18, 1, v29
	v_and_b32_e32 v17, 0x7070707, v29
	v_and_b32_e32 v18, 0x4040404, v18
	v_perm_b32 v29, s15, v11, v17
	v_perm_b32 v17, s19, v12, v17
	v_or_b32_e32 v18, 0x3020100, v18
	v_perm_b32 v29, v17, v29, v18
	v_dot4_i32_i8 v17, v26, v21, 0
	v_dot4_i32_i8 v18, v20, v21, 0
	;; [unrolled: 1-line block ×5, first 2 shown]
	v_add_co_u32_e32 v17, vcc, v15, v14
	global_load_dword v23, v[15:16], off
	v_lshlrev_b32_e32 v15, 23, v34
	v_dot4_i32_i8 v22, v30, v22, v18
	v_addc_co_u32_e32 v18, vcc, 0, v16, vcc
	v_mul_f32_e32 v32, 0.5, v15
	s_waitcnt vmcnt(1)
	v_lshlrev_b32_e32 v15, 23, v35
	v_cvt_f32_f16_e32 v31, v33
	v_mul_f32_e32 v33, 0.5, v15
	global_load_dwordx2 v[15:16], v[17:18], off offset:4
	v_cmp_ne_u32_e32 vcc, 0, v34
	global_load_dwordx2 v[17:18], v[17:18], off offset:20
	v_cmp_ne_u32_e64 s[0:1], 0, v35
	v_cndmask_b32_e32 v32, v13, v32, vcc
	v_add_co_u32_e32 v2, vcc, 0x900, v2
	v_cndmask_b32_e64 v33, v13, v33, s[0:1]
	v_addc_co_u32_e32 v3, vcc, 0, v3, vcc
	v_mul_f32_e32 v34, v32, v31
	v_mul_f32_e32 v31, v33, v31
	v_cmp_le_u32_e32 vcc, s9, v8
	s_or_b64 s[16:17], vcc, s[16:17]
	s_waitcnt vmcnt(2)
	v_cvt_f32_f16_e32 v23, v23
	v_mul_f32_e32 v33, v33, v23
	v_mul_f32_e32 v23, v32, v23
	s_waitcnt vmcnt(1)
	v_dot4_i32_i8 v26, v26, v15, 0
	v_dot4_i32_i8 v15, v20, v15, 0
	s_waitcnt vmcnt(0)
	v_dot4_i32_i8 v25, v25, v17, v26
	v_dot4_i32_i8 v15, v28, v17, v15
	v_dot4_i32_i8 v17, v19, v16, v25
	v_dot4_i32_i8 v15, v30, v16, v15
	v_dot4_i32_i8 v16, v27, v24, v21
	v_dot4_i32_i8 v19, v29, v24, v22
	v_dot4_i32_i8 v17, v27, v18, v17
	v_dot4_i32_i8 v15, v29, v18, v15
	v_cvt_f32_i32_e32 v16, v16
	v_cvt_f32_i32_e32 v18, v19
	;; [unrolled: 1-line block ×4, first 2 shown]
	v_fmac_f32_e32 v7, v31, v16
	v_fmac_f32_e32 v6, v34, v18
	;; [unrolled: 1-line block ×4, first 2 shown]
	s_andn2_b64 exec, exec, s[16:17]
	s_cbranch_execnz .LBB77_2
; %bb.3:
	s_or_b64 exec, exec, s[16:17]
.LBB77_4:
	s_or_b64 exec, exec, s[10:11]
	v_cmp_eq_u32_e32 vcc, 0, v1
	v_cmp_ne_u32_e64 s[0:1], 0, v1
	v_lshlrev_b32_e32 v2, 2, v0
	s_and_saveexec_b64 s[10:11], s[0:1]
	s_cbranch_execz .LBB77_6
; %bb.5:
	v_lshl_or_b32 v1, v1, 10, v2
	v_add_u32_e32 v1, 0xfffffc00, v1
	ds_write2st64_b32 v1, v7, v6 offset1:1
	ds_write2st64_b32 v1, v5, v4 offset0:2 offset1:3
.LBB77_6:
	s_or_b64 exec, exec, s[10:11]
	s_waitcnt lgkmcnt(0)
	s_barrier
	s_and_saveexec_b64 s[0:1], vcc
	s_cbranch_execz .LBB77_11
; %bb.7:
	v_mbcnt_lo_u32_b32 v1, -1, 0
	v_mbcnt_hi_u32_b32 v11, -1, v1
	ds_read2st64_b32 v[9:10], v2 offset1:1
	v_and_b32_e32 v1, 64, v11
	v_add_u32_e32 v12, 64, v1
	v_xor_b32_e32 v1, 32, v11
	v_cmp_lt_i32_e32 vcc, v1, v12
	v_cndmask_b32_e32 v1, v11, v1, vcc
	v_lshlrev_b32_e32 v1, 2, v1
	s_waitcnt lgkmcnt(0)
	v_add_f32_e32 v7, v9, v7
	v_add_f32_e32 v10, v10, v6
	ds_bpermute_b32 v9, v1, v7
	ds_bpermute_b32 v14, v1, v10
	v_xor_b32_e32 v3, 16, v11
	v_cmp_lt_i32_e32 vcc, v3, v12
	v_cndmask_b32_e32 v3, v11, v3, vcc
	v_lshlrev_b32_e32 v3, 2, v3
	s_waitcnt lgkmcnt(1)
	v_add_f32_e32 v7, v7, v9
	s_waitcnt lgkmcnt(0)
	v_add_f32_e32 v10, v10, v14
	ds_bpermute_b32 v9, v3, v7
	ds_bpermute_b32 v14, v3, v10
	v_xor_b32_e32 v8, 8, v11
	v_cmp_lt_i32_e32 vcc, v8, v12
	v_cndmask_b32_e32 v8, v11, v8, vcc
	v_lshlrev_b32_e32 v8, 2, v8
	s_waitcnt lgkmcnt(1)
	v_add_f32_e32 v9, v7, v9
	s_waitcnt lgkmcnt(0)
	;; [unrolled: 10-line block ×3, first 2 shown]
	v_add_f32_e32 v10, v10, v14
	ds_bpermute_b32 v15, v6, v9
	ds_bpermute_b32 v14, v6, v10
	v_xor_b32_e32 v13, 2, v11
	v_cmp_lt_i32_e32 vcc, v13, v12
	v_cndmask_b32_e32 v13, v11, v13, vcc
	v_lshlrev_b32_e32 v7, 2, v13
	v_xor_b32_e32 v13, 1, v11
	v_cmp_lt_i32_e32 vcc, v13, v12
	s_waitcnt lgkmcnt(1)
	v_add_f32_e32 v9, v9, v15
	s_waitcnt lgkmcnt(0)
	v_add_f32_e32 v10, v10, v14
	v_cndmask_b32_e32 v11, v11, v13, vcc
	ds_bpermute_b32 v12, v7, v9
	ds_bpermute_b32 v13, v7, v10
	s_load_dwordx2 s[0:1], s[4:5], 0x38
	s_mul_i32 s2, s2, s7
	v_lshlrev_b32_e32 v11, 2, v11
	s_waitcnt lgkmcnt(0)
	v_add_f32_e32 v9, v9, v12
	v_add_f32_e32 v10, v10, v13
	s_mul_i32 s3, s18, s8
	s_add_i32 s2, s2, s6
	ds_bpermute_b32 v12, v11, v9
	ds_bpermute_b32 v13, v11, v10
	s_add_i32 s2, s2, s3
	s_mov_b32 s3, 0
	s_lshl_b64 s[2:3], s[2:3], 2
	s_add_u32 s2, s0, s2
	v_add_u32_e32 v14, s6, v0
	s_addc_u32 s3, s1, s3
	v_cmp_gt_u32_e32 vcc, 2, v0
	v_cmp_gt_u32_e64 s[0:1], s14, v14
	s_and_b64 s[0:1], vcc, s[0:1]
	s_waitcnt lgkmcnt(1)
	v_add_f32_e32 v9, v9, v12
	s_waitcnt lgkmcnt(0)
	v_add_f32_e32 v10, v10, v13
	s_and_saveexec_b64 s[4:5], s[0:1]
	s_cbranch_execz .LBB77_9
; %bb.8:
	v_cmp_eq_u32_e32 vcc, 1, v0
	v_cndmask_b32_e32 v12, v9, v10, vcc
	v_cmp_eq_u32_e32 vcc, 2, v0
	v_cndmask_b32_e32 v12, v12, v5, vcc
	v_cmp_eq_u32_e32 vcc, 3, v0
	v_cndmask_b32_e32 v12, v12, v4, vcc
	global_store_dword v2, v12, s[2:3]
.LBB77_9:
	s_or_b64 exec, exec, s[4:5]
	ds_read2st64_b32 v[12:13], v2 offset0:2 offset1:3
	s_waitcnt lgkmcnt(0)
	v_add_f32_e32 v2, v12, v5
	v_add_f32_e32 v4, v13, v4
	ds_bpermute_b32 v5, v1, v2
	ds_bpermute_b32 v1, v1, v4
	s_waitcnt lgkmcnt(1)
	v_add_f32_e32 v2, v2, v5
	s_waitcnt lgkmcnt(0)
	v_add_f32_e32 v1, v4, v1
	ds_bpermute_b32 v4, v3, v2
	ds_bpermute_b32 v3, v3, v1
	s_waitcnt lgkmcnt(1)
	v_add_f32_e32 v2, v2, v4
	s_waitcnt lgkmcnt(0)
	;; [unrolled: 6-line block ×5, first 2 shown]
	v_add_f32_e32 v2, v3, v4
	ds_bpermute_b32 v3, v11, v1
	ds_bpermute_b32 v4, v11, v2
	s_and_b64 exec, exec, s[0:1]
	s_cbranch_execz .LBB77_11
; %bb.10:
	s_waitcnt lgkmcnt(1)
	v_add_f32_e32 v1, v1, v3
	v_add_u32_e32 v3, 2, v0
	v_cmp_eq_u32_e32 vcc, 1, v3
	s_waitcnt lgkmcnt(0)
	v_add_f32_e32 v2, v2, v4
	v_cndmask_b32_e32 v4, v9, v10, vcc
	v_cmp_eq_u32_e32 vcc, 2, v3
	v_cndmask_b32_e32 v1, v4, v1, vcc
	v_cmp_eq_u32_e32 vcc, 3, v3
	v_cndmask_b32_e32 v2, v1, v2, vcc
	v_add_u32_e32 v0, s14, v0
	v_mov_b32_e32 v1, 0
	v_lshlrev_b64 v[0:1], 2, v[0:1]
	v_mov_b32_e32 v3, s3
	v_add_co_u32_e32 v0, vcc, s2, v0
	v_addc_co_u32_e32 v1, vcc, v3, v1, vcc
	global_store_dword v[0:1], v2, off
.LBB77_11:
	s_endpgm
	.section	.rodata,"a",@progbits
	.p2align	6, 0x0
	.amdhsa_kernel _ZL13mul_mat_vec_qIL9ggml_type39ELi2ELb0ELb0EEvPKvS2_PKi31ggml_cuda_mm_fusion_args_devicePfj15HIP_vector_typeIjLj3EEjjjS8_jjjS8_jjjj
		.amdhsa_group_segment_fixed_size 1024
		.amdhsa_private_segment_fixed_size 0
		.amdhsa_kernarg_size 144
		.amdhsa_user_sgpr_count 6
		.amdhsa_user_sgpr_private_segment_buffer 1
		.amdhsa_user_sgpr_dispatch_ptr 0
		.amdhsa_user_sgpr_queue_ptr 0
		.amdhsa_user_sgpr_kernarg_segment_ptr 1
		.amdhsa_user_sgpr_dispatch_id 0
		.amdhsa_user_sgpr_flat_scratch_init 0
		.amdhsa_user_sgpr_private_segment_size 0
		.amdhsa_uses_dynamic_stack 0
		.amdhsa_system_sgpr_private_segment_wavefront_offset 0
		.amdhsa_system_sgpr_workgroup_id_x 1
		.amdhsa_system_sgpr_workgroup_id_y 1
		.amdhsa_system_sgpr_workgroup_id_z 1
		.amdhsa_system_sgpr_workgroup_info 0
		.amdhsa_system_vgpr_workitem_id 1
		.amdhsa_next_free_vgpr 36
		.amdhsa_next_free_sgpr 26
		.amdhsa_reserve_vcc 1
		.amdhsa_reserve_flat_scratch 0
		.amdhsa_float_round_mode_32 0
		.amdhsa_float_round_mode_16_64 0
		.amdhsa_float_denorm_mode_32 3
		.amdhsa_float_denorm_mode_16_64 3
		.amdhsa_dx10_clamp 1
		.amdhsa_ieee_mode 1
		.amdhsa_fp16_overflow 0
		.amdhsa_exception_fp_ieee_invalid_op 0
		.amdhsa_exception_fp_denorm_src 0
		.amdhsa_exception_fp_ieee_div_zero 0
		.amdhsa_exception_fp_ieee_overflow 0
		.amdhsa_exception_fp_ieee_underflow 0
		.amdhsa_exception_fp_ieee_inexact 0
		.amdhsa_exception_int_div_zero 0
	.end_amdhsa_kernel
	.section	.text._ZL13mul_mat_vec_qIL9ggml_type39ELi2ELb0ELb0EEvPKvS2_PKi31ggml_cuda_mm_fusion_args_devicePfj15HIP_vector_typeIjLj3EEjjjS8_jjjS8_jjjj,"axG",@progbits,_ZL13mul_mat_vec_qIL9ggml_type39ELi2ELb0ELb0EEvPKvS2_PKi31ggml_cuda_mm_fusion_args_devicePfj15HIP_vector_typeIjLj3EEjjjS8_jjjS8_jjjj,comdat
.Lfunc_end77:
	.size	_ZL13mul_mat_vec_qIL9ggml_type39ELi2ELb0ELb0EEvPKvS2_PKi31ggml_cuda_mm_fusion_args_devicePfj15HIP_vector_typeIjLj3EEjjjS8_jjjS8_jjjj, .Lfunc_end77-_ZL13mul_mat_vec_qIL9ggml_type39ELi2ELb0ELb0EEvPKvS2_PKi31ggml_cuda_mm_fusion_args_devicePfj15HIP_vector_typeIjLj3EEjjjS8_jjjS8_jjjj
                                        ; -- End function
	.set _ZL13mul_mat_vec_qIL9ggml_type39ELi2ELb0ELb0EEvPKvS2_PKi31ggml_cuda_mm_fusion_args_devicePfj15HIP_vector_typeIjLj3EEjjjS8_jjjS8_jjjj.num_vgpr, 36
	.set _ZL13mul_mat_vec_qIL9ggml_type39ELi2ELb0ELb0EEvPKvS2_PKi31ggml_cuda_mm_fusion_args_devicePfj15HIP_vector_typeIjLj3EEjjjS8_jjjS8_jjjj.num_agpr, 0
	.set _ZL13mul_mat_vec_qIL9ggml_type39ELi2ELb0ELb0EEvPKvS2_PKi31ggml_cuda_mm_fusion_args_devicePfj15HIP_vector_typeIjLj3EEjjjS8_jjjS8_jjjj.numbered_sgpr, 26
	.set _ZL13mul_mat_vec_qIL9ggml_type39ELi2ELb0ELb0EEvPKvS2_PKi31ggml_cuda_mm_fusion_args_devicePfj15HIP_vector_typeIjLj3EEjjjS8_jjjS8_jjjj.num_named_barrier, 0
	.set _ZL13mul_mat_vec_qIL9ggml_type39ELi2ELb0ELb0EEvPKvS2_PKi31ggml_cuda_mm_fusion_args_devicePfj15HIP_vector_typeIjLj3EEjjjS8_jjjS8_jjjj.private_seg_size, 0
	.set _ZL13mul_mat_vec_qIL9ggml_type39ELi2ELb0ELb0EEvPKvS2_PKi31ggml_cuda_mm_fusion_args_devicePfj15HIP_vector_typeIjLj3EEjjjS8_jjjS8_jjjj.uses_vcc, 1
	.set _ZL13mul_mat_vec_qIL9ggml_type39ELi2ELb0ELb0EEvPKvS2_PKi31ggml_cuda_mm_fusion_args_devicePfj15HIP_vector_typeIjLj3EEjjjS8_jjjS8_jjjj.uses_flat_scratch, 0
	.set _ZL13mul_mat_vec_qIL9ggml_type39ELi2ELb0ELb0EEvPKvS2_PKi31ggml_cuda_mm_fusion_args_devicePfj15HIP_vector_typeIjLj3EEjjjS8_jjjS8_jjjj.has_dyn_sized_stack, 0
	.set _ZL13mul_mat_vec_qIL9ggml_type39ELi2ELb0ELb0EEvPKvS2_PKi31ggml_cuda_mm_fusion_args_devicePfj15HIP_vector_typeIjLj3EEjjjS8_jjjS8_jjjj.has_recursion, 0
	.set _ZL13mul_mat_vec_qIL9ggml_type39ELi2ELb0ELb0EEvPKvS2_PKi31ggml_cuda_mm_fusion_args_devicePfj15HIP_vector_typeIjLj3EEjjjS8_jjjS8_jjjj.has_indirect_call, 0
	.section	.AMDGPU.csdata,"",@progbits
; Kernel info:
; codeLenInByte = 1968
; TotalNumSgprs: 30
; NumVgprs: 36
; ScratchSize: 0
; MemoryBound: 0
; FloatMode: 240
; IeeeMode: 1
; LDSByteSize: 1024 bytes/workgroup (compile time only)
; SGPRBlocks: 3
; VGPRBlocks: 8
; NumSGPRsForWavesPerEU: 30
; NumVGPRsForWavesPerEU: 36
; Occupancy: 7
; WaveLimiterHint : 0
; COMPUTE_PGM_RSRC2:SCRATCH_EN: 0
; COMPUTE_PGM_RSRC2:USER_SGPR: 6
; COMPUTE_PGM_RSRC2:TRAP_HANDLER: 0
; COMPUTE_PGM_RSRC2:TGID_X_EN: 1
; COMPUTE_PGM_RSRC2:TGID_Y_EN: 1
; COMPUTE_PGM_RSRC2:TGID_Z_EN: 1
; COMPUTE_PGM_RSRC2:TIDIG_COMP_CNT: 1
	.section	.text._ZL13mul_mat_vec_qIL9ggml_type39ELi3ELb0ELb0EEvPKvS2_PKi31ggml_cuda_mm_fusion_args_devicePfj15HIP_vector_typeIjLj3EEjjjS8_jjjS8_jjjj,"axG",@progbits,_ZL13mul_mat_vec_qIL9ggml_type39ELi3ELb0ELb0EEvPKvS2_PKi31ggml_cuda_mm_fusion_args_devicePfj15HIP_vector_typeIjLj3EEjjjS8_jjjS8_jjjj,comdat
	.globl	_ZL13mul_mat_vec_qIL9ggml_type39ELi3ELb0ELb0EEvPKvS2_PKi31ggml_cuda_mm_fusion_args_devicePfj15HIP_vector_typeIjLj3EEjjjS8_jjjS8_jjjj ; -- Begin function _ZL13mul_mat_vec_qIL9ggml_type39ELi3ELb0ELb0EEvPKvS2_PKi31ggml_cuda_mm_fusion_args_devicePfj15HIP_vector_typeIjLj3EEjjjS8_jjjS8_jjjj
	.p2align	8
	.type	_ZL13mul_mat_vec_qIL9ggml_type39ELi3ELb0ELb0EEvPKvS2_PKi31ggml_cuda_mm_fusion_args_devicePfj15HIP_vector_typeIjLj3EEjjjS8_jjjS8_jjjj,@function
_ZL13mul_mat_vec_qIL9ggml_type39ELi3ELb0ELb0EEvPKvS2_PKi31ggml_cuda_mm_fusion_args_devicePfj15HIP_vector_typeIjLj3EEjjjS8_jjjS8_jjjj: ; @_ZL13mul_mat_vec_qIL9ggml_type39ELi3ELb0ELb0EEvPKvS2_PKi31ggml_cuda_mm_fusion_args_devicePfj15HIP_vector_typeIjLj3EEjjjS8_jjjS8_jjjj
; %bb.0:
	v_lshlrev_b32_e32 v2, 6, v1
	s_load_dword s9, s[4:5], 0x40
	s_load_dwordx4 s[0:3], s[4:5], 0x50
	s_load_dword s25, s[4:5], 0x60
	s_load_dwordx4 s[12:15], s[4:5], 0x68
	;; [unrolled: 2-line block ×3, first 2 shown]
	v_add_u16_e32 v2, v2, v0
	s_waitcnt lgkmcnt(0)
	s_lshr_b32 s9, s9, 5
	v_lshrrev_b16_e32 v10, 1, v2
	v_mov_b32_e32 v6, 0
	s_lshl_b32 s6, s6, 1
	v_cmp_gt_u32_e32 vcc, s9, v10
	v_mov_b32_e32 v7, v6
	v_mov_b32_e32 v8, v6
	;; [unrolled: 1-line block ×5, first 2 shown]
	s_and_saveexec_b64 s[10:11], vcc
	s_cbranch_execz .LBB78_4
; %bb.1:
	s_load_dwordx4 s[20:23], s[4:5], 0x0
	s_mul_i32 s17, s17, s8
	s_mul_hi_u32 s19, s17, 36
	s_mul_i32 s17, s17, 36
	s_mul_i32 s13, s13, s7
	s_waitcnt lgkmcnt(0)
	s_add_u32 s17, s22, s17
	s_addc_u32 s19, s23, s19
	s_mul_hi_u32 s23, s13, 36
	s_mul_i32 s13, s13, 36
	s_add_u32 s22, s17, s13
	s_mul_hi_u32 s3, s3, s7
	s_addc_u32 s23, s19, s23
	s_add_i32 s3, s7, s3
	s_lshr_b32 s3, s3, s25
	s_mul_i32 s3, s3, s12
	s_mul_hi_u32 s12, s15, s8
	s_add_i32 s12, s8, s12
	s_lshr_b32 s12, s12, s24
	s_mul_i32 s12, s12, s16
	v_lshlrev_b32_e32 v3, 1, v0
	s_add_i32 s13, s6, 1
	v_and_b32_e32 v5, 2, v3
	s_add_i32 s12, s12, s3
	s_mul_i32 s3, s6, s0
	s_mul_i32 s0, s0, s13
	v_and_b32_e32 v3, 1, v0
	v_lshrrev_b16_e32 v2, 1, v2
	s_add_i32 s3, s12, s3
	s_add_i32 s0, s12, s0
	v_lshlrev_b32_e32 v12, 3, v3
	v_mad_u64_u32 v[2:3], s[12:13], v2, 36, s[22:23]
	v_mov_b32_e32 v4, 0
	v_lshlrev_b32_e32 v11, 2, v5
	s_lshl_b32 s15, s1, 1
	s_mov_b64 s[12:13], 0
	s_mov_b32 s16, 0xc080604
	v_mov_b32_e32 v13, 0x3020100
	s_mov_b32 s17, 0xf4f8fafc
	v_mov_b32_e32 v14, 0xfdfeff00
	v_mov_b32_e32 v15, 0x200000
	v_lshlrev_b32_e32 v16, 2, v5
	v_mov_b32_e32 v5, v4
	v_mov_b32_e32 v6, v4
	;; [unrolled: 1-line block ×5, first 2 shown]
.LBB78_2:                               ; =>This Inner Loop Header: Depth=1
	v_add_u32_e32 v19, s3, v10
	v_mad_i64_i32 v[26:27], s[24:25], v19, 17, s[20:21]
	v_add_co_u32_e32 v17, vcc, v2, v12
	v_addc_co_u32_e32 v18, vcc, 0, v3, vcc
	global_load_dwordx2 v[22:23], v[17:18], off offset:4
	global_load_dwordx2 v[24:25], v[17:18], off offset:20
	global_load_dword v20, v[2:3], off
	v_add_co_u32_e32 v17, vcc, v26, v11
	v_addc_co_u32_e32 v18, vcc, 0, v27, vcc
	global_load_dwordx2 v[18:19], v[17:18], off offset:1
	s_waitcnt vmcnt(1)
	v_cvt_f32_f16_e32 v30, v20
	s_waitcnt vmcnt(0)
	v_ashrrev_i32_e32 v20, 4, v18
	v_and_b32_e32 v17, 0x7070707, v18
	v_lshrrev_b32_e32 v18, 1, v18
	v_and_b32_e32 v18, 0x4040404, v18
	v_perm_b32 v21, s16, v13, v17
	v_perm_b32 v17, s17, v14, v17
	v_or_b32_e32 v18, 0x3020100, v18
	v_perm_b32 v17, v17, v21, v18
	v_lshrrev_b32_e32 v18, 1, v20
	v_and_b32_e32 v28, 0x7070707, v20
	v_and_b32_e32 v18, 0x4040404, v18
	v_perm_b32 v29, s16, v13, v28
	v_perm_b32 v28, s17, v14, v28
	v_or_b32_e32 v18, 0x3020100, v18
	v_perm_b32 v18, v28, v29, v18
	v_dot4_i32_i8 v20, v17, v22, 0
	v_dot4_i32_i8 v21, v18, v24, v20
	v_ashrrev_i32_e32 v20, 4, v19
	v_and_b32_e32 v28, 0x7070707, v19
	v_lshrrev_b32_e32 v19, 1, v19
	v_and_b32_e32 v31, 0x7070707, v20
	v_and_b32_e32 v19, 0x4040404, v19
	v_lshrrev_b32_e32 v20, 1, v20
	v_perm_b32 v29, s16, v13, v28
	v_perm_b32 v28, s17, v14, v28
	v_or_b32_e32 v19, 0x3020100, v19
	v_and_b32_e32 v20, 0x4040404, v20
	v_perm_b32 v32, s16, v13, v31
	v_perm_b32 v31, s17, v14, v31
	v_perm_b32 v19, v28, v29, v19
	v_or_b32_e32 v20, 0x3020100, v20
	v_perm_b32 v20, v31, v32, v20
	v_dot4_i32_i8 v21, v19, v23, v21
	v_dot4_i32_i8 v28, v20, v25, v21
	global_load_ubyte v21, v[26:27], off
	v_cvt_f32_i32_e32 v27, v28
	s_waitcnt vmcnt(0)
	v_cmp_ne_u32_e32 vcc, 0, v21
	v_lshlrev_b32_e32 v21, 23, v21
	v_mul_f32_e32 v21, 0.5, v21
	v_cndmask_b32_e32 v21, v15, v21, vcc
	v_mul_f32_e32 v26, v21, v30
	v_fmac_f32_e32 v9, v26, v27
	v_add_u32_e32 v26, s0, v10
	v_mad_i64_i32 v[26:27], s[24:25], v26, 17, s[20:21]
	v_add_co_u32_e32 v28, vcc, v26, v11
	v_addc_co_u32_e32 v29, vcc, 0, v27, vcc
	global_load_dwordx2 v[28:29], v[28:29], off offset:1
	s_waitcnt vmcnt(0)
	v_ashrrev_i32_e32 v31, 4, v28
	v_and_b32_e32 v32, 0x7070707, v28
	v_lshrrev_b32_e32 v28, 1, v28
	v_and_b32_e32 v28, 0x4040404, v28
	v_perm_b32 v33, s16, v13, v32
	v_perm_b32 v32, s17, v14, v32
	v_or_b32_e32 v28, 0x3020100, v28
	v_perm_b32 v32, v32, v33, v28
	v_lshrrev_b32_e32 v28, 1, v31
	v_and_b32_e32 v34, 0x7070707, v31
	v_and_b32_e32 v28, 0x4040404, v28
	v_perm_b32 v35, s16, v13, v34
	v_perm_b32 v34, s17, v14, v34
	v_or_b32_e32 v28, 0x3020100, v28
	v_perm_b32 v31, v34, v35, v28
	v_dot4_i32_i8 v22, v32, v22, 0
	v_dot4_i32_i8 v22, v31, v24, v22
	v_ashrrev_i32_e32 v24, 4, v29
	v_and_b32_e32 v28, 0x7070707, v29
	v_lshrrev_b32_e32 v29, 1, v29
	v_and_b32_e32 v29, 0x4040404, v29
	v_perm_b32 v33, s16, v13, v28
	v_perm_b32 v28, s17, v14, v28
	v_or_b32_e32 v29, 0x3020100, v29
	v_perm_b32 v33, v28, v33, v29
	v_dot4_i32_i8 v22, v33, v23, v22
	global_load_ubyte v23, v[26:27], off
	v_and_b32_e32 v34, 0x7070707, v24
	v_lshrrev_b32_e32 v24, 1, v24
	v_and_b32_e32 v24, 0x4040404, v24
	v_perm_b32 v35, s16, v13, v34
	v_perm_b32 v34, s17, v14, v34
	v_or_b32_e32 v24, 0x3020100, v24
	v_perm_b32 v34, v34, v35, v24
	v_dot4_i32_i8 v22, v34, v25, v22
	v_cvt_f32_i32_e32 v22, v22
	s_waitcnt vmcnt(0)
	v_cmp_ne_u32_e32 vcc, 0, v23
	v_lshlrev_b32_e32 v23, 23, v23
	v_mul_f32_e32 v23, 0.5, v23
	v_cndmask_b32_e32 v35, v15, v23, vcc
	v_mul_f32_e32 v23, v35, v30
	v_fmac_f32_e32 v8, v23, v22
	v_add_u32_e32 v22, s1, v10
	v_mad_u64_u32 v[22:23], s[24:25], v22, 36, s[22:23]
	v_add_co_u32_e32 v24, vcc, v22, v16
	v_addc_co_u32_e32 v25, vcc, 0, v23, vcc
	global_load_dwordx2 v[26:27], v[24:25], off offset:4
	global_load_dwordx2 v[28:29], v[24:25], off offset:20
	global_load_dword v30, v[22:23], off
	s_waitcnt vmcnt(2)
	v_dot4_i32_i8 v23, v17, v26, 0
	s_waitcnt vmcnt(1)
	v_dot4_i32_i8 v23, v18, v28, v23
	v_dot4_i32_i8 v23, v19, v27, v23
	s_waitcnt vmcnt(0)
	v_cvt_f32_f16_e32 v22, v30
	v_dot4_i32_i8 v23, v20, v29, v23
	v_cvt_f32_i32_e32 v23, v23
	v_mul_f32_e32 v24, v21, v22
	v_mul_f32_e32 v22, v35, v22
	v_fmac_f32_e32 v7, v24, v23
	v_dot4_i32_i8 v23, v32, v26, 0
	v_dot4_i32_i8 v23, v31, v28, v23
	;; [unrolled: 1-line block ×4, first 2 shown]
	v_cvt_f32_i32_e32 v23, v23
	v_fmac_f32_e32 v6, v22, v23
	v_add_u32_e32 v22, s15, v10
	v_mad_u64_u32 v[22:23], s[24:25], v22, 36, s[22:23]
	v_add_u32_e32 v10, 64, v10
	v_add_co_u32_e32 v24, vcc, v22, v16
	v_addc_co_u32_e32 v25, vcc, 0, v23, vcc
	global_load_dwordx2 v[26:27], v[24:25], off offset:4
	global_load_dwordx2 v[28:29], v[24:25], off offset:20
	global_load_dword v30, v[22:23], off
	v_add_co_u32_e32 v2, vcc, 0x900, v2
	v_addc_co_u32_e32 v3, vcc, 0, v3, vcc
	v_cmp_le_u32_e32 vcc, s9, v10
	s_or_b64 s[12:13], vcc, s[12:13]
	s_waitcnt vmcnt(2)
	v_dot4_i32_i8 v17, v17, v26, 0
	s_waitcnt vmcnt(1)
	v_dot4_i32_i8 v17, v18, v28, v17
	v_dot4_i32_i8 v17, v19, v27, v17
	s_waitcnt vmcnt(0)
	v_cvt_f32_f16_e32 v22, v30
	v_dot4_i32_i8 v17, v20, v29, v17
	v_cvt_f32_i32_e32 v17, v17
	v_mul_f32_e32 v18, v21, v22
	v_fmac_f32_e32 v5, v18, v17
	v_dot4_i32_i8 v17, v32, v26, 0
	v_dot4_i32_i8 v17, v31, v28, v17
	;; [unrolled: 1-line block ×4, first 2 shown]
	v_cvt_f32_i32_e32 v17, v17
	v_mul_f32_e32 v18, v35, v22
	v_fmac_f32_e32 v4, v18, v17
	s_andn2_b64 exec, exec, s[12:13]
	s_cbranch_execnz .LBB78_2
; %bb.3:
	s_or_b64 exec, exec, s[12:13]
.LBB78_4:
	s_or_b64 exec, exec, s[10:11]
	v_cmp_eq_u32_e32 vcc, 0, v1
	v_cmp_ne_u32_e64 s[0:1], 0, v1
	s_and_saveexec_b64 s[10:11], s[0:1]
	s_cbranch_execz .LBB78_6
; %bb.5:
	v_mul_u32_u24_e32 v1, 0x600, v1
	v_lshl_or_b32 v1, v0, 2, v1
	v_add_u32_e32 v1, 0xfffffa00, v1
	ds_write2st64_b32 v1, v9, v8 offset1:1
	ds_write2st64_b32 v1, v7, v6 offset0:2 offset1:3
	ds_write2st64_b32 v1, v5, v4 offset0:4 offset1:5
.LBB78_6:
	s_or_b64 exec, exec, s[10:11]
	s_waitcnt lgkmcnt(0)
	s_barrier
	s_and_saveexec_b64 s[0:1], vcc
	s_cbranch_execz .LBB78_13
; %bb.7:
	v_lshlrev_b32_e32 v3, 2, v0
	v_mbcnt_lo_u32_b32 v1, -1, 0
	v_mbcnt_hi_u32_b32 v13, -1, v1
	ds_read2st64_b32 v[11:12], v3 offset1:1
	v_and_b32_e32 v1, 64, v13
	v_add_u32_e32 v14, 64, v1
	v_xor_b32_e32 v1, 32, v13
	v_cmp_lt_i32_e32 vcc, v1, v14
	v_cndmask_b32_e32 v1, v13, v1, vcc
	v_lshlrev_b32_e32 v1, 2, v1
	s_waitcnt lgkmcnt(0)
	v_add_f32_e32 v9, v11, v9
	v_add_f32_e32 v12, v12, v8
	ds_bpermute_b32 v11, v1, v9
	ds_bpermute_b32 v16, v1, v12
	v_xor_b32_e32 v2, 16, v13
	v_cmp_lt_i32_e32 vcc, v2, v14
	v_cndmask_b32_e32 v2, v13, v2, vcc
	v_lshlrev_b32_e32 v2, 2, v2
	s_waitcnt lgkmcnt(1)
	v_add_f32_e32 v9, v9, v11
	s_waitcnt lgkmcnt(0)
	v_add_f32_e32 v12, v12, v16
	ds_bpermute_b32 v11, v2, v9
	ds_bpermute_b32 v16, v2, v12
	v_xor_b32_e32 v10, 8, v13
	v_cmp_lt_i32_e32 vcc, v10, v14
	v_cndmask_b32_e32 v10, v13, v10, vcc
	v_lshlrev_b32_e32 v10, 2, v10
	s_waitcnt lgkmcnt(1)
	v_add_f32_e32 v11, v9, v11
	s_waitcnt lgkmcnt(0)
	;; [unrolled: 10-line block ×3, first 2 shown]
	v_add_f32_e32 v12, v12, v16
	ds_bpermute_b32 v17, v8, v11
	ds_bpermute_b32 v16, v8, v12
	v_xor_b32_e32 v15, 2, v13
	v_cmp_lt_i32_e32 vcc, v15, v14
	v_cndmask_b32_e32 v15, v13, v15, vcc
	v_lshlrev_b32_e32 v9, 2, v15
	v_xor_b32_e32 v15, 1, v13
	v_cmp_lt_i32_e32 vcc, v15, v14
	s_waitcnt lgkmcnt(1)
	v_add_f32_e32 v11, v11, v17
	s_waitcnt lgkmcnt(0)
	v_add_f32_e32 v12, v12, v16
	v_cndmask_b32_e32 v13, v13, v15, vcc
	ds_bpermute_b32 v14, v9, v11
	ds_bpermute_b32 v15, v9, v12
	s_load_dwordx2 s[0:1], s[4:5], 0x38
	s_mul_i32 s4, s14, s7
	v_lshlrev_b32_e32 v13, 2, v13
	s_waitcnt lgkmcnt(0)
	v_add_f32_e32 v11, v11, v14
	v_add_f32_e32 v12, v12, v15
	s_mul_i32 s3, s18, s8
	s_add_i32 s4, s4, s6
	ds_bpermute_b32 v14, v13, v11
	ds_bpermute_b32 v15, v13, v12
	s_add_i32 s4, s4, s3
	s_mov_b32 s5, 0
	s_lshl_b64 s[4:5], s[4:5], 2
	s_add_u32 s4, s0, s4
	v_add_u32_e32 v16, s6, v0
	s_addc_u32 s5, s1, s5
	v_cmp_gt_u32_e32 vcc, 2, v0
	v_cmp_gt_u32_e64 s[0:1], s2, v16
	s_and_b64 s[0:1], vcc, s[0:1]
	s_waitcnt lgkmcnt(1)
	v_add_f32_e32 v11, v11, v14
	s_waitcnt lgkmcnt(0)
	v_add_f32_e32 v12, v12, v15
	s_and_saveexec_b64 s[6:7], s[0:1]
	s_cbranch_execz .LBB78_9
; %bb.8:
	v_cmp_eq_u32_e32 vcc, 1, v0
	v_cndmask_b32_e32 v14, v11, v12, vcc
	v_cmp_eq_u32_e32 vcc, 2, v0
	v_cndmask_b32_e32 v14, v14, v7, vcc
	;; [unrolled: 2-line block ×5, first 2 shown]
	global_store_dword v3, v14, s[4:5]
.LBB78_9:
	s_or_b64 exec, exec, s[6:7]
	ds_read2st64_b32 v[14:15], v3 offset0:2 offset1:3
	s_waitcnt lgkmcnt(0)
	v_add_f32_e32 v7, v14, v7
	v_add_f32_e32 v6, v15, v6
	ds_bpermute_b32 v14, v1, v7
	ds_bpermute_b32 v15, v1, v6
	s_waitcnt lgkmcnt(1)
	v_add_f32_e32 v7, v7, v14
	s_waitcnt lgkmcnt(0)
	v_add_f32_e32 v6, v6, v15
	ds_bpermute_b32 v14, v2, v7
	ds_bpermute_b32 v15, v2, v6
	s_waitcnt lgkmcnt(1)
	v_add_f32_e32 v7, v7, v14
	s_waitcnt lgkmcnt(0)
	;; [unrolled: 6-line block ×6, first 2 shown]
	v_add_f32_e32 v6, v6, v15
	s_and_saveexec_b64 s[6:7], s[0:1]
	s_cbranch_execz .LBB78_11
; %bb.10:
	v_add_u32_e32 v14, 2, v0
	v_cmp_eq_u32_e32 vcc, 1, v14
	v_cndmask_b32_e32 v15, v11, v12, vcc
	v_cmp_eq_u32_e32 vcc, 2, v14
	v_cndmask_b32_e32 v15, v15, v7, vcc
	;; [unrolled: 2-line block ×5, first 2 shown]
	v_add_u32_e32 v14, s2, v0
	v_mov_b32_e32 v15, 0
	v_lshlrev_b64 v[14:15], 2, v[14:15]
	v_mov_b32_e32 v17, s5
	v_add_co_u32_e32 v14, vcc, s4, v14
	v_addc_co_u32_e32 v15, vcc, v17, v15, vcc
	global_store_dword v[14:15], v16, off
.LBB78_11:
	s_or_b64 exec, exec, s[6:7]
	ds_read2st64_b32 v[14:15], v3 offset0:4 offset1:5
	s_waitcnt lgkmcnt(0)
	v_add_f32_e32 v3, v14, v5
	v_add_f32_e32 v4, v15, v4
	ds_bpermute_b32 v5, v1, v3
	ds_bpermute_b32 v1, v1, v4
	s_waitcnt lgkmcnt(1)
	v_add_f32_e32 v3, v3, v5
	s_waitcnt lgkmcnt(0)
	v_add_f32_e32 v1, v4, v1
	ds_bpermute_b32 v4, v2, v3
	ds_bpermute_b32 v2, v2, v1
	s_waitcnt lgkmcnt(1)
	v_add_f32_e32 v3, v3, v4
	s_waitcnt lgkmcnt(0)
	;; [unrolled: 6-line block ×5, first 2 shown]
	v_add_f32_e32 v2, v3, v4
	ds_bpermute_b32 v3, v13, v1
	ds_bpermute_b32 v4, v13, v2
	s_and_b64 exec, exec, s[0:1]
	s_cbranch_execz .LBB78_13
; %bb.12:
	s_waitcnt lgkmcnt(1)
	v_add_f32_e32 v1, v1, v3
	v_add_u32_e32 v3, 4, v0
	v_cmp_eq_u32_e32 vcc, 1, v3
	s_waitcnt lgkmcnt(0)
	v_add_f32_e32 v2, v2, v4
	v_cndmask_b32_e32 v4, v11, v12, vcc
	v_cmp_eq_u32_e32 vcc, 2, v3
	v_cndmask_b32_e32 v4, v4, v7, vcc
	v_cmp_eq_u32_e32 vcc, 3, v3
	v_cndmask_b32_e32 v4, v4, v6, vcc
	v_cmp_eq_u32_e32 vcc, 4, v3
	v_cndmask_b32_e32 v1, v4, v1, vcc
	v_cmp_eq_u32_e32 vcc, 5, v3
	v_cndmask_b32_e32 v2, v1, v2, vcc
	v_lshl_or_b32 v0, s2, 1, v0
	v_mov_b32_e32 v1, 0
	v_lshlrev_b64 v[0:1], 2, v[0:1]
	v_mov_b32_e32 v3, s5
	v_add_co_u32_e32 v0, vcc, s4, v0
	v_addc_co_u32_e32 v1, vcc, v3, v1, vcc
	global_store_dword v[0:1], v2, off
.LBB78_13:
	s_endpgm
	.section	.rodata,"a",@progbits
	.p2align	6, 0x0
	.amdhsa_kernel _ZL13mul_mat_vec_qIL9ggml_type39ELi3ELb0ELb0EEvPKvS2_PKi31ggml_cuda_mm_fusion_args_devicePfj15HIP_vector_typeIjLj3EEjjjS8_jjjS8_jjjj
		.amdhsa_group_segment_fixed_size 1536
		.amdhsa_private_segment_fixed_size 0
		.amdhsa_kernarg_size 144
		.amdhsa_user_sgpr_count 6
		.amdhsa_user_sgpr_private_segment_buffer 1
		.amdhsa_user_sgpr_dispatch_ptr 0
		.amdhsa_user_sgpr_queue_ptr 0
		.amdhsa_user_sgpr_kernarg_segment_ptr 1
		.amdhsa_user_sgpr_dispatch_id 0
		.amdhsa_user_sgpr_flat_scratch_init 0
		.amdhsa_user_sgpr_private_segment_size 0
		.amdhsa_uses_dynamic_stack 0
		.amdhsa_system_sgpr_private_segment_wavefront_offset 0
		.amdhsa_system_sgpr_workgroup_id_x 1
		.amdhsa_system_sgpr_workgroup_id_y 1
		.amdhsa_system_sgpr_workgroup_id_z 1
		.amdhsa_system_sgpr_workgroup_info 0
		.amdhsa_system_vgpr_workitem_id 1
		.amdhsa_next_free_vgpr 36
		.amdhsa_next_free_sgpr 26
		.amdhsa_reserve_vcc 1
		.amdhsa_reserve_flat_scratch 0
		.amdhsa_float_round_mode_32 0
		.amdhsa_float_round_mode_16_64 0
		.amdhsa_float_denorm_mode_32 3
		.amdhsa_float_denorm_mode_16_64 3
		.amdhsa_dx10_clamp 1
		.amdhsa_ieee_mode 1
		.amdhsa_fp16_overflow 0
		.amdhsa_exception_fp_ieee_invalid_op 0
		.amdhsa_exception_fp_denorm_src 0
		.amdhsa_exception_fp_ieee_div_zero 0
		.amdhsa_exception_fp_ieee_overflow 0
		.amdhsa_exception_fp_ieee_underflow 0
		.amdhsa_exception_fp_ieee_inexact 0
		.amdhsa_exception_int_div_zero 0
	.end_amdhsa_kernel
	.section	.text._ZL13mul_mat_vec_qIL9ggml_type39ELi3ELb0ELb0EEvPKvS2_PKi31ggml_cuda_mm_fusion_args_devicePfj15HIP_vector_typeIjLj3EEjjjS8_jjjS8_jjjj,"axG",@progbits,_ZL13mul_mat_vec_qIL9ggml_type39ELi3ELb0ELb0EEvPKvS2_PKi31ggml_cuda_mm_fusion_args_devicePfj15HIP_vector_typeIjLj3EEjjjS8_jjjS8_jjjj,comdat
.Lfunc_end78:
	.size	_ZL13mul_mat_vec_qIL9ggml_type39ELi3ELb0ELb0EEvPKvS2_PKi31ggml_cuda_mm_fusion_args_devicePfj15HIP_vector_typeIjLj3EEjjjS8_jjjS8_jjjj, .Lfunc_end78-_ZL13mul_mat_vec_qIL9ggml_type39ELi3ELb0ELb0EEvPKvS2_PKi31ggml_cuda_mm_fusion_args_devicePfj15HIP_vector_typeIjLj3EEjjjS8_jjjS8_jjjj
                                        ; -- End function
	.set _ZL13mul_mat_vec_qIL9ggml_type39ELi3ELb0ELb0EEvPKvS2_PKi31ggml_cuda_mm_fusion_args_devicePfj15HIP_vector_typeIjLj3EEjjjS8_jjjS8_jjjj.num_vgpr, 36
	.set _ZL13mul_mat_vec_qIL9ggml_type39ELi3ELb0ELb0EEvPKvS2_PKi31ggml_cuda_mm_fusion_args_devicePfj15HIP_vector_typeIjLj3EEjjjS8_jjjS8_jjjj.num_agpr, 0
	.set _ZL13mul_mat_vec_qIL9ggml_type39ELi3ELb0ELb0EEvPKvS2_PKi31ggml_cuda_mm_fusion_args_devicePfj15HIP_vector_typeIjLj3EEjjjS8_jjjS8_jjjj.numbered_sgpr, 26
	.set _ZL13mul_mat_vec_qIL9ggml_type39ELi3ELb0ELb0EEvPKvS2_PKi31ggml_cuda_mm_fusion_args_devicePfj15HIP_vector_typeIjLj3EEjjjS8_jjjS8_jjjj.num_named_barrier, 0
	.set _ZL13mul_mat_vec_qIL9ggml_type39ELi3ELb0ELb0EEvPKvS2_PKi31ggml_cuda_mm_fusion_args_devicePfj15HIP_vector_typeIjLj3EEjjjS8_jjjS8_jjjj.private_seg_size, 0
	.set _ZL13mul_mat_vec_qIL9ggml_type39ELi3ELb0ELb0EEvPKvS2_PKi31ggml_cuda_mm_fusion_args_devicePfj15HIP_vector_typeIjLj3EEjjjS8_jjjS8_jjjj.uses_vcc, 1
	.set _ZL13mul_mat_vec_qIL9ggml_type39ELi3ELb0ELb0EEvPKvS2_PKi31ggml_cuda_mm_fusion_args_devicePfj15HIP_vector_typeIjLj3EEjjjS8_jjjS8_jjjj.uses_flat_scratch, 0
	.set _ZL13mul_mat_vec_qIL9ggml_type39ELi3ELb0ELb0EEvPKvS2_PKi31ggml_cuda_mm_fusion_args_devicePfj15HIP_vector_typeIjLj3EEjjjS8_jjjS8_jjjj.has_dyn_sized_stack, 0
	.set _ZL13mul_mat_vec_qIL9ggml_type39ELi3ELb0ELb0EEvPKvS2_PKi31ggml_cuda_mm_fusion_args_devicePfj15HIP_vector_typeIjLj3EEjjjS8_jjjS8_jjjj.has_recursion, 0
	.set _ZL13mul_mat_vec_qIL9ggml_type39ELi3ELb0ELb0EEvPKvS2_PKi31ggml_cuda_mm_fusion_args_devicePfj15HIP_vector_typeIjLj3EEjjjS8_jjjS8_jjjj.has_indirect_call, 0
	.section	.AMDGPU.csdata,"",@progbits
; Kernel info:
; codeLenInByte = 2492
; TotalNumSgprs: 30
; NumVgprs: 36
; ScratchSize: 0
; MemoryBound: 0
; FloatMode: 240
; IeeeMode: 1
; LDSByteSize: 1536 bytes/workgroup (compile time only)
; SGPRBlocks: 3
; VGPRBlocks: 8
; NumSGPRsForWavesPerEU: 30
; NumVGPRsForWavesPerEU: 36
; Occupancy: 7
; WaveLimiterHint : 0
; COMPUTE_PGM_RSRC2:SCRATCH_EN: 0
; COMPUTE_PGM_RSRC2:USER_SGPR: 6
; COMPUTE_PGM_RSRC2:TRAP_HANDLER: 0
; COMPUTE_PGM_RSRC2:TGID_X_EN: 1
; COMPUTE_PGM_RSRC2:TGID_Y_EN: 1
; COMPUTE_PGM_RSRC2:TGID_Z_EN: 1
; COMPUTE_PGM_RSRC2:TIDIG_COMP_CNT: 1
	.section	.text._ZL13mul_mat_vec_qIL9ggml_type39ELi4ELb0ELb0EEvPKvS2_PKi31ggml_cuda_mm_fusion_args_devicePfj15HIP_vector_typeIjLj3EEjjjS8_jjjS8_jjjj,"axG",@progbits,_ZL13mul_mat_vec_qIL9ggml_type39ELi4ELb0ELb0EEvPKvS2_PKi31ggml_cuda_mm_fusion_args_devicePfj15HIP_vector_typeIjLj3EEjjjS8_jjjS8_jjjj,comdat
	.globl	_ZL13mul_mat_vec_qIL9ggml_type39ELi4ELb0ELb0EEvPKvS2_PKi31ggml_cuda_mm_fusion_args_devicePfj15HIP_vector_typeIjLj3EEjjjS8_jjjS8_jjjj ; -- Begin function _ZL13mul_mat_vec_qIL9ggml_type39ELi4ELb0ELb0EEvPKvS2_PKi31ggml_cuda_mm_fusion_args_devicePfj15HIP_vector_typeIjLj3EEjjjS8_jjjS8_jjjj
	.p2align	8
	.type	_ZL13mul_mat_vec_qIL9ggml_type39ELi4ELb0ELb0EEvPKvS2_PKi31ggml_cuda_mm_fusion_args_devicePfj15HIP_vector_typeIjLj3EEjjjS8_jjjS8_jjjj,@function
_ZL13mul_mat_vec_qIL9ggml_type39ELi4ELb0ELb0EEvPKvS2_PKi31ggml_cuda_mm_fusion_args_devicePfj15HIP_vector_typeIjLj3EEjjjS8_jjjS8_jjjj: ; @_ZL13mul_mat_vec_qIL9ggml_type39ELi4ELb0ELb0EEvPKvS2_PKi31ggml_cuda_mm_fusion_args_devicePfj15HIP_vector_typeIjLj3EEjjjS8_jjjS8_jjjj
; %bb.0:
	v_lshlrev_b32_e32 v2, 6, v1
	s_load_dword s9, s[4:5], 0x40
	s_load_dwordx4 s[0:3], s[4:5], 0x50
	s_load_dword s25, s[4:5], 0x60
	s_load_dwordx4 s[12:15], s[4:5], 0x68
	;; [unrolled: 2-line block ×3, first 2 shown]
	v_add_u16_e32 v2, v2, v0
	s_waitcnt lgkmcnt(0)
	s_lshr_b32 s9, s9, 5
	v_lshrrev_b16_e32 v12, 1, v2
	v_mov_b32_e32 v6, 0
	s_lshl_b32 s6, s6, 1
	v_cmp_gt_u32_e32 vcc, s9, v12
	v_mov_b32_e32 v7, v6
	v_mov_b32_e32 v8, v6
	;; [unrolled: 1-line block ×7, first 2 shown]
	s_and_saveexec_b64 s[10:11], vcc
	s_cbranch_execz .LBB79_4
; %bb.1:
	s_load_dwordx4 s[20:23], s[4:5], 0x0
	s_mul_i32 s17, s17, s8
	s_mul_hi_u32 s19, s17, 36
	s_mul_i32 s17, s17, 36
	s_mul_i32 s13, s13, s7
	s_waitcnt lgkmcnt(0)
	s_add_u32 s17, s22, s17
	s_addc_u32 s19, s23, s19
	s_mul_hi_u32 s23, s13, 36
	s_mul_i32 s13, s13, 36
	s_add_u32 s22, s17, s13
	s_mul_hi_u32 s3, s3, s7
	s_addc_u32 s23, s19, s23
	s_add_i32 s3, s7, s3
	s_lshr_b32 s3, s3, s25
	s_mul_i32 s3, s3, s12
	s_mul_hi_u32 s12, s15, s8
	s_add_i32 s12, s8, s12
	s_lshr_b32 s12, s12, s24
	s_mul_i32 s12, s12, s16
	v_lshlrev_b32_e32 v3, 1, v0
	s_add_i32 s13, s6, 1
	v_and_b32_e32 v5, 2, v3
	s_add_i32 s12, s12, s3
	s_mul_i32 s3, s6, s0
	s_mul_i32 s0, s0, s13
	v_and_b32_e32 v3, 1, v0
	v_lshrrev_b16_e32 v2, 1, v2
	s_add_i32 s3, s12, s3
	s_add_i32 s0, s12, s0
	v_lshlrev_b32_e32 v14, 3, v3
	v_mad_u64_u32 v[2:3], s[12:13], v2, 36, s[22:23]
	v_mov_b32_e32 v4, 0
	v_lshlrev_b32_e32 v13, 2, v5
	s_lshl_b32 s15, s1, 1
	s_mul_i32 s16, s1, 3
	s_mov_b64 s[12:13], 0
	s_mov_b32 s17, 0xc080604
	v_mov_b32_e32 v15, 0x3020100
	s_mov_b32 s19, 0xf4f8fafc
	v_mov_b32_e32 v16, 0xfdfeff00
	v_mov_b32_e32 v17, 0x200000
	v_lshlrev_b32_e32 v18, 2, v5
	v_mov_b32_e32 v5, v4
	v_mov_b32_e32 v6, v4
	;; [unrolled: 1-line block ×7, first 2 shown]
.LBB79_2:                               ; =>This Inner Loop Header: Depth=1
	v_add_u32_e32 v21, s3, v12
	v_mad_i64_i32 v[23:24], s[24:25], v21, 17, s[20:21]
	v_add_co_u32_e32 v19, vcc, v2, v14
	v_addc_co_u32_e32 v20, vcc, 0, v3, vcc
	global_load_dwordx2 v[28:29], v[19:20], off offset:4
	global_load_dwordx2 v[30:31], v[19:20], off offset:20
	global_load_dword v22, v[2:3], off
	v_add_co_u32_e32 v19, vcc, v23, v13
	v_addc_co_u32_e32 v20, vcc, 0, v24, vcc
	global_load_dwordx2 v[20:21], v[19:20], off offset:1
	s_waitcnt vmcnt(1)
	v_cvt_f32_f16_e32 v34, v22
	global_load_ubyte v23, v[23:24], off
	s_waitcnt vmcnt(1)
	v_ashrrev_i32_e32 v22, 4, v20
	v_and_b32_e32 v19, 0x7070707, v20
	v_lshrrev_b32_e32 v20, 1, v20
	v_and_b32_e32 v20, 0x4040404, v20
	v_perm_b32 v25, s17, v15, v19
	v_perm_b32 v19, s19, v16, v19
	v_or_b32_e32 v20, 0x3020100, v20
	v_perm_b32 v19, v19, v25, v20
	v_lshrrev_b32_e32 v20, 1, v22
	v_and_b32_e32 v26, 0x7070707, v22
	v_and_b32_e32 v20, 0x4040404, v20
	v_perm_b32 v27, s17, v15, v26
	v_perm_b32 v26, s19, v16, v26
	v_or_b32_e32 v20, 0x3020100, v20
	v_perm_b32 v20, v26, v27, v20
	v_dot4_i32_i8 v22, v19, v28, 0
	v_dot4_i32_i8 v25, v20, v30, v22
	v_ashrrev_i32_e32 v22, 4, v21
	v_and_b32_e32 v26, 0x7070707, v21
	v_lshrrev_b32_e32 v21, 1, v21
	v_and_b32_e32 v32, 0x7070707, v22
	v_and_b32_e32 v21, 0x4040404, v21
	v_lshrrev_b32_e32 v22, 1, v22
	v_perm_b32 v27, s17, v15, v26
	v_perm_b32 v26, s19, v16, v26
	v_or_b32_e32 v21, 0x3020100, v21
	v_and_b32_e32 v22, 0x4040404, v22
	v_perm_b32 v33, s17, v15, v32
	v_perm_b32 v32, s19, v16, v32
	;; [unrolled: 1-line block ×3, first 2 shown]
	v_or_b32_e32 v22, 0x3020100, v22
	v_perm_b32 v22, v32, v33, v22
	v_dot4_i32_i8 v25, v21, v29, v25
	v_dot4_i32_i8 v25, v22, v31, v25
	v_cvt_f32_i32_e32 v25, v25
	s_waitcnt vmcnt(0)
	v_cmp_ne_u32_e32 vcc, 0, v23
	v_lshlrev_b32_e32 v23, 23, v23
	v_mul_f32_e32 v23, 0.5, v23
	v_cndmask_b32_e32 v23, v17, v23, vcc
	v_mul_f32_e32 v24, v23, v34
	v_fmac_f32_e32 v11, v24, v25
	v_add_u32_e32 v24, s0, v12
	v_mad_i64_i32 v[32:33], s[24:25], v24, 17, s[20:21]
	v_add_co_u32_e32 v24, vcc, v32, v13
	v_addc_co_u32_e32 v25, vcc, 0, v33, vcc
	global_load_dwordx2 v[26:27], v[24:25], off offset:1
	s_waitcnt vmcnt(0)
	v_ashrrev_i32_e32 v24, 4, v26
	v_and_b32_e32 v25, 0x7070707, v26
	v_lshrrev_b32_e32 v26, 1, v26
	v_and_b32_e32 v36, 0x7070707, v24
	v_and_b32_e32 v26, 0x4040404, v26
	v_lshrrev_b32_e32 v24, 1, v24
	v_perm_b32 v35, s17, v15, v25
	v_perm_b32 v25, s19, v16, v25
	v_or_b32_e32 v26, 0x3020100, v26
	v_and_b32_e32 v24, 0x4040404, v24
	v_perm_b32 v37, s17, v15, v36
	v_perm_b32 v36, s19, v16, v36
	;; [unrolled: 1-line block ×3, first 2 shown]
	v_or_b32_e32 v24, 0x3020100, v24
	v_perm_b32 v26, v36, v37, v24
	v_dot4_i32_i8 v24, v25, v28, 0
	v_dot4_i32_i8 v24, v26, v30, v24
	v_ashrrev_i32_e32 v28, 4, v27
	v_and_b32_e32 v30, 0x7070707, v27
	v_lshrrev_b32_e32 v27, 1, v27
	v_and_b32_e32 v36, 0x7070707, v28
	v_and_b32_e32 v27, 0x4040404, v27
	v_lshrrev_b32_e32 v28, 1, v28
	v_perm_b32 v35, s17, v15, v30
	v_perm_b32 v30, s19, v16, v30
	v_or_b32_e32 v27, 0x3020100, v27
	v_and_b32_e32 v28, 0x4040404, v28
	v_perm_b32 v37, s17, v15, v36
	v_perm_b32 v36, s19, v16, v36
	;; [unrolled: 1-line block ×3, first 2 shown]
	v_or_b32_e32 v28, 0x3020100, v28
	v_perm_b32 v28, v36, v37, v28
	v_dot4_i32_i8 v24, v27, v29, v24
	v_dot4_i32_i8 v29, v28, v31, v24
	global_load_ubyte v24, v[32:33], off
	v_cvt_f32_i32_e32 v29, v29
	s_waitcnt vmcnt(0)
	v_cmp_ne_u32_e32 vcc, 0, v24
	v_lshlrev_b32_e32 v24, 23, v24
	v_mul_f32_e32 v24, 0.5, v24
	v_cndmask_b32_e32 v24, v17, v24, vcc
	v_mul_f32_e32 v30, v24, v34
	v_fmac_f32_e32 v10, v30, v29
	v_add_u32_e32 v29, s1, v12
	v_mad_u64_u32 v[29:30], s[24:25], v29, 36, s[22:23]
	v_add_co_u32_e32 v31, vcc, v29, v18
	v_addc_co_u32_e32 v32, vcc, 0, v30, vcc
	global_load_dwordx2 v[33:34], v[31:32], off offset:4
	global_load_dwordx2 v[35:36], v[31:32], off offset:20
	global_load_dword v37, v[29:30], off
	s_waitcnt vmcnt(2)
	v_dot4_i32_i8 v30, v19, v33, 0
	s_waitcnt vmcnt(1)
	v_dot4_i32_i8 v30, v20, v35, v30
	v_dot4_i32_i8 v30, v21, v34, v30
	s_waitcnt vmcnt(0)
	v_cvt_f32_f16_e32 v29, v37
	v_dot4_i32_i8 v30, v22, v36, v30
	v_cvt_f32_i32_e32 v30, v30
	v_mul_f32_e32 v31, v23, v29
	v_mul_f32_e32 v29, v24, v29
	v_fmac_f32_e32 v9, v31, v30
	v_dot4_i32_i8 v30, v25, v33, 0
	v_dot4_i32_i8 v30, v26, v35, v30
	;; [unrolled: 1-line block ×4, first 2 shown]
	v_cvt_f32_i32_e32 v30, v30
	v_fmac_f32_e32 v8, v29, v30
	v_add_u32_e32 v29, s15, v12
	v_mad_u64_u32 v[29:30], s[24:25], v29, 36, s[22:23]
	v_add_co_u32_e32 v31, vcc, v29, v18
	v_addc_co_u32_e32 v32, vcc, 0, v30, vcc
	global_load_dwordx2 v[33:34], v[31:32], off offset:4
	global_load_dwordx2 v[35:36], v[31:32], off offset:20
	global_load_dword v37, v[29:30], off
	s_waitcnt vmcnt(2)
	v_dot4_i32_i8 v30, v19, v33, 0
	s_waitcnt vmcnt(1)
	v_dot4_i32_i8 v30, v20, v35, v30
	v_dot4_i32_i8 v30, v21, v34, v30
	s_waitcnt vmcnt(0)
	v_cvt_f32_f16_e32 v29, v37
	v_dot4_i32_i8 v30, v22, v36, v30
	v_cvt_f32_i32_e32 v30, v30
	v_mul_f32_e32 v31, v23, v29
	v_mul_f32_e32 v29, v24, v29
	v_fmac_f32_e32 v7, v31, v30
	v_dot4_i32_i8 v30, v25, v33, 0
	v_dot4_i32_i8 v30, v26, v35, v30
	;; [unrolled: 1-line block ×4, first 2 shown]
	v_cvt_f32_i32_e32 v30, v30
	v_fmac_f32_e32 v6, v29, v30
	v_add_u32_e32 v29, s16, v12
	v_mad_u64_u32 v[29:30], s[24:25], v29, 36, s[22:23]
	v_add_u32_e32 v12, 64, v12
	v_add_co_u32_e32 v31, vcc, v29, v18
	v_addc_co_u32_e32 v32, vcc, 0, v30, vcc
	global_load_dwordx2 v[33:34], v[31:32], off offset:4
	global_load_dwordx2 v[35:36], v[31:32], off offset:20
	global_load_dword v37, v[29:30], off
	v_add_co_u32_e32 v2, vcc, 0x900, v2
	v_addc_co_u32_e32 v3, vcc, 0, v3, vcc
	v_cmp_le_u32_e32 vcc, s9, v12
	s_or_b64 s[12:13], vcc, s[12:13]
	s_waitcnt vmcnt(2)
	v_dot4_i32_i8 v19, v19, v33, 0
	s_waitcnt vmcnt(1)
	v_dot4_i32_i8 v19, v20, v35, v19
	v_dot4_i32_i8 v19, v21, v34, v19
	s_waitcnt vmcnt(0)
	v_cvt_f32_f16_e32 v29, v37
	v_dot4_i32_i8 v19, v22, v36, v19
	v_cvt_f32_i32_e32 v19, v19
	v_mul_f32_e32 v20, v23, v29
	v_fmac_f32_e32 v5, v20, v19
	v_dot4_i32_i8 v19, v25, v33, 0
	v_dot4_i32_i8 v19, v26, v35, v19
	;; [unrolled: 1-line block ×4, first 2 shown]
	v_cvt_f32_i32_e32 v19, v19
	v_mul_f32_e32 v20, v24, v29
	v_fmac_f32_e32 v4, v20, v19
	s_andn2_b64 exec, exec, s[12:13]
	s_cbranch_execnz .LBB79_2
; %bb.3:
	s_or_b64 exec, exec, s[12:13]
.LBB79_4:
	s_or_b64 exec, exec, s[10:11]
	v_cmp_eq_u32_e32 vcc, 0, v1
	v_cmp_ne_u32_e64 s[0:1], 0, v1
	v_lshlrev_b32_e32 v2, 2, v0
	s_and_saveexec_b64 s[10:11], s[0:1]
	s_cbranch_execz .LBB79_6
; %bb.5:
	v_lshl_or_b32 v1, v1, 11, v2
	v_add_u32_e32 v1, 0xfffff800, v1
	ds_write2st64_b32 v1, v11, v10 offset1:1
	ds_write2st64_b32 v1, v9, v8 offset0:2 offset1:3
	ds_write2st64_b32 v1, v7, v6 offset0:4 offset1:5
	;; [unrolled: 1-line block ×3, first 2 shown]
.LBB79_6:
	s_or_b64 exec, exec, s[10:11]
	s_waitcnt lgkmcnt(0)
	s_barrier
	s_and_saveexec_b64 s[0:1], vcc
	s_cbranch_execz .LBB79_15
; %bb.7:
	v_mbcnt_lo_u32_b32 v1, -1, 0
	v_mbcnt_hi_u32_b32 v15, -1, v1
	ds_read2st64_b32 v[13:14], v2 offset1:1
	v_and_b32_e32 v1, 64, v15
	v_add_u32_e32 v16, 64, v1
	v_xor_b32_e32 v1, 32, v15
	v_cmp_lt_i32_e32 vcc, v1, v16
	v_cndmask_b32_e32 v1, v15, v1, vcc
	v_lshlrev_b32_e32 v1, 2, v1
	s_waitcnt lgkmcnt(0)
	v_add_f32_e32 v11, v13, v11
	v_add_f32_e32 v14, v14, v10
	ds_bpermute_b32 v13, v1, v11
	ds_bpermute_b32 v18, v1, v14
	v_xor_b32_e32 v3, 16, v15
	v_cmp_lt_i32_e32 vcc, v3, v16
	v_cndmask_b32_e32 v3, v15, v3, vcc
	v_lshlrev_b32_e32 v3, 2, v3
	s_waitcnt lgkmcnt(1)
	v_add_f32_e32 v11, v11, v13
	s_waitcnt lgkmcnt(0)
	v_add_f32_e32 v14, v14, v18
	ds_bpermute_b32 v13, v3, v11
	ds_bpermute_b32 v18, v3, v14
	v_xor_b32_e32 v12, 8, v15
	v_cmp_lt_i32_e32 vcc, v12, v16
	v_cndmask_b32_e32 v12, v15, v12, vcc
	v_lshlrev_b32_e32 v12, 2, v12
	s_waitcnt lgkmcnt(1)
	v_add_f32_e32 v13, v11, v13
	s_waitcnt lgkmcnt(0)
	;; [unrolled: 10-line block ×3, first 2 shown]
	v_add_f32_e32 v14, v14, v18
	ds_bpermute_b32 v19, v10, v13
	ds_bpermute_b32 v18, v10, v14
	v_xor_b32_e32 v17, 2, v15
	v_cmp_lt_i32_e32 vcc, v17, v16
	v_cndmask_b32_e32 v17, v15, v17, vcc
	v_lshlrev_b32_e32 v11, 2, v17
	v_xor_b32_e32 v17, 1, v15
	v_cmp_lt_i32_e32 vcc, v17, v16
	s_waitcnt lgkmcnt(1)
	v_add_f32_e32 v13, v13, v19
	s_waitcnt lgkmcnt(0)
	v_add_f32_e32 v14, v14, v18
	v_cndmask_b32_e32 v15, v15, v17, vcc
	ds_bpermute_b32 v16, v11, v13
	ds_bpermute_b32 v17, v11, v14
	s_load_dwordx2 s[0:1], s[4:5], 0x38
	s_mul_i32 s4, s14, s7
	v_lshlrev_b32_e32 v15, 2, v15
	s_waitcnt lgkmcnt(0)
	v_add_f32_e32 v13, v13, v16
	v_add_f32_e32 v14, v14, v17
	s_mul_i32 s3, s18, s8
	s_add_i32 s4, s4, s6
	ds_bpermute_b32 v16, v15, v13
	ds_bpermute_b32 v17, v15, v14
	s_add_i32 s4, s4, s3
	s_mov_b32 s5, 0
	s_lshl_b64 s[4:5], s[4:5], 2
	s_add_u32 s4, s0, s4
	v_add_u32_e32 v18, s6, v0
	s_addc_u32 s5, s1, s5
	v_cmp_gt_u32_e32 vcc, 2, v0
	v_cmp_gt_u32_e64 s[0:1], s2, v18
	s_and_b64 s[0:1], vcc, s[0:1]
	s_waitcnt lgkmcnt(1)
	v_add_f32_e32 v13, v13, v16
	s_waitcnt lgkmcnt(0)
	v_add_f32_e32 v14, v14, v17
	s_and_saveexec_b64 s[6:7], s[0:1]
	s_cbranch_execz .LBB79_9
; %bb.8:
	v_cmp_eq_u32_e32 vcc, 1, v0
	v_cndmask_b32_e32 v16, v13, v14, vcc
	v_cmp_eq_u32_e32 vcc, 2, v0
	v_cndmask_b32_e32 v16, v16, v9, vcc
	;; [unrolled: 2-line block ×7, first 2 shown]
	global_store_dword v2, v16, s[4:5]
.LBB79_9:
	s_or_b64 exec, exec, s[6:7]
	ds_read2st64_b32 v[16:17], v2 offset0:2 offset1:3
	s_waitcnt lgkmcnt(0)
	v_add_f32_e32 v9, v16, v9
	v_add_f32_e32 v8, v17, v8
	ds_bpermute_b32 v16, v1, v9
	ds_bpermute_b32 v17, v1, v8
	s_waitcnt lgkmcnt(1)
	v_add_f32_e32 v9, v9, v16
	s_waitcnt lgkmcnt(0)
	v_add_f32_e32 v8, v8, v17
	ds_bpermute_b32 v16, v3, v9
	ds_bpermute_b32 v17, v3, v8
	s_waitcnt lgkmcnt(1)
	v_add_f32_e32 v9, v9, v16
	s_waitcnt lgkmcnt(0)
	;; [unrolled: 6-line block ×6, first 2 shown]
	v_add_f32_e32 v8, v8, v17
	s_and_saveexec_b64 s[6:7], s[0:1]
	s_cbranch_execz .LBB79_11
; %bb.10:
	v_add_u32_e32 v16, 2, v0
	v_cmp_eq_u32_e32 vcc, 1, v16
	v_cndmask_b32_e32 v17, v13, v14, vcc
	v_cmp_eq_u32_e32 vcc, 2, v16
	v_cndmask_b32_e32 v17, v17, v9, vcc
	;; [unrolled: 2-line block ×7, first 2 shown]
	v_add_u32_e32 v16, s2, v0
	v_mov_b32_e32 v17, 0
	v_lshlrev_b64 v[16:17], 2, v[16:17]
	v_mov_b32_e32 v19, s5
	v_add_co_u32_e32 v16, vcc, s4, v16
	v_addc_co_u32_e32 v17, vcc, v19, v17, vcc
	global_store_dword v[16:17], v18, off
.LBB79_11:
	s_or_b64 exec, exec, s[6:7]
	ds_read2st64_b32 v[16:17], v2 offset0:4 offset1:5
	s_waitcnt lgkmcnt(0)
	v_add_f32_e32 v7, v16, v7
	v_add_f32_e32 v6, v17, v6
	ds_bpermute_b32 v16, v1, v7
	ds_bpermute_b32 v17, v1, v6
	s_waitcnt lgkmcnt(1)
	v_add_f32_e32 v7, v7, v16
	s_waitcnt lgkmcnt(0)
	v_add_f32_e32 v6, v6, v17
	ds_bpermute_b32 v16, v3, v7
	ds_bpermute_b32 v17, v3, v6
	s_waitcnt lgkmcnt(1)
	v_add_f32_e32 v7, v7, v16
	s_waitcnt lgkmcnt(0)
	;; [unrolled: 6-line block ×6, first 2 shown]
	v_add_f32_e32 v6, v6, v17
	s_and_saveexec_b64 s[6:7], s[0:1]
	s_cbranch_execz .LBB79_13
; %bb.12:
	v_add_u32_e32 v16, 4, v0
	v_cmp_eq_u32_e32 vcc, 1, v16
	v_cndmask_b32_e32 v17, v13, v14, vcc
	v_cmp_eq_u32_e32 vcc, 2, v16
	v_cndmask_b32_e32 v17, v17, v9, vcc
	;; [unrolled: 2-line block ×7, first 2 shown]
	v_lshl_or_b32 v16, s2, 1, v0
	v_mov_b32_e32 v17, 0
	v_lshlrev_b64 v[16:17], 2, v[16:17]
	v_mov_b32_e32 v19, s5
	v_add_co_u32_e32 v16, vcc, s4, v16
	v_addc_co_u32_e32 v17, vcc, v19, v17, vcc
	global_store_dword v[16:17], v18, off
.LBB79_13:
	s_or_b64 exec, exec, s[6:7]
	ds_read2st64_b32 v[16:17], v2 offset0:6 offset1:7
	s_waitcnt lgkmcnt(0)
	v_add_f32_e32 v2, v16, v5
	v_add_f32_e32 v4, v17, v4
	ds_bpermute_b32 v5, v1, v2
	ds_bpermute_b32 v1, v1, v4
	s_waitcnt lgkmcnt(1)
	v_add_f32_e32 v2, v2, v5
	s_waitcnt lgkmcnt(0)
	v_add_f32_e32 v1, v4, v1
	ds_bpermute_b32 v4, v3, v2
	ds_bpermute_b32 v3, v3, v1
	s_waitcnt lgkmcnt(1)
	v_add_f32_e32 v2, v2, v4
	s_waitcnt lgkmcnt(0)
	;; [unrolled: 6-line block ×5, first 2 shown]
	v_add_f32_e32 v2, v3, v4
	ds_bpermute_b32 v3, v15, v1
	ds_bpermute_b32 v4, v15, v2
	s_and_b64 exec, exec, s[0:1]
	s_cbranch_execz .LBB79_15
; %bb.14:
	s_waitcnt lgkmcnt(1)
	v_add_f32_e32 v1, v1, v3
	v_add_u32_e32 v3, 6, v0
	v_cmp_eq_u32_e32 vcc, 1, v3
	s_waitcnt lgkmcnt(0)
	v_add_f32_e32 v2, v2, v4
	v_cndmask_b32_e32 v4, v13, v14, vcc
	v_cmp_eq_u32_e32 vcc, 2, v3
	v_cndmask_b32_e32 v4, v4, v9, vcc
	v_cmp_eq_u32_e32 vcc, 3, v3
	;; [unrolled: 2-line block ×5, first 2 shown]
	v_cndmask_b32_e32 v4, v4, v1, vcc
	v_mad_u64_u32 v[0:1], s[0:1], s2, 3, v[0:1]
	v_mov_b32_e32 v1, 0
	v_cmp_eq_u32_e32 vcc, 7, v3
	v_lshlrev_b64 v[0:1], 2, v[0:1]
	v_cndmask_b32_e32 v2, v4, v2, vcc
	v_mov_b32_e32 v3, s5
	v_add_co_u32_e32 v0, vcc, s4, v0
	v_addc_co_u32_e32 v1, vcc, v3, v1, vcc
	global_store_dword v[0:1], v2, off
.LBB79_15:
	s_endpgm
	.section	.rodata,"a",@progbits
	.p2align	6, 0x0
	.amdhsa_kernel _ZL13mul_mat_vec_qIL9ggml_type39ELi4ELb0ELb0EEvPKvS2_PKi31ggml_cuda_mm_fusion_args_devicePfj15HIP_vector_typeIjLj3EEjjjS8_jjjS8_jjjj
		.amdhsa_group_segment_fixed_size 2048
		.amdhsa_private_segment_fixed_size 0
		.amdhsa_kernarg_size 144
		.amdhsa_user_sgpr_count 6
		.amdhsa_user_sgpr_private_segment_buffer 1
		.amdhsa_user_sgpr_dispatch_ptr 0
		.amdhsa_user_sgpr_queue_ptr 0
		.amdhsa_user_sgpr_kernarg_segment_ptr 1
		.amdhsa_user_sgpr_dispatch_id 0
		.amdhsa_user_sgpr_flat_scratch_init 0
		.amdhsa_user_sgpr_private_segment_size 0
		.amdhsa_uses_dynamic_stack 0
		.amdhsa_system_sgpr_private_segment_wavefront_offset 0
		.amdhsa_system_sgpr_workgroup_id_x 1
		.amdhsa_system_sgpr_workgroup_id_y 1
		.amdhsa_system_sgpr_workgroup_id_z 1
		.amdhsa_system_sgpr_workgroup_info 0
		.amdhsa_system_vgpr_workitem_id 1
		.amdhsa_next_free_vgpr 38
		.amdhsa_next_free_sgpr 61
		.amdhsa_reserve_vcc 1
		.amdhsa_reserve_flat_scratch 0
		.amdhsa_float_round_mode_32 0
		.amdhsa_float_round_mode_16_64 0
		.amdhsa_float_denorm_mode_32 3
		.amdhsa_float_denorm_mode_16_64 3
		.amdhsa_dx10_clamp 1
		.amdhsa_ieee_mode 1
		.amdhsa_fp16_overflow 0
		.amdhsa_exception_fp_ieee_invalid_op 0
		.amdhsa_exception_fp_denorm_src 0
		.amdhsa_exception_fp_ieee_div_zero 0
		.amdhsa_exception_fp_ieee_overflow 0
		.amdhsa_exception_fp_ieee_underflow 0
		.amdhsa_exception_fp_ieee_inexact 0
		.amdhsa_exception_int_div_zero 0
	.end_amdhsa_kernel
	.section	.text._ZL13mul_mat_vec_qIL9ggml_type39ELi4ELb0ELb0EEvPKvS2_PKi31ggml_cuda_mm_fusion_args_devicePfj15HIP_vector_typeIjLj3EEjjjS8_jjjS8_jjjj,"axG",@progbits,_ZL13mul_mat_vec_qIL9ggml_type39ELi4ELb0ELb0EEvPKvS2_PKi31ggml_cuda_mm_fusion_args_devicePfj15HIP_vector_typeIjLj3EEjjjS8_jjjS8_jjjj,comdat
.Lfunc_end79:
	.size	_ZL13mul_mat_vec_qIL9ggml_type39ELi4ELb0ELb0EEvPKvS2_PKi31ggml_cuda_mm_fusion_args_devicePfj15HIP_vector_typeIjLj3EEjjjS8_jjjS8_jjjj, .Lfunc_end79-_ZL13mul_mat_vec_qIL9ggml_type39ELi4ELb0ELb0EEvPKvS2_PKi31ggml_cuda_mm_fusion_args_devicePfj15HIP_vector_typeIjLj3EEjjjS8_jjjS8_jjjj
                                        ; -- End function
	.set _ZL13mul_mat_vec_qIL9ggml_type39ELi4ELb0ELb0EEvPKvS2_PKi31ggml_cuda_mm_fusion_args_devicePfj15HIP_vector_typeIjLj3EEjjjS8_jjjS8_jjjj.num_vgpr, 38
	.set _ZL13mul_mat_vec_qIL9ggml_type39ELi4ELb0ELb0EEvPKvS2_PKi31ggml_cuda_mm_fusion_args_devicePfj15HIP_vector_typeIjLj3EEjjjS8_jjjS8_jjjj.num_agpr, 0
	.set _ZL13mul_mat_vec_qIL9ggml_type39ELi4ELb0ELb0EEvPKvS2_PKi31ggml_cuda_mm_fusion_args_devicePfj15HIP_vector_typeIjLj3EEjjjS8_jjjS8_jjjj.numbered_sgpr, 26
	.set _ZL13mul_mat_vec_qIL9ggml_type39ELi4ELb0ELb0EEvPKvS2_PKi31ggml_cuda_mm_fusion_args_devicePfj15HIP_vector_typeIjLj3EEjjjS8_jjjS8_jjjj.num_named_barrier, 0
	.set _ZL13mul_mat_vec_qIL9ggml_type39ELi4ELb0ELb0EEvPKvS2_PKi31ggml_cuda_mm_fusion_args_devicePfj15HIP_vector_typeIjLj3EEjjjS8_jjjS8_jjjj.private_seg_size, 0
	.set _ZL13mul_mat_vec_qIL9ggml_type39ELi4ELb0ELb0EEvPKvS2_PKi31ggml_cuda_mm_fusion_args_devicePfj15HIP_vector_typeIjLj3EEjjjS8_jjjS8_jjjj.uses_vcc, 1
	.set _ZL13mul_mat_vec_qIL9ggml_type39ELi4ELb0ELb0EEvPKvS2_PKi31ggml_cuda_mm_fusion_args_devicePfj15HIP_vector_typeIjLj3EEjjjS8_jjjS8_jjjj.uses_flat_scratch, 0
	.set _ZL13mul_mat_vec_qIL9ggml_type39ELi4ELb0ELb0EEvPKvS2_PKi31ggml_cuda_mm_fusion_args_devicePfj15HIP_vector_typeIjLj3EEjjjS8_jjjS8_jjjj.has_dyn_sized_stack, 0
	.set _ZL13mul_mat_vec_qIL9ggml_type39ELi4ELb0ELb0EEvPKvS2_PKi31ggml_cuda_mm_fusion_args_devicePfj15HIP_vector_typeIjLj3EEjjjS8_jjjS8_jjjj.has_recursion, 0
	.set _ZL13mul_mat_vec_qIL9ggml_type39ELi4ELb0ELb0EEvPKvS2_PKi31ggml_cuda_mm_fusion_args_devicePfj15HIP_vector_typeIjLj3EEjjjS8_jjjS8_jjjj.has_indirect_call, 0
	.section	.AMDGPU.csdata,"",@progbits
; Kernel info:
; codeLenInByte = 3032
; TotalNumSgprs: 30
; NumVgprs: 38
; ScratchSize: 0
; MemoryBound: 0
; FloatMode: 240
; IeeeMode: 1
; LDSByteSize: 2048 bytes/workgroup (compile time only)
; SGPRBlocks: 8
; VGPRBlocks: 9
; NumSGPRsForWavesPerEU: 65
; NumVGPRsForWavesPerEU: 38
; Occupancy: 6
; WaveLimiterHint : 0
; COMPUTE_PGM_RSRC2:SCRATCH_EN: 0
; COMPUTE_PGM_RSRC2:USER_SGPR: 6
; COMPUTE_PGM_RSRC2:TRAP_HANDLER: 0
; COMPUTE_PGM_RSRC2:TGID_X_EN: 1
; COMPUTE_PGM_RSRC2:TGID_Y_EN: 1
; COMPUTE_PGM_RSRC2:TGID_Z_EN: 1
; COMPUTE_PGM_RSRC2:TIDIG_COMP_CNT: 1
	.section	.text._ZL13mul_mat_vec_qIL9ggml_type39ELi5ELb0ELb0EEvPKvS2_PKi31ggml_cuda_mm_fusion_args_devicePfj15HIP_vector_typeIjLj3EEjjjS8_jjjS8_jjjj,"axG",@progbits,_ZL13mul_mat_vec_qIL9ggml_type39ELi5ELb0ELb0EEvPKvS2_PKi31ggml_cuda_mm_fusion_args_devicePfj15HIP_vector_typeIjLj3EEjjjS8_jjjS8_jjjj,comdat
	.globl	_ZL13mul_mat_vec_qIL9ggml_type39ELi5ELb0ELb0EEvPKvS2_PKi31ggml_cuda_mm_fusion_args_devicePfj15HIP_vector_typeIjLj3EEjjjS8_jjjS8_jjjj ; -- Begin function _ZL13mul_mat_vec_qIL9ggml_type39ELi5ELb0ELb0EEvPKvS2_PKi31ggml_cuda_mm_fusion_args_devicePfj15HIP_vector_typeIjLj3EEjjjS8_jjjS8_jjjj
	.p2align	8
	.type	_ZL13mul_mat_vec_qIL9ggml_type39ELi5ELb0ELb0EEvPKvS2_PKi31ggml_cuda_mm_fusion_args_devicePfj15HIP_vector_typeIjLj3EEjjjS8_jjjS8_jjjj,@function
_ZL13mul_mat_vec_qIL9ggml_type39ELi5ELb0ELb0EEvPKvS2_PKi31ggml_cuda_mm_fusion_args_devicePfj15HIP_vector_typeIjLj3EEjjjS8_jjjS8_jjjj: ; @_ZL13mul_mat_vec_qIL9ggml_type39ELi5ELb0ELb0EEvPKvS2_PKi31ggml_cuda_mm_fusion_args_devicePfj15HIP_vector_typeIjLj3EEjjjS8_jjjS8_jjjj
; %bb.0:
	s_load_dword s9, s[4:5], 0x40
	s_load_dwordx4 s[0:3], s[4:5], 0x50
	s_load_dword s25, s[4:5], 0x60
	s_load_dwordx4 s[12:15], s[4:5], 0x68
	;; [unrolled: 2-line block ×3, first 2 shown]
	v_lshl_or_b32 v2, v1, 6, v0
	s_waitcnt lgkmcnt(0)
	s_lshr_b32 s9, s9, 5
	v_lshrrev_b16_e32 v14, 1, v2
	v_mov_b32_e32 v4, 0
	s_lshl_b32 s6, s6, 1
	v_cmp_gt_u32_e32 vcc, s9, v14
	v_mov_b32_e32 v5, v4
	v_mov_b32_e32 v6, v4
	;; [unrolled: 1-line block ×9, first 2 shown]
	s_and_saveexec_b64 s[10:11], vcc
	s_cbranch_execz .LBB80_4
; %bb.1:
	s_load_dwordx4 s[20:23], s[4:5], 0x0
	s_mul_i32 s17, s17, s8
	s_mul_hi_u32 s19, s17, 36
	s_mul_i32 s17, s17, 36
	s_mul_i32 s13, s13, s7
	s_waitcnt lgkmcnt(0)
	s_add_u32 s17, s22, s17
	s_addc_u32 s19, s23, s19
	s_mul_hi_u32 s23, s13, 36
	s_mul_i32 s13, s13, 36
	s_add_u32 s22, s17, s13
	s_mul_hi_u32 s3, s3, s7
	s_addc_u32 s23, s19, s23
	s_add_i32 s3, s7, s3
	s_lshr_b32 s3, s3, s25
	s_mul_i32 s3, s3, s12
	s_mul_hi_u32 s12, s15, s8
	s_add_i32 s12, s8, s12
	s_lshr_b32 s12, s12, s24
	s_mul_i32 s12, s12, s16
	v_lshlrev_b32_e32 v3, 1, v0
	s_add_i32 s13, s6, 1
	v_and_b32_e32 v5, 2, v3
	s_add_i32 s12, s12, s3
	s_mul_i32 s3, s6, s0
	s_mul_i32 s0, s0, s13
	v_and_b32_e32 v3, 1, v0
	v_lshrrev_b32_e32 v2, 1, v2
	s_add_i32 s3, s12, s3
	s_add_i32 s0, s12, s0
	v_lshlrev_b32_e32 v16, 3, v3
	v_mad_u64_u32 v[2:3], s[12:13], v2, 36, s[22:23]
	v_mov_b32_e32 v4, 0
	v_lshlrev_b32_e32 v15, 2, v5
	s_lshl_b32 s15, s1, 1
	s_mul_i32 s16, s1, 3
	s_lshl_b32 s17, s1, 2
	s_mov_b64 s[12:13], 0
	s_mov_b32 s19, 0xc080604
	s_mov_b32 s24, 0xf4f8fafc
	v_lshlrev_b32_e32 v17, 2, v5
	v_mov_b32_e32 v18, 0x3020100
	v_mov_b32_e32 v19, 0xfdfeff00
	;; [unrolled: 1-line block ×12, first 2 shown]
.LBB80_2:                               ; =>This Inner Loop Header: Depth=1
	v_add_u32_e32 v23, s3, v14
	v_mad_i64_i32 v[25:26], s[26:27], v23, 17, s[20:21]
	v_add_co_u32_e32 v21, vcc, v2, v16
	v_addc_co_u32_e32 v22, vcc, 0, v3, vcc
	global_load_dwordx2 v[29:30], v[21:22], off offset:4
	global_load_dwordx2 v[31:32], v[21:22], off offset:20
	global_load_dword v24, v[2:3], off
	v_add_co_u32_e32 v21, vcc, v25, v15
	v_addc_co_u32_e32 v22, vcc, 0, v26, vcc
	global_load_dwordx2 v[22:23], v[21:22], off offset:1
	s_waitcnt vmcnt(1)
	v_cvt_f32_f16_e32 v35, v24
	global_load_ubyte v25, v[25:26], off
	s_waitcnt vmcnt(1)
	v_ashrrev_i32_e32 v24, 4, v22
	v_and_b32_e32 v21, 0x7070707, v22
	v_lshrrev_b32_e32 v22, 1, v22
	v_and_b32_e32 v22, 0x4040404, v22
	v_perm_b32 v27, s19, v18, v21
	v_perm_b32 v21, s24, v19, v21
	v_or_b32_e32 v22, 0x3020100, v22
	v_perm_b32 v21, v21, v27, v22
	v_lshrrev_b32_e32 v22, 1, v24
	v_and_b32_e32 v28, 0x7070707, v24
	v_and_b32_e32 v22, 0x4040404, v22
	v_perm_b32 v33, s19, v18, v28
	v_perm_b32 v28, s24, v19, v28
	v_or_b32_e32 v22, 0x3020100, v22
	v_perm_b32 v22, v28, v33, v22
	v_dot4_i32_i8 v24, v21, v29, 0
	v_dot4_i32_i8 v27, v22, v31, v24
	v_ashrrev_i32_e32 v24, 4, v23
	v_and_b32_e32 v28, 0x7070707, v23
	v_lshrrev_b32_e32 v23, 1, v23
	v_and_b32_e32 v34, 0x7070707, v24
	v_and_b32_e32 v23, 0x4040404, v23
	v_lshrrev_b32_e32 v24, 1, v24
	v_perm_b32 v33, s19, v18, v28
	v_perm_b32 v28, s24, v19, v28
	v_or_b32_e32 v23, 0x3020100, v23
	v_and_b32_e32 v24, 0x4040404, v24
	v_perm_b32 v36, s19, v18, v34
	v_perm_b32 v34, s24, v19, v34
	;; [unrolled: 1-line block ×3, first 2 shown]
	v_or_b32_e32 v24, 0x3020100, v24
	v_perm_b32 v24, v34, v36, v24
	v_dot4_i32_i8 v27, v23, v30, v27
	v_dot4_i32_i8 v27, v24, v32, v27
	v_cvt_f32_i32_e32 v27, v27
	s_waitcnt vmcnt(0)
	v_cmp_ne_u32_e32 vcc, 0, v25
	v_lshlrev_b32_e32 v25, 23, v25
	v_mul_f32_e32 v25, 0.5, v25
	v_cndmask_b32_e32 v25, v20, v25, vcc
	v_mul_f32_e32 v26, v25, v35
	v_fmac_f32_e32 v13, v26, v27
	v_add_u32_e32 v26, s0, v14
	v_mad_i64_i32 v[33:34], s[26:27], v26, 17, s[20:21]
	v_add_co_u32_e32 v26, vcc, v33, v15
	v_addc_co_u32_e32 v27, vcc, 0, v34, vcc
	global_load_dwordx2 v[27:28], v[26:27], off offset:1
	s_waitcnt vmcnt(0)
	v_ashrrev_i32_e32 v36, 4, v27
	v_and_b32_e32 v26, 0x7070707, v27
	v_lshrrev_b32_e32 v27, 1, v27
	v_and_b32_e32 v27, 0x4040404, v27
	v_perm_b32 v37, s19, v18, v26
	v_perm_b32 v26, s24, v19, v26
	v_or_b32_e32 v27, 0x3020100, v27
	v_perm_b32 v26, v26, v37, v27
	v_lshrrev_b32_e32 v27, 1, v36
	v_and_b32_e32 v38, 0x7070707, v36
	v_and_b32_e32 v27, 0x4040404, v27
	v_perm_b32 v39, s19, v18, v38
	v_perm_b32 v38, s24, v19, v38
	v_or_b32_e32 v27, 0x3020100, v27
	v_perm_b32 v27, v38, v39, v27
	v_dot4_i32_i8 v29, v26, v29, 0
	v_dot4_i32_i8 v31, v27, v31, v29
	v_ashrrev_i32_e32 v29, 4, v28
	v_and_b32_e32 v36, 0x7070707, v28
	v_lshrrev_b32_e32 v28, 1, v28
	v_and_b32_e32 v38, 0x7070707, v29
	v_and_b32_e32 v28, 0x4040404, v28
	v_lshrrev_b32_e32 v29, 1, v29
	v_perm_b32 v37, s19, v18, v36
	v_perm_b32 v36, s24, v19, v36
	v_or_b32_e32 v28, 0x3020100, v28
	v_and_b32_e32 v29, 0x4040404, v29
	v_perm_b32 v39, s19, v18, v38
	v_perm_b32 v38, s24, v19, v38
	;; [unrolled: 1-line block ×3, first 2 shown]
	v_or_b32_e32 v29, 0x3020100, v29
	v_perm_b32 v29, v38, v39, v29
	v_dot4_i32_i8 v30, v28, v30, v31
	v_dot4_i32_i8 v31, v29, v32, v30
	global_load_ubyte v30, v[33:34], off
	v_cvt_f32_i32_e32 v31, v31
	s_waitcnt vmcnt(0)
	v_cmp_ne_u32_e32 vcc, 0, v30
	v_lshlrev_b32_e32 v30, 23, v30
	v_mul_f32_e32 v30, 0.5, v30
	v_cndmask_b32_e32 v30, v20, v30, vcc
	v_mul_f32_e32 v32, v30, v35
	v_fmac_f32_e32 v12, v32, v31
	v_add_u32_e32 v31, s1, v14
	v_mad_u64_u32 v[31:32], s[26:27], v31, 36, s[22:23]
	v_add_co_u32_e32 v33, vcc, v31, v17
	v_addc_co_u32_e32 v34, vcc, 0, v32, vcc
	global_load_dwordx2 v[35:36], v[33:34], off offset:4
	global_load_dwordx2 v[37:38], v[33:34], off offset:20
	global_load_dword v39, v[31:32], off
	s_waitcnt vmcnt(2)
	v_dot4_i32_i8 v32, v21, v35, 0
	s_waitcnt vmcnt(1)
	v_dot4_i32_i8 v32, v22, v37, v32
	v_dot4_i32_i8 v32, v23, v36, v32
	s_waitcnt vmcnt(0)
	v_cvt_f32_f16_e32 v31, v39
	v_dot4_i32_i8 v32, v24, v38, v32
	v_cvt_f32_i32_e32 v32, v32
	v_mul_f32_e32 v33, v25, v31
	v_mul_f32_e32 v31, v30, v31
	v_fmac_f32_e32 v11, v33, v32
	v_dot4_i32_i8 v32, v26, v35, 0
	v_dot4_i32_i8 v32, v27, v37, v32
	v_dot4_i32_i8 v32, v28, v36, v32
	v_dot4_i32_i8 v32, v29, v38, v32
	v_cvt_f32_i32_e32 v32, v32
	v_fmac_f32_e32 v10, v31, v32
	v_add_u32_e32 v31, s15, v14
	v_mad_u64_u32 v[31:32], s[26:27], v31, 36, s[22:23]
	v_add_co_u32_e32 v33, vcc, v31, v17
	v_addc_co_u32_e32 v34, vcc, 0, v32, vcc
	global_load_dwordx2 v[35:36], v[33:34], off offset:4
	global_load_dwordx2 v[37:38], v[33:34], off offset:20
	global_load_dword v39, v[31:32], off
	s_waitcnt vmcnt(2)
	v_dot4_i32_i8 v32, v21, v35, 0
	s_waitcnt vmcnt(1)
	v_dot4_i32_i8 v32, v22, v37, v32
	v_dot4_i32_i8 v32, v23, v36, v32
	s_waitcnt vmcnt(0)
	v_cvt_f32_f16_e32 v31, v39
	v_dot4_i32_i8 v32, v24, v38, v32
	v_cvt_f32_i32_e32 v32, v32
	v_mul_f32_e32 v33, v25, v31
	v_mul_f32_e32 v31, v30, v31
	v_fmac_f32_e32 v9, v33, v32
	v_dot4_i32_i8 v32, v26, v35, 0
	v_dot4_i32_i8 v32, v27, v37, v32
	v_dot4_i32_i8 v32, v28, v36, v32
	v_dot4_i32_i8 v32, v29, v38, v32
	v_cvt_f32_i32_e32 v32, v32
	;; [unrolled: 25-line block ×3, first 2 shown]
	v_fmac_f32_e32 v6, v31, v32
	v_add_u32_e32 v31, s17, v14
	v_mad_u64_u32 v[31:32], s[26:27], v31, 36, s[22:23]
	v_add_u32_e32 v14, 32, v14
	v_add_co_u32_e32 v33, vcc, v31, v17
	v_addc_co_u32_e32 v34, vcc, 0, v32, vcc
	global_load_dwordx2 v[35:36], v[33:34], off offset:4
	global_load_dwordx2 v[37:38], v[33:34], off offset:20
	global_load_dword v39, v[31:32], off
	v_add_co_u32_e32 v2, vcc, 0x480, v2
	v_addc_co_u32_e32 v3, vcc, 0, v3, vcc
	v_cmp_le_u32_e32 vcc, s9, v14
	s_or_b64 s[12:13], vcc, s[12:13]
	s_waitcnt vmcnt(2)
	v_dot4_i32_i8 v21, v21, v35, 0
	s_waitcnt vmcnt(1)
	v_dot4_i32_i8 v21, v22, v37, v21
	v_dot4_i32_i8 v21, v23, v36, v21
	s_waitcnt vmcnt(0)
	v_cvt_f32_f16_e32 v31, v39
	v_dot4_i32_i8 v21, v24, v38, v21
	v_cvt_f32_i32_e32 v21, v21
	v_mul_f32_e32 v22, v25, v31
	v_fmac_f32_e32 v5, v22, v21
	v_dot4_i32_i8 v21, v26, v35, 0
	v_dot4_i32_i8 v21, v27, v37, v21
	;; [unrolled: 1-line block ×4, first 2 shown]
	v_cvt_f32_i32_e32 v21, v21
	v_mul_f32_e32 v22, v30, v31
	v_fmac_f32_e32 v4, v22, v21
	s_andn2_b64 exec, exec, s[12:13]
	s_cbranch_execnz .LBB80_2
; %bb.3:
	s_or_b64 exec, exec, s[12:13]
.LBB80_4:
	s_or_b64 exec, exec, s[10:11]
	s_mov_b32 s1, 0
	v_cmp_eq_u32_e32 vcc, 0, v1
	; wave barrier
	s_and_saveexec_b64 s[10:11], vcc
	s_cbranch_execz .LBB80_15
; %bb.5:
	v_mbcnt_lo_u32_b32 v1, -1, 0
	v_mbcnt_hi_u32_b32 v15, -1, v1
	v_and_b32_e32 v1, 64, v15
	v_add_u32_e32 v16, 64, v1
	v_xor_b32_e32 v1, 32, v15
	v_cmp_lt_i32_e32 vcc, v1, v16
	v_cndmask_b32_e32 v1, v15, v1, vcc
	v_lshlrev_b32_e32 v1, 2, v1
	ds_bpermute_b32 v17, v1, v13
	ds_bpermute_b32 v18, v1, v12
	v_xor_b32_e32 v2, 16, v15
	v_cmp_lt_i32_e32 vcc, v2, v16
	v_cndmask_b32_e32 v2, v15, v2, vcc
	v_lshlrev_b32_e32 v2, 2, v2
	s_waitcnt lgkmcnt(1)
	v_add_f32_e32 v13, v13, v17
	s_waitcnt lgkmcnt(0)
	v_add_f32_e32 v12, v12, v18
	ds_bpermute_b32 v17, v2, v13
	ds_bpermute_b32 v18, v2, v12
	v_xor_b32_e32 v3, 8, v15
	v_cmp_lt_i32_e32 vcc, v3, v16
	v_cndmask_b32_e32 v3, v15, v3, vcc
	v_lshlrev_b32_e32 v3, 2, v3
	s_waitcnt lgkmcnt(1)
	v_add_f32_e32 v13, v13, v17
	s_waitcnt lgkmcnt(0)
	v_add_f32_e32 v18, v12, v18
	;; [unrolled: 10-line block ×3, first 2 shown]
	ds_bpermute_b32 v17, v14, v13
	ds_bpermute_b32 v20, v14, v18
	v_xor_b32_e32 v19, 2, v15
	v_cmp_lt_i32_e32 vcc, v19, v16
	v_cndmask_b32_e32 v19, v15, v19, vcc
	v_lshlrev_b32_e32 v12, 2, v19
	v_xor_b32_e32 v19, 1, v15
	v_cmp_lt_i32_e32 vcc, v19, v16
	s_waitcnt lgkmcnt(1)
	v_add_f32_e32 v13, v13, v17
	s_waitcnt lgkmcnt(0)
	v_add_f32_e32 v18, v18, v20
	v_cndmask_b32_e32 v15, v15, v19, vcc
	ds_bpermute_b32 v17, v12, v13
	ds_bpermute_b32 v19, v12, v18
	s_load_dwordx2 s[4:5], s[4:5], 0x38
	s_mul_i32 s3, s14, s7
	v_lshlrev_b32_e32 v16, 2, v15
	s_waitcnt lgkmcnt(0)
	v_add_f32_e32 v13, v13, v17
	v_add_f32_e32 v17, v18, v19
	s_mul_i32 s0, s18, s8
	s_add_i32 s3, s3, s6
	ds_bpermute_b32 v15, v16, v13
	ds_bpermute_b32 v18, v16, v17
	s_add_i32 s0, s3, s0
	s_lshl_b64 s[0:1], s[0:1], 2
	s_add_u32 s4, s4, s0
	v_add_u32_e32 v19, s6, v0
	s_addc_u32 s5, s5, s1
	v_cmp_gt_u32_e32 vcc, 2, v0
	v_cmp_gt_u32_e64 s[0:1], s2, v19
	s_and_b64 s[0:1], vcc, s[0:1]
	s_waitcnt lgkmcnt(1)
	v_add_f32_e32 v13, v13, v15
	s_waitcnt lgkmcnt(0)
	v_add_f32_e32 v15, v17, v18
	s_and_saveexec_b64 s[6:7], s[0:1]
	s_cbranch_execz .LBB80_7
; %bb.6:
	v_cmp_eq_u32_e32 vcc, 1, v0
	v_cndmask_b32_e32 v17, v13, v15, vcc
	v_cmp_eq_u32_e32 vcc, 2, v0
	v_cndmask_b32_e32 v17, v17, v11, vcc
	;; [unrolled: 2-line block ×9, first 2 shown]
	v_lshlrev_b32_e32 v18, 2, v0
	global_store_dword v18, v17, s[4:5]
.LBB80_7:
	s_or_b64 exec, exec, s[6:7]
	ds_bpermute_b32 v17, v1, v11
	ds_bpermute_b32 v18, v1, v10
	s_waitcnt lgkmcnt(1)
	v_add_f32_e32 v11, v11, v17
	s_waitcnt lgkmcnt(0)
	v_add_f32_e32 v10, v10, v18
	ds_bpermute_b32 v17, v2, v11
	ds_bpermute_b32 v18, v2, v10
	s_waitcnt lgkmcnt(1)
	v_add_f32_e32 v11, v11, v17
	s_waitcnt lgkmcnt(0)
	v_add_f32_e32 v10, v10, v18
	;; [unrolled: 6-line block ×6, first 2 shown]
	s_and_saveexec_b64 s[6:7], s[0:1]
	s_cbranch_execz .LBB80_9
; %bb.8:
	v_add_u32_e32 v17, 2, v0
	v_cmp_eq_u32_e32 vcc, 1, v17
	v_cndmask_b32_e32 v18, v13, v15, vcc
	v_cmp_eq_u32_e32 vcc, 2, v17
	v_cndmask_b32_e32 v18, v18, v11, vcc
	;; [unrolled: 2-line block ×9, first 2 shown]
	v_add_u32_e32 v17, s2, v0
	v_mov_b32_e32 v18, 0
	v_lshlrev_b64 v[17:18], 2, v[17:18]
	v_mov_b32_e32 v20, s5
	v_add_co_u32_e32 v17, vcc, s4, v17
	v_addc_co_u32_e32 v18, vcc, v20, v18, vcc
	global_store_dword v[17:18], v19, off
.LBB80_9:
	s_or_b64 exec, exec, s[6:7]
	ds_bpermute_b32 v17, v1, v9
	ds_bpermute_b32 v18, v1, v8
	s_waitcnt lgkmcnt(1)
	v_add_f32_e32 v9, v9, v17
	s_waitcnt lgkmcnt(0)
	v_add_f32_e32 v8, v8, v18
	ds_bpermute_b32 v17, v2, v9
	ds_bpermute_b32 v18, v2, v8
	s_waitcnt lgkmcnt(1)
	v_add_f32_e32 v9, v9, v17
	s_waitcnt lgkmcnt(0)
	v_add_f32_e32 v8, v8, v18
	;; [unrolled: 6-line block ×6, first 2 shown]
	s_and_saveexec_b64 s[6:7], s[0:1]
	s_cbranch_execz .LBB80_11
; %bb.10:
	v_add_u32_e32 v17, 4, v0
	v_cmp_eq_u32_e32 vcc, 1, v17
	v_cndmask_b32_e32 v18, v13, v15, vcc
	v_cmp_eq_u32_e32 vcc, 2, v17
	v_cndmask_b32_e32 v18, v18, v11, vcc
	;; [unrolled: 2-line block ×9, first 2 shown]
	v_lshl_or_b32 v17, s2, 1, v0
	v_mov_b32_e32 v18, 0
	v_lshlrev_b64 v[17:18], 2, v[17:18]
	v_mov_b32_e32 v20, s5
	v_add_co_u32_e32 v17, vcc, s4, v17
	v_addc_co_u32_e32 v18, vcc, v20, v18, vcc
	global_store_dword v[17:18], v19, off
.LBB80_11:
	s_or_b64 exec, exec, s[6:7]
	ds_bpermute_b32 v17, v1, v7
	ds_bpermute_b32 v18, v1, v6
	s_waitcnt lgkmcnt(1)
	v_add_f32_e32 v7, v7, v17
	s_waitcnt lgkmcnt(0)
	v_add_f32_e32 v6, v6, v18
	ds_bpermute_b32 v17, v2, v7
	ds_bpermute_b32 v18, v2, v6
	s_waitcnt lgkmcnt(1)
	v_add_f32_e32 v7, v7, v17
	s_waitcnt lgkmcnt(0)
	v_add_f32_e32 v6, v6, v18
	;; [unrolled: 6-line block ×6, first 2 shown]
	s_and_saveexec_b64 s[6:7], s[0:1]
	s_cbranch_execz .LBB80_13
; %bb.12:
	v_add_u32_e32 v19, 6, v0
	v_cmp_eq_u32_e32 vcc, 1, v19
	v_cndmask_b32_e32 v17, v13, v15, vcc
	v_cmp_eq_u32_e32 vcc, 2, v19
	v_cndmask_b32_e32 v17, v17, v11, vcc
	v_cmp_eq_u32_e32 vcc, 3, v19
	v_cndmask_b32_e32 v17, v17, v10, vcc
	v_cmp_eq_u32_e32 vcc, 4, v19
	v_cndmask_b32_e32 v17, v17, v9, vcc
	v_cmp_eq_u32_e32 vcc, 5, v19
	v_cndmask_b32_e32 v17, v17, v8, vcc
	v_cmp_eq_u32_e32 vcc, 6, v19
	v_cndmask_b32_e32 v17, v17, v7, vcc
	v_cmp_eq_u32_e32 vcc, 7, v19
	v_cndmask_b32_e32 v17, v17, v6, vcc
	v_cmp_eq_u32_e32 vcc, 8, v19
	v_cndmask_b32_e32 v20, v17, v5, vcc
	v_mad_u64_u32 v[17:18], s[8:9], s2, 3, v[0:1]
	v_mov_b32_e32 v18, 0
	v_cmp_eq_u32_e32 vcc, 9, v19
	v_lshlrev_b64 v[17:18], 2, v[17:18]
	v_cndmask_b32_e32 v19, v20, v4, vcc
	v_mov_b32_e32 v20, s5
	v_add_co_u32_e32 v17, vcc, s4, v17
	v_addc_co_u32_e32 v18, vcc, v20, v18, vcc
	global_store_dword v[17:18], v19, off
.LBB80_13:
	s_or_b64 exec, exec, s[6:7]
	ds_bpermute_b32 v17, v1, v5
	ds_bpermute_b32 v1, v1, v4
	s_waitcnt lgkmcnt(1)
	v_add_f32_e32 v5, v5, v17
	s_waitcnt lgkmcnt(0)
	v_add_f32_e32 v1, v4, v1
	ds_bpermute_b32 v4, v2, v5
	ds_bpermute_b32 v2, v2, v1
	s_waitcnt lgkmcnt(1)
	v_add_f32_e32 v4, v5, v4
	s_waitcnt lgkmcnt(0)
	v_add_f32_e32 v1, v1, v2
	;; [unrolled: 6-line block ×5, first 2 shown]
	ds_bpermute_b32 v3, v16, v1
	ds_bpermute_b32 v4, v16, v2
	s_and_b64 exec, exec, s[0:1]
	s_cbranch_execz .LBB80_15
; %bb.14:
	s_waitcnt lgkmcnt(1)
	v_add_f32_e32 v1, v1, v3
	v_add_u32_e32 v3, 8, v0
	v_cmp_eq_u32_e32 vcc, 1, v3
	s_waitcnt lgkmcnt(0)
	v_add_f32_e32 v2, v2, v4
	v_cndmask_b32_e32 v4, v13, v15, vcc
	v_cmp_eq_u32_e32 vcc, 2, v3
	v_cndmask_b32_e32 v4, v4, v11, vcc
	v_cmp_eq_u32_e32 vcc, 3, v3
	;; [unrolled: 2-line block ×8, first 2 shown]
	v_cndmask_b32_e32 v2, v1, v2, vcc
	v_lshl_or_b32 v0, s2, 2, v0
	v_mov_b32_e32 v1, 0
	v_lshlrev_b64 v[0:1], 2, v[0:1]
	v_mov_b32_e32 v3, s5
	v_add_co_u32_e32 v0, vcc, s4, v0
	v_addc_co_u32_e32 v1, vcc, v3, v1, vcc
	global_store_dword v[0:1], v2, off
.LBB80_15:
	s_endpgm
	.section	.rodata,"a",@progbits
	.p2align	6, 0x0
	.amdhsa_kernel _ZL13mul_mat_vec_qIL9ggml_type39ELi5ELb0ELb0EEvPKvS2_PKi31ggml_cuda_mm_fusion_args_devicePfj15HIP_vector_typeIjLj3EEjjjS8_jjjS8_jjjj
		.amdhsa_group_segment_fixed_size 0
		.amdhsa_private_segment_fixed_size 0
		.amdhsa_kernarg_size 144
		.amdhsa_user_sgpr_count 6
		.amdhsa_user_sgpr_private_segment_buffer 1
		.amdhsa_user_sgpr_dispatch_ptr 0
		.amdhsa_user_sgpr_queue_ptr 0
		.amdhsa_user_sgpr_kernarg_segment_ptr 1
		.amdhsa_user_sgpr_dispatch_id 0
		.amdhsa_user_sgpr_flat_scratch_init 0
		.amdhsa_user_sgpr_private_segment_size 0
		.amdhsa_uses_dynamic_stack 0
		.amdhsa_system_sgpr_private_segment_wavefront_offset 0
		.amdhsa_system_sgpr_workgroup_id_x 1
		.amdhsa_system_sgpr_workgroup_id_y 1
		.amdhsa_system_sgpr_workgroup_id_z 1
		.amdhsa_system_sgpr_workgroup_info 0
		.amdhsa_system_vgpr_workitem_id 1
		.amdhsa_next_free_vgpr 40
		.amdhsa_next_free_sgpr 28
		.amdhsa_reserve_vcc 1
		.amdhsa_reserve_flat_scratch 0
		.amdhsa_float_round_mode_32 0
		.amdhsa_float_round_mode_16_64 0
		.amdhsa_float_denorm_mode_32 3
		.amdhsa_float_denorm_mode_16_64 3
		.amdhsa_dx10_clamp 1
		.amdhsa_ieee_mode 1
		.amdhsa_fp16_overflow 0
		.amdhsa_exception_fp_ieee_invalid_op 0
		.amdhsa_exception_fp_denorm_src 0
		.amdhsa_exception_fp_ieee_div_zero 0
		.amdhsa_exception_fp_ieee_overflow 0
		.amdhsa_exception_fp_ieee_underflow 0
		.amdhsa_exception_fp_ieee_inexact 0
		.amdhsa_exception_int_div_zero 0
	.end_amdhsa_kernel
	.section	.text._ZL13mul_mat_vec_qIL9ggml_type39ELi5ELb0ELb0EEvPKvS2_PKi31ggml_cuda_mm_fusion_args_devicePfj15HIP_vector_typeIjLj3EEjjjS8_jjjS8_jjjj,"axG",@progbits,_ZL13mul_mat_vec_qIL9ggml_type39ELi5ELb0ELb0EEvPKvS2_PKi31ggml_cuda_mm_fusion_args_devicePfj15HIP_vector_typeIjLj3EEjjjS8_jjjS8_jjjj,comdat
.Lfunc_end80:
	.size	_ZL13mul_mat_vec_qIL9ggml_type39ELi5ELb0ELb0EEvPKvS2_PKi31ggml_cuda_mm_fusion_args_devicePfj15HIP_vector_typeIjLj3EEjjjS8_jjjS8_jjjj, .Lfunc_end80-_ZL13mul_mat_vec_qIL9ggml_type39ELi5ELb0ELb0EEvPKvS2_PKi31ggml_cuda_mm_fusion_args_devicePfj15HIP_vector_typeIjLj3EEjjjS8_jjjS8_jjjj
                                        ; -- End function
	.set _ZL13mul_mat_vec_qIL9ggml_type39ELi5ELb0ELb0EEvPKvS2_PKi31ggml_cuda_mm_fusion_args_devicePfj15HIP_vector_typeIjLj3EEjjjS8_jjjS8_jjjj.num_vgpr, 40
	.set _ZL13mul_mat_vec_qIL9ggml_type39ELi5ELb0ELb0EEvPKvS2_PKi31ggml_cuda_mm_fusion_args_devicePfj15HIP_vector_typeIjLj3EEjjjS8_jjjS8_jjjj.num_agpr, 0
	.set _ZL13mul_mat_vec_qIL9ggml_type39ELi5ELb0ELb0EEvPKvS2_PKi31ggml_cuda_mm_fusion_args_devicePfj15HIP_vector_typeIjLj3EEjjjS8_jjjS8_jjjj.numbered_sgpr, 28
	.set _ZL13mul_mat_vec_qIL9ggml_type39ELi5ELb0ELb0EEvPKvS2_PKi31ggml_cuda_mm_fusion_args_devicePfj15HIP_vector_typeIjLj3EEjjjS8_jjjS8_jjjj.num_named_barrier, 0
	.set _ZL13mul_mat_vec_qIL9ggml_type39ELi5ELb0ELb0EEvPKvS2_PKi31ggml_cuda_mm_fusion_args_devicePfj15HIP_vector_typeIjLj3EEjjjS8_jjjS8_jjjj.private_seg_size, 0
	.set _ZL13mul_mat_vec_qIL9ggml_type39ELi5ELb0ELb0EEvPKvS2_PKi31ggml_cuda_mm_fusion_args_devicePfj15HIP_vector_typeIjLj3EEjjjS8_jjjS8_jjjj.uses_vcc, 1
	.set _ZL13mul_mat_vec_qIL9ggml_type39ELi5ELb0ELb0EEvPKvS2_PKi31ggml_cuda_mm_fusion_args_devicePfj15HIP_vector_typeIjLj3EEjjjS8_jjjS8_jjjj.uses_flat_scratch, 0
	.set _ZL13mul_mat_vec_qIL9ggml_type39ELi5ELb0ELb0EEvPKvS2_PKi31ggml_cuda_mm_fusion_args_devicePfj15HIP_vector_typeIjLj3EEjjjS8_jjjS8_jjjj.has_dyn_sized_stack, 0
	.set _ZL13mul_mat_vec_qIL9ggml_type39ELi5ELb0ELb0EEvPKvS2_PKi31ggml_cuda_mm_fusion_args_devicePfj15HIP_vector_typeIjLj3EEjjjS8_jjjS8_jjjj.has_recursion, 0
	.set _ZL13mul_mat_vec_qIL9ggml_type39ELi5ELb0ELb0EEvPKvS2_PKi31ggml_cuda_mm_fusion_args_devicePfj15HIP_vector_typeIjLj3EEjjjS8_jjjS8_jjjj.has_indirect_call, 0
	.section	.AMDGPU.csdata,"",@progbits
; Kernel info:
; codeLenInByte = 3428
; TotalNumSgprs: 32
; NumVgprs: 40
; ScratchSize: 0
; MemoryBound: 0
; FloatMode: 240
; IeeeMode: 1
; LDSByteSize: 0 bytes/workgroup (compile time only)
; SGPRBlocks: 3
; VGPRBlocks: 9
; NumSGPRsForWavesPerEU: 32
; NumVGPRsForWavesPerEU: 40
; Occupancy: 6
; WaveLimiterHint : 0
; COMPUTE_PGM_RSRC2:SCRATCH_EN: 0
; COMPUTE_PGM_RSRC2:USER_SGPR: 6
; COMPUTE_PGM_RSRC2:TRAP_HANDLER: 0
; COMPUTE_PGM_RSRC2:TGID_X_EN: 1
; COMPUTE_PGM_RSRC2:TGID_Y_EN: 1
; COMPUTE_PGM_RSRC2:TGID_Z_EN: 1
; COMPUTE_PGM_RSRC2:TIDIG_COMP_CNT: 1
	.section	.text._ZL13mul_mat_vec_qIL9ggml_type39ELi6ELb0ELb0EEvPKvS2_PKi31ggml_cuda_mm_fusion_args_devicePfj15HIP_vector_typeIjLj3EEjjjS8_jjjS8_jjjj,"axG",@progbits,_ZL13mul_mat_vec_qIL9ggml_type39ELi6ELb0ELb0EEvPKvS2_PKi31ggml_cuda_mm_fusion_args_devicePfj15HIP_vector_typeIjLj3EEjjjS8_jjjS8_jjjj,comdat
	.globl	_ZL13mul_mat_vec_qIL9ggml_type39ELi6ELb0ELb0EEvPKvS2_PKi31ggml_cuda_mm_fusion_args_devicePfj15HIP_vector_typeIjLj3EEjjjS8_jjjS8_jjjj ; -- Begin function _ZL13mul_mat_vec_qIL9ggml_type39ELi6ELb0ELb0EEvPKvS2_PKi31ggml_cuda_mm_fusion_args_devicePfj15HIP_vector_typeIjLj3EEjjjS8_jjjS8_jjjj
	.p2align	8
	.type	_ZL13mul_mat_vec_qIL9ggml_type39ELi6ELb0ELb0EEvPKvS2_PKi31ggml_cuda_mm_fusion_args_devicePfj15HIP_vector_typeIjLj3EEjjjS8_jjjS8_jjjj,@function
_ZL13mul_mat_vec_qIL9ggml_type39ELi6ELb0ELb0EEvPKvS2_PKi31ggml_cuda_mm_fusion_args_devicePfj15HIP_vector_typeIjLj3EEjjjS8_jjjS8_jjjj: ; @_ZL13mul_mat_vec_qIL9ggml_type39ELi6ELb0ELb0EEvPKvS2_PKi31ggml_cuda_mm_fusion_args_devicePfj15HIP_vector_typeIjLj3EEjjjS8_jjjS8_jjjj
; %bb.0:
	s_load_dword s9, s[4:5], 0x40
	s_load_dwordx4 s[0:3], s[4:5], 0x50
	s_load_dword s25, s[4:5], 0x60
	s_load_dwordx4 s[12:15], s[4:5], 0x68
	;; [unrolled: 2-line block ×3, first 2 shown]
	v_lshl_or_b32 v2, v1, 6, v0
	s_waitcnt lgkmcnt(0)
	s_lshr_b32 s9, s9, 5
	v_lshrrev_b16_e32 v16, 1, v2
	v_mov_b32_e32 v4, 0
	s_lshl_b32 s6, s6, 1
	v_cmp_gt_u32_e32 vcc, s9, v16
	v_mov_b32_e32 v5, v4
	v_mov_b32_e32 v6, v4
	;; [unrolled: 1-line block ×11, first 2 shown]
	s_and_saveexec_b64 s[10:11], vcc
	s_cbranch_execz .LBB81_4
; %bb.1:
	s_load_dwordx4 s[20:23], s[4:5], 0x0
	s_mul_i32 s17, s17, s8
	s_mul_hi_u32 s19, s17, 36
	s_mul_i32 s17, s17, 36
	s_mul_i32 s13, s13, s7
	s_waitcnt lgkmcnt(0)
	s_add_u32 s17, s22, s17
	s_addc_u32 s19, s23, s19
	s_mul_hi_u32 s23, s13, 36
	s_mul_i32 s13, s13, 36
	s_add_u32 s22, s17, s13
	s_mul_hi_u32 s3, s3, s7
	s_addc_u32 s23, s19, s23
	s_add_i32 s3, s7, s3
	s_lshr_b32 s3, s3, s25
	s_mul_i32 s3, s3, s12
	s_mul_hi_u32 s12, s15, s8
	s_add_i32 s12, s8, s12
	s_lshr_b32 s12, s12, s24
	s_mul_i32 s12, s12, s16
	v_lshlrev_b32_e32 v3, 1, v0
	s_add_i32 s13, s6, 1
	v_and_b32_e32 v5, 2, v3
	s_add_i32 s12, s12, s3
	s_mul_i32 s3, s6, s0
	s_mul_i32 s0, s0, s13
	v_and_b32_e32 v3, 1, v0
	v_lshrrev_b32_e32 v2, 1, v2
	s_add_i32 s3, s12, s3
	s_add_i32 s0, s12, s0
	v_lshlrev_b32_e32 v18, 3, v3
	v_mad_u64_u32 v[2:3], s[12:13], v2, 36, s[22:23]
	v_mov_b32_e32 v4, 0
	v_lshlrev_b32_e32 v17, 2, v5
	s_lshl_b32 s15, s1, 1
	s_mul_i32 s16, s1, 3
	s_lshl_b32 s17, s1, 2
	s_mul_i32 s19, s1, 5
	s_mov_b64 s[12:13], 0
	s_mov_b32 s24, 0xc080604
	s_mov_b32 s25, 0xf4f8fafc
	v_lshlrev_b32_e32 v19, 2, v5
	v_mov_b32_e32 v20, 0x3020100
	v_mov_b32_e32 v21, 0xfdfeff00
	;; [unrolled: 1-line block ×14, first 2 shown]
.LBB81_2:                               ; =>This Inner Loop Header: Depth=1
	v_add_u32_e32 v25, s3, v16
	v_mad_i64_i32 v[27:28], s[26:27], v25, 17, s[20:21]
	v_add_co_u32_e32 v23, vcc, v2, v18
	v_addc_co_u32_e32 v24, vcc, 0, v3, vcc
	global_load_dwordx2 v[31:32], v[23:24], off offset:4
	global_load_dwordx2 v[33:34], v[23:24], off offset:20
	global_load_dword v26, v[2:3], off
	v_add_co_u32_e32 v23, vcc, v27, v17
	v_addc_co_u32_e32 v24, vcc, 0, v28, vcc
	global_load_dwordx2 v[24:25], v[23:24], off offset:1
	s_waitcnt vmcnt(1)
	v_cvt_f32_f16_e32 v37, v26
	global_load_ubyte v27, v[27:28], off
	s_waitcnt vmcnt(1)
	v_ashrrev_i32_e32 v26, 4, v24
	v_and_b32_e32 v23, 0x7070707, v24
	v_lshrrev_b32_e32 v24, 1, v24
	v_and_b32_e32 v24, 0x4040404, v24
	v_perm_b32 v29, s24, v20, v23
	v_perm_b32 v23, s25, v21, v23
	v_or_b32_e32 v24, 0x3020100, v24
	v_perm_b32 v23, v23, v29, v24
	v_lshrrev_b32_e32 v24, 1, v26
	v_and_b32_e32 v30, 0x7070707, v26
	v_and_b32_e32 v24, 0x4040404, v24
	v_perm_b32 v35, s24, v20, v30
	v_perm_b32 v30, s25, v21, v30
	v_or_b32_e32 v24, 0x3020100, v24
	v_perm_b32 v24, v30, v35, v24
	v_dot4_i32_i8 v26, v23, v31, 0
	v_dot4_i32_i8 v29, v24, v33, v26
	v_ashrrev_i32_e32 v26, 4, v25
	v_and_b32_e32 v30, 0x7070707, v25
	v_lshrrev_b32_e32 v25, 1, v25
	v_and_b32_e32 v36, 0x7070707, v26
	v_and_b32_e32 v25, 0x4040404, v25
	v_lshrrev_b32_e32 v26, 1, v26
	v_perm_b32 v35, s24, v20, v30
	v_perm_b32 v30, s25, v21, v30
	v_or_b32_e32 v25, 0x3020100, v25
	v_and_b32_e32 v26, 0x4040404, v26
	v_perm_b32 v38, s24, v20, v36
	v_perm_b32 v36, s25, v21, v36
	;; [unrolled: 1-line block ×3, first 2 shown]
	v_or_b32_e32 v26, 0x3020100, v26
	v_perm_b32 v26, v36, v38, v26
	v_dot4_i32_i8 v29, v25, v32, v29
	v_dot4_i32_i8 v29, v26, v34, v29
	v_cvt_f32_i32_e32 v29, v29
	s_waitcnt vmcnt(0)
	v_cmp_ne_u32_e32 vcc, 0, v27
	v_lshlrev_b32_e32 v27, 23, v27
	v_mul_f32_e32 v27, 0.5, v27
	v_cndmask_b32_e32 v27, v22, v27, vcc
	v_mul_f32_e32 v28, v27, v37
	v_fmac_f32_e32 v15, v28, v29
	v_add_u32_e32 v28, s0, v16
	v_mad_i64_i32 v[35:36], s[26:27], v28, 17, s[20:21]
	v_add_co_u32_e32 v28, vcc, v35, v17
	v_addc_co_u32_e32 v29, vcc, 0, v36, vcc
	global_load_dwordx2 v[29:30], v[28:29], off offset:1
	s_waitcnt vmcnt(0)
	v_ashrrev_i32_e32 v38, 4, v29
	v_and_b32_e32 v28, 0x7070707, v29
	v_lshrrev_b32_e32 v29, 1, v29
	v_and_b32_e32 v29, 0x4040404, v29
	v_perm_b32 v39, s24, v20, v28
	v_perm_b32 v28, s25, v21, v28
	v_or_b32_e32 v29, 0x3020100, v29
	v_perm_b32 v28, v28, v39, v29
	v_lshrrev_b32_e32 v29, 1, v38
	v_and_b32_e32 v40, 0x7070707, v38
	v_and_b32_e32 v29, 0x4040404, v29
	v_perm_b32 v41, s24, v20, v40
	v_perm_b32 v40, s25, v21, v40
	v_or_b32_e32 v29, 0x3020100, v29
	v_perm_b32 v29, v40, v41, v29
	v_dot4_i32_i8 v31, v28, v31, 0
	v_dot4_i32_i8 v33, v29, v33, v31
	v_ashrrev_i32_e32 v31, 4, v30
	v_and_b32_e32 v38, 0x7070707, v30
	v_lshrrev_b32_e32 v30, 1, v30
	v_and_b32_e32 v40, 0x7070707, v31
	v_and_b32_e32 v30, 0x4040404, v30
	v_lshrrev_b32_e32 v31, 1, v31
	v_perm_b32 v39, s24, v20, v38
	v_perm_b32 v38, s25, v21, v38
	v_or_b32_e32 v30, 0x3020100, v30
	v_and_b32_e32 v31, 0x4040404, v31
	v_perm_b32 v41, s24, v20, v40
	v_perm_b32 v40, s25, v21, v40
	;; [unrolled: 1-line block ×3, first 2 shown]
	v_or_b32_e32 v31, 0x3020100, v31
	v_perm_b32 v31, v40, v41, v31
	v_dot4_i32_i8 v32, v30, v32, v33
	v_dot4_i32_i8 v33, v31, v34, v32
	global_load_ubyte v32, v[35:36], off
	v_cvt_f32_i32_e32 v33, v33
	s_waitcnt vmcnt(0)
	v_cmp_ne_u32_e32 vcc, 0, v32
	v_lshlrev_b32_e32 v32, 23, v32
	v_mul_f32_e32 v32, 0.5, v32
	v_cndmask_b32_e32 v32, v22, v32, vcc
	v_mul_f32_e32 v34, v32, v37
	v_fmac_f32_e32 v14, v34, v33
	v_add_u32_e32 v33, s1, v16
	v_mad_u64_u32 v[33:34], s[26:27], v33, 36, s[22:23]
	v_add_co_u32_e32 v35, vcc, v33, v19
	v_addc_co_u32_e32 v36, vcc, 0, v34, vcc
	global_load_dwordx2 v[37:38], v[35:36], off offset:4
	global_load_dwordx2 v[39:40], v[35:36], off offset:20
	global_load_dword v41, v[33:34], off
	s_waitcnt vmcnt(2)
	v_dot4_i32_i8 v34, v23, v37, 0
	s_waitcnt vmcnt(1)
	v_dot4_i32_i8 v34, v24, v39, v34
	v_dot4_i32_i8 v34, v25, v38, v34
	s_waitcnt vmcnt(0)
	v_cvt_f32_f16_e32 v33, v41
	v_dot4_i32_i8 v34, v26, v40, v34
	v_cvt_f32_i32_e32 v34, v34
	v_mul_f32_e32 v35, v27, v33
	v_mul_f32_e32 v33, v32, v33
	v_fmac_f32_e32 v13, v35, v34
	v_dot4_i32_i8 v34, v28, v37, 0
	v_dot4_i32_i8 v34, v29, v39, v34
	v_dot4_i32_i8 v34, v30, v38, v34
	v_dot4_i32_i8 v34, v31, v40, v34
	v_cvt_f32_i32_e32 v34, v34
	v_fmac_f32_e32 v12, v33, v34
	v_add_u32_e32 v33, s15, v16
	v_mad_u64_u32 v[33:34], s[26:27], v33, 36, s[22:23]
	v_add_co_u32_e32 v35, vcc, v33, v19
	v_addc_co_u32_e32 v36, vcc, 0, v34, vcc
	global_load_dwordx2 v[37:38], v[35:36], off offset:4
	global_load_dwordx2 v[39:40], v[35:36], off offset:20
	global_load_dword v41, v[33:34], off
	s_waitcnt vmcnt(2)
	v_dot4_i32_i8 v34, v23, v37, 0
	s_waitcnt vmcnt(1)
	v_dot4_i32_i8 v34, v24, v39, v34
	v_dot4_i32_i8 v34, v25, v38, v34
	s_waitcnt vmcnt(0)
	v_cvt_f32_f16_e32 v33, v41
	v_dot4_i32_i8 v34, v26, v40, v34
	v_cvt_f32_i32_e32 v34, v34
	v_mul_f32_e32 v35, v27, v33
	v_mul_f32_e32 v33, v32, v33
	v_fmac_f32_e32 v11, v35, v34
	v_dot4_i32_i8 v34, v28, v37, 0
	v_dot4_i32_i8 v34, v29, v39, v34
	v_dot4_i32_i8 v34, v30, v38, v34
	v_dot4_i32_i8 v34, v31, v40, v34
	v_cvt_f32_i32_e32 v34, v34
	;; [unrolled: 25-line block ×4, first 2 shown]
	v_fmac_f32_e32 v6, v33, v34
	v_add_u32_e32 v33, s19, v16
	v_mad_u64_u32 v[33:34], s[26:27], v33, 36, s[22:23]
	v_add_u32_e32 v16, 32, v16
	v_add_co_u32_e32 v35, vcc, v33, v19
	v_addc_co_u32_e32 v36, vcc, 0, v34, vcc
	global_load_dwordx2 v[37:38], v[35:36], off offset:4
	global_load_dwordx2 v[39:40], v[35:36], off offset:20
	global_load_dword v41, v[33:34], off
	v_add_co_u32_e32 v2, vcc, 0x480, v2
	v_addc_co_u32_e32 v3, vcc, 0, v3, vcc
	v_cmp_le_u32_e32 vcc, s9, v16
	s_or_b64 s[12:13], vcc, s[12:13]
	s_waitcnt vmcnt(2)
	v_dot4_i32_i8 v23, v23, v37, 0
	s_waitcnt vmcnt(1)
	v_dot4_i32_i8 v23, v24, v39, v23
	v_dot4_i32_i8 v23, v25, v38, v23
	s_waitcnt vmcnt(0)
	v_cvt_f32_f16_e32 v33, v41
	v_dot4_i32_i8 v23, v26, v40, v23
	v_cvt_f32_i32_e32 v23, v23
	v_mul_f32_e32 v24, v27, v33
	v_fmac_f32_e32 v5, v24, v23
	v_dot4_i32_i8 v23, v28, v37, 0
	v_dot4_i32_i8 v23, v29, v39, v23
	;; [unrolled: 1-line block ×4, first 2 shown]
	v_cvt_f32_i32_e32 v23, v23
	v_mul_f32_e32 v24, v32, v33
	v_fmac_f32_e32 v4, v24, v23
	s_andn2_b64 exec, exec, s[12:13]
	s_cbranch_execnz .LBB81_2
; %bb.3:
	s_or_b64 exec, exec, s[12:13]
.LBB81_4:
	s_or_b64 exec, exec, s[10:11]
	s_mov_b32 s1, 0
	v_cmp_eq_u32_e32 vcc, 0, v1
	; wave barrier
	s_and_saveexec_b64 s[10:11], vcc
	s_cbranch_execz .LBB81_17
; %bb.5:
	v_mbcnt_lo_u32_b32 v1, -1, 0
	v_mbcnt_hi_u32_b32 v17, -1, v1
	v_and_b32_e32 v1, 64, v17
	v_add_u32_e32 v18, 64, v1
	v_xor_b32_e32 v1, 32, v17
	v_cmp_lt_i32_e32 vcc, v1, v18
	v_cndmask_b32_e32 v1, v17, v1, vcc
	v_lshlrev_b32_e32 v1, 2, v1
	ds_bpermute_b32 v19, v1, v15
	ds_bpermute_b32 v20, v1, v14
	v_xor_b32_e32 v2, 16, v17
	v_cmp_lt_i32_e32 vcc, v2, v18
	v_cndmask_b32_e32 v2, v17, v2, vcc
	v_lshlrev_b32_e32 v2, 2, v2
	s_waitcnt lgkmcnt(1)
	v_add_f32_e32 v15, v15, v19
	s_waitcnt lgkmcnt(0)
	v_add_f32_e32 v14, v14, v20
	ds_bpermute_b32 v19, v2, v15
	ds_bpermute_b32 v20, v2, v14
	v_xor_b32_e32 v3, 8, v17
	v_cmp_lt_i32_e32 vcc, v3, v18
	v_cndmask_b32_e32 v3, v17, v3, vcc
	v_lshlrev_b32_e32 v3, 2, v3
	s_waitcnt lgkmcnt(1)
	v_add_f32_e32 v15, v15, v19
	s_waitcnt lgkmcnt(0)
	v_add_f32_e32 v20, v14, v20
	;; [unrolled: 10-line block ×3, first 2 shown]
	ds_bpermute_b32 v19, v16, v15
	ds_bpermute_b32 v22, v16, v20
	v_xor_b32_e32 v21, 2, v17
	v_cmp_lt_i32_e32 vcc, v21, v18
	v_cndmask_b32_e32 v21, v17, v21, vcc
	v_lshlrev_b32_e32 v14, 2, v21
	v_xor_b32_e32 v21, 1, v17
	v_cmp_lt_i32_e32 vcc, v21, v18
	s_waitcnt lgkmcnt(1)
	v_add_f32_e32 v15, v15, v19
	s_waitcnt lgkmcnt(0)
	v_add_f32_e32 v20, v20, v22
	v_cndmask_b32_e32 v17, v17, v21, vcc
	ds_bpermute_b32 v19, v14, v15
	ds_bpermute_b32 v21, v14, v20
	s_load_dwordx2 s[4:5], s[4:5], 0x38
	s_mul_i32 s3, s14, s7
	v_lshlrev_b32_e32 v18, 2, v17
	s_waitcnt lgkmcnt(0)
	v_add_f32_e32 v15, v15, v19
	v_add_f32_e32 v19, v20, v21
	s_mul_i32 s0, s18, s8
	s_add_i32 s3, s3, s6
	ds_bpermute_b32 v17, v18, v15
	ds_bpermute_b32 v20, v18, v19
	s_add_i32 s0, s3, s0
	s_lshl_b64 s[0:1], s[0:1], 2
	s_add_u32 s4, s4, s0
	v_add_u32_e32 v21, s6, v0
	s_addc_u32 s5, s5, s1
	v_cmp_gt_u32_e32 vcc, 2, v0
	v_cmp_gt_u32_e64 s[0:1], s2, v21
	s_and_b64 s[0:1], vcc, s[0:1]
	s_waitcnt lgkmcnt(1)
	v_add_f32_e32 v15, v15, v17
	s_waitcnt lgkmcnt(0)
	v_add_f32_e32 v17, v19, v20
	s_and_saveexec_b64 s[6:7], s[0:1]
	s_cbranch_execz .LBB81_7
; %bb.6:
	v_cmp_eq_u32_e32 vcc, 1, v0
	v_cndmask_b32_e32 v19, v15, v17, vcc
	v_cmp_eq_u32_e32 vcc, 2, v0
	v_cndmask_b32_e32 v19, v19, v13, vcc
	;; [unrolled: 2-line block ×11, first 2 shown]
	v_lshlrev_b32_e32 v20, 2, v0
	global_store_dword v20, v19, s[4:5]
.LBB81_7:
	s_or_b64 exec, exec, s[6:7]
	ds_bpermute_b32 v19, v1, v13
	ds_bpermute_b32 v20, v1, v12
	s_waitcnt lgkmcnt(1)
	v_add_f32_e32 v13, v13, v19
	s_waitcnt lgkmcnt(0)
	v_add_f32_e32 v12, v12, v20
	ds_bpermute_b32 v19, v2, v13
	ds_bpermute_b32 v20, v2, v12
	s_waitcnt lgkmcnt(1)
	v_add_f32_e32 v13, v13, v19
	s_waitcnt lgkmcnt(0)
	v_add_f32_e32 v12, v12, v20
	;; [unrolled: 6-line block ×6, first 2 shown]
	s_and_saveexec_b64 s[6:7], s[0:1]
	s_cbranch_execz .LBB81_9
; %bb.8:
	v_add_u32_e32 v19, 2, v0
	v_cmp_eq_u32_e32 vcc, 1, v19
	v_cndmask_b32_e32 v20, v15, v17, vcc
	v_cmp_eq_u32_e32 vcc, 2, v19
	v_cndmask_b32_e32 v20, v20, v13, vcc
	;; [unrolled: 2-line block ×11, first 2 shown]
	v_add_u32_e32 v19, s2, v0
	v_mov_b32_e32 v20, 0
	v_lshlrev_b64 v[19:20], 2, v[19:20]
	v_mov_b32_e32 v22, s5
	v_add_co_u32_e32 v19, vcc, s4, v19
	v_addc_co_u32_e32 v20, vcc, v22, v20, vcc
	global_store_dword v[19:20], v21, off
.LBB81_9:
	s_or_b64 exec, exec, s[6:7]
	ds_bpermute_b32 v19, v1, v11
	ds_bpermute_b32 v20, v1, v10
	s_waitcnt lgkmcnt(1)
	v_add_f32_e32 v11, v11, v19
	s_waitcnt lgkmcnt(0)
	v_add_f32_e32 v10, v10, v20
	ds_bpermute_b32 v19, v2, v11
	ds_bpermute_b32 v20, v2, v10
	s_waitcnt lgkmcnt(1)
	v_add_f32_e32 v11, v11, v19
	s_waitcnt lgkmcnt(0)
	v_add_f32_e32 v10, v10, v20
	;; [unrolled: 6-line block ×6, first 2 shown]
	s_and_saveexec_b64 s[6:7], s[0:1]
	s_cbranch_execz .LBB81_11
; %bb.10:
	v_add_u32_e32 v19, 4, v0
	v_cmp_eq_u32_e32 vcc, 1, v19
	v_cndmask_b32_e32 v20, v15, v17, vcc
	v_cmp_eq_u32_e32 vcc, 2, v19
	v_cndmask_b32_e32 v20, v20, v13, vcc
	;; [unrolled: 2-line block ×11, first 2 shown]
	v_lshl_or_b32 v19, s2, 1, v0
	v_mov_b32_e32 v20, 0
	v_lshlrev_b64 v[19:20], 2, v[19:20]
	v_mov_b32_e32 v22, s5
	v_add_co_u32_e32 v19, vcc, s4, v19
	v_addc_co_u32_e32 v20, vcc, v22, v20, vcc
	global_store_dword v[19:20], v21, off
.LBB81_11:
	s_or_b64 exec, exec, s[6:7]
	ds_bpermute_b32 v19, v1, v9
	ds_bpermute_b32 v20, v1, v8
	s_waitcnt lgkmcnt(1)
	v_add_f32_e32 v9, v9, v19
	s_waitcnt lgkmcnt(0)
	v_add_f32_e32 v8, v8, v20
	ds_bpermute_b32 v19, v2, v9
	ds_bpermute_b32 v20, v2, v8
	s_waitcnt lgkmcnt(1)
	v_add_f32_e32 v9, v9, v19
	s_waitcnt lgkmcnt(0)
	v_add_f32_e32 v8, v8, v20
	;; [unrolled: 6-line block ×6, first 2 shown]
	s_and_saveexec_b64 s[6:7], s[0:1]
	s_cbranch_execz .LBB81_13
; %bb.12:
	v_add_u32_e32 v21, 6, v0
	v_cmp_eq_u32_e32 vcc, 1, v21
	v_cndmask_b32_e32 v19, v15, v17, vcc
	v_cmp_eq_u32_e32 vcc, 2, v21
	v_cndmask_b32_e32 v19, v19, v13, vcc
	;; [unrolled: 2-line block ×10, first 2 shown]
	v_mad_u64_u32 v[19:20], s[8:9], s2, 3, v[0:1]
	v_mov_b32_e32 v20, 0
	v_cmp_eq_u32_e32 vcc, 11, v21
	v_lshlrev_b64 v[19:20], 2, v[19:20]
	v_cndmask_b32_e32 v21, v22, v4, vcc
	v_mov_b32_e32 v22, s5
	v_add_co_u32_e32 v19, vcc, s4, v19
	v_addc_co_u32_e32 v20, vcc, v22, v20, vcc
	global_store_dword v[19:20], v21, off
.LBB81_13:
	s_or_b64 exec, exec, s[6:7]
	ds_bpermute_b32 v19, v1, v7
	ds_bpermute_b32 v20, v1, v6
	s_waitcnt lgkmcnt(1)
	v_add_f32_e32 v7, v7, v19
	s_waitcnt lgkmcnt(0)
	v_add_f32_e32 v6, v6, v20
	ds_bpermute_b32 v19, v2, v7
	ds_bpermute_b32 v20, v2, v6
	s_waitcnt lgkmcnt(1)
	v_add_f32_e32 v7, v7, v19
	s_waitcnt lgkmcnt(0)
	v_add_f32_e32 v6, v6, v20
	;; [unrolled: 6-line block ×6, first 2 shown]
	s_and_saveexec_b64 s[6:7], s[0:1]
	s_cbranch_execz .LBB81_15
; %bb.14:
	v_add_u32_e32 v19, 8, v0
	v_cmp_eq_u32_e32 vcc, 1, v19
	v_cndmask_b32_e32 v20, v15, v17, vcc
	v_cmp_eq_u32_e32 vcc, 2, v19
	v_cndmask_b32_e32 v20, v20, v13, vcc
	;; [unrolled: 2-line block ×11, first 2 shown]
	v_lshl_or_b32 v19, s2, 2, v0
	v_mov_b32_e32 v20, 0
	v_lshlrev_b64 v[19:20], 2, v[19:20]
	v_mov_b32_e32 v22, s5
	v_add_co_u32_e32 v19, vcc, s4, v19
	v_addc_co_u32_e32 v20, vcc, v22, v20, vcc
	global_store_dword v[19:20], v21, off
.LBB81_15:
	s_or_b64 exec, exec, s[6:7]
	ds_bpermute_b32 v19, v1, v5
	ds_bpermute_b32 v1, v1, v4
	s_waitcnt lgkmcnt(1)
	v_add_f32_e32 v5, v5, v19
	s_waitcnt lgkmcnt(0)
	v_add_f32_e32 v1, v4, v1
	ds_bpermute_b32 v4, v2, v5
	ds_bpermute_b32 v2, v2, v1
	s_waitcnt lgkmcnt(1)
	v_add_f32_e32 v4, v5, v4
	s_waitcnt lgkmcnt(0)
	v_add_f32_e32 v1, v1, v2
	;; [unrolled: 6-line block ×5, first 2 shown]
	ds_bpermute_b32 v3, v18, v1
	ds_bpermute_b32 v4, v18, v2
	s_and_b64 exec, exec, s[0:1]
	s_cbranch_execz .LBB81_17
; %bb.16:
	s_waitcnt lgkmcnt(1)
	v_add_f32_e32 v1, v1, v3
	v_add_u32_e32 v3, 10, v0
	v_cmp_eq_u32_e32 vcc, 1, v3
	s_waitcnt lgkmcnt(0)
	v_add_f32_e32 v2, v2, v4
	v_cndmask_b32_e32 v4, v15, v17, vcc
	v_cmp_eq_u32_e32 vcc, 2, v3
	v_cndmask_b32_e32 v4, v4, v13, vcc
	v_cmp_eq_u32_e32 vcc, 3, v3
	v_cndmask_b32_e32 v4, v4, v12, vcc
	v_cmp_eq_u32_e32 vcc, 4, v3
	v_cndmask_b32_e32 v4, v4, v11, vcc
	v_cmp_eq_u32_e32 vcc, 5, v3
	v_cndmask_b32_e32 v4, v4, v10, vcc
	v_cmp_eq_u32_e32 vcc, 6, v3
	v_cndmask_b32_e32 v4, v4, v9, vcc
	v_cmp_eq_u32_e32 vcc, 7, v3
	v_cndmask_b32_e32 v4, v4, v8, vcc
	v_cmp_eq_u32_e32 vcc, 8, v3
	v_cndmask_b32_e32 v4, v4, v7, vcc
	v_cmp_eq_u32_e32 vcc, 9, v3
	v_cndmask_b32_e32 v4, v4, v6, vcc
	v_cmp_eq_u32_e32 vcc, 10, v3
	v_cndmask_b32_e32 v4, v4, v1, vcc
	v_mad_u64_u32 v[0:1], s[0:1], s2, 5, v[0:1]
	v_mov_b32_e32 v1, 0
	v_cmp_eq_u32_e32 vcc, 11, v3
	v_lshlrev_b64 v[0:1], 2, v[0:1]
	v_cndmask_b32_e32 v2, v4, v2, vcc
	v_mov_b32_e32 v3, s5
	v_add_co_u32_e32 v0, vcc, s4, v0
	v_addc_co_u32_e32 v1, vcc, v3, v1, vcc
	global_store_dword v[0:1], v2, off
.LBB81_17:
	s_endpgm
	.section	.rodata,"a",@progbits
	.p2align	6, 0x0
	.amdhsa_kernel _ZL13mul_mat_vec_qIL9ggml_type39ELi6ELb0ELb0EEvPKvS2_PKi31ggml_cuda_mm_fusion_args_devicePfj15HIP_vector_typeIjLj3EEjjjS8_jjjS8_jjjj
		.amdhsa_group_segment_fixed_size 0
		.amdhsa_private_segment_fixed_size 0
		.amdhsa_kernarg_size 144
		.amdhsa_user_sgpr_count 6
		.amdhsa_user_sgpr_private_segment_buffer 1
		.amdhsa_user_sgpr_dispatch_ptr 0
		.amdhsa_user_sgpr_queue_ptr 0
		.amdhsa_user_sgpr_kernarg_segment_ptr 1
		.amdhsa_user_sgpr_dispatch_id 0
		.amdhsa_user_sgpr_flat_scratch_init 0
		.amdhsa_user_sgpr_private_segment_size 0
		.amdhsa_uses_dynamic_stack 0
		.amdhsa_system_sgpr_private_segment_wavefront_offset 0
		.amdhsa_system_sgpr_workgroup_id_x 1
		.amdhsa_system_sgpr_workgroup_id_y 1
		.amdhsa_system_sgpr_workgroup_id_z 1
		.amdhsa_system_sgpr_workgroup_info 0
		.amdhsa_system_vgpr_workitem_id 1
		.amdhsa_next_free_vgpr 42
		.amdhsa_next_free_sgpr 28
		.amdhsa_reserve_vcc 1
		.amdhsa_reserve_flat_scratch 0
		.amdhsa_float_round_mode_32 0
		.amdhsa_float_round_mode_16_64 0
		.amdhsa_float_denorm_mode_32 3
		.amdhsa_float_denorm_mode_16_64 3
		.amdhsa_dx10_clamp 1
		.amdhsa_ieee_mode 1
		.amdhsa_fp16_overflow 0
		.amdhsa_exception_fp_ieee_invalid_op 0
		.amdhsa_exception_fp_denorm_src 0
		.amdhsa_exception_fp_ieee_div_zero 0
		.amdhsa_exception_fp_ieee_overflow 0
		.amdhsa_exception_fp_ieee_underflow 0
		.amdhsa_exception_fp_ieee_inexact 0
		.amdhsa_exception_int_div_zero 0
	.end_amdhsa_kernel
	.section	.text._ZL13mul_mat_vec_qIL9ggml_type39ELi6ELb0ELb0EEvPKvS2_PKi31ggml_cuda_mm_fusion_args_devicePfj15HIP_vector_typeIjLj3EEjjjS8_jjjS8_jjjj,"axG",@progbits,_ZL13mul_mat_vec_qIL9ggml_type39ELi6ELb0ELb0EEvPKvS2_PKi31ggml_cuda_mm_fusion_args_devicePfj15HIP_vector_typeIjLj3EEjjjS8_jjjS8_jjjj,comdat
.Lfunc_end81:
	.size	_ZL13mul_mat_vec_qIL9ggml_type39ELi6ELb0ELb0EEvPKvS2_PKi31ggml_cuda_mm_fusion_args_devicePfj15HIP_vector_typeIjLj3EEjjjS8_jjjS8_jjjj, .Lfunc_end81-_ZL13mul_mat_vec_qIL9ggml_type39ELi6ELb0ELb0EEvPKvS2_PKi31ggml_cuda_mm_fusion_args_devicePfj15HIP_vector_typeIjLj3EEjjjS8_jjjS8_jjjj
                                        ; -- End function
	.set _ZL13mul_mat_vec_qIL9ggml_type39ELi6ELb0ELb0EEvPKvS2_PKi31ggml_cuda_mm_fusion_args_devicePfj15HIP_vector_typeIjLj3EEjjjS8_jjjS8_jjjj.num_vgpr, 42
	.set _ZL13mul_mat_vec_qIL9ggml_type39ELi6ELb0ELb0EEvPKvS2_PKi31ggml_cuda_mm_fusion_args_devicePfj15HIP_vector_typeIjLj3EEjjjS8_jjjS8_jjjj.num_agpr, 0
	.set _ZL13mul_mat_vec_qIL9ggml_type39ELi6ELb0ELb0EEvPKvS2_PKi31ggml_cuda_mm_fusion_args_devicePfj15HIP_vector_typeIjLj3EEjjjS8_jjjS8_jjjj.numbered_sgpr, 28
	.set _ZL13mul_mat_vec_qIL9ggml_type39ELi6ELb0ELb0EEvPKvS2_PKi31ggml_cuda_mm_fusion_args_devicePfj15HIP_vector_typeIjLj3EEjjjS8_jjjS8_jjjj.num_named_barrier, 0
	.set _ZL13mul_mat_vec_qIL9ggml_type39ELi6ELb0ELb0EEvPKvS2_PKi31ggml_cuda_mm_fusion_args_devicePfj15HIP_vector_typeIjLj3EEjjjS8_jjjS8_jjjj.private_seg_size, 0
	.set _ZL13mul_mat_vec_qIL9ggml_type39ELi6ELb0ELb0EEvPKvS2_PKi31ggml_cuda_mm_fusion_args_devicePfj15HIP_vector_typeIjLj3EEjjjS8_jjjS8_jjjj.uses_vcc, 1
	.set _ZL13mul_mat_vec_qIL9ggml_type39ELi6ELb0ELb0EEvPKvS2_PKi31ggml_cuda_mm_fusion_args_devicePfj15HIP_vector_typeIjLj3EEjjjS8_jjjS8_jjjj.uses_flat_scratch, 0
	.set _ZL13mul_mat_vec_qIL9ggml_type39ELi6ELb0ELb0EEvPKvS2_PKi31ggml_cuda_mm_fusion_args_devicePfj15HIP_vector_typeIjLj3EEjjjS8_jjjS8_jjjj.has_dyn_sized_stack, 0
	.set _ZL13mul_mat_vec_qIL9ggml_type39ELi6ELb0ELb0EEvPKvS2_PKi31ggml_cuda_mm_fusion_args_devicePfj15HIP_vector_typeIjLj3EEjjjS8_jjjS8_jjjj.has_recursion, 0
	.set _ZL13mul_mat_vec_qIL9ggml_type39ELi6ELb0ELb0EEvPKvS2_PKi31ggml_cuda_mm_fusion_args_devicePfj15HIP_vector_typeIjLj3EEjjjS8_jjjS8_jjjj.has_indirect_call, 0
	.section	.AMDGPU.csdata,"",@progbits
; Kernel info:
; codeLenInByte = 4012
; TotalNumSgprs: 32
; NumVgprs: 42
; ScratchSize: 0
; MemoryBound: 0
; FloatMode: 240
; IeeeMode: 1
; LDSByteSize: 0 bytes/workgroup (compile time only)
; SGPRBlocks: 3
; VGPRBlocks: 10
; NumSGPRsForWavesPerEU: 32
; NumVGPRsForWavesPerEU: 42
; Occupancy: 5
; WaveLimiterHint : 0
; COMPUTE_PGM_RSRC2:SCRATCH_EN: 0
; COMPUTE_PGM_RSRC2:USER_SGPR: 6
; COMPUTE_PGM_RSRC2:TRAP_HANDLER: 0
; COMPUTE_PGM_RSRC2:TGID_X_EN: 1
; COMPUTE_PGM_RSRC2:TGID_Y_EN: 1
; COMPUTE_PGM_RSRC2:TGID_Z_EN: 1
; COMPUTE_PGM_RSRC2:TIDIG_COMP_CNT: 1
	.section	.text._ZL13mul_mat_vec_qIL9ggml_type39ELi7ELb0ELb0EEvPKvS2_PKi31ggml_cuda_mm_fusion_args_devicePfj15HIP_vector_typeIjLj3EEjjjS8_jjjS8_jjjj,"axG",@progbits,_ZL13mul_mat_vec_qIL9ggml_type39ELi7ELb0ELb0EEvPKvS2_PKi31ggml_cuda_mm_fusion_args_devicePfj15HIP_vector_typeIjLj3EEjjjS8_jjjS8_jjjj,comdat
	.globl	_ZL13mul_mat_vec_qIL9ggml_type39ELi7ELb0ELb0EEvPKvS2_PKi31ggml_cuda_mm_fusion_args_devicePfj15HIP_vector_typeIjLj3EEjjjS8_jjjS8_jjjj ; -- Begin function _ZL13mul_mat_vec_qIL9ggml_type39ELi7ELb0ELb0EEvPKvS2_PKi31ggml_cuda_mm_fusion_args_devicePfj15HIP_vector_typeIjLj3EEjjjS8_jjjS8_jjjj
	.p2align	8
	.type	_ZL13mul_mat_vec_qIL9ggml_type39ELi7ELb0ELb0EEvPKvS2_PKi31ggml_cuda_mm_fusion_args_devicePfj15HIP_vector_typeIjLj3EEjjjS8_jjjS8_jjjj,@function
_ZL13mul_mat_vec_qIL9ggml_type39ELi7ELb0ELb0EEvPKvS2_PKi31ggml_cuda_mm_fusion_args_devicePfj15HIP_vector_typeIjLj3EEjjjS8_jjjS8_jjjj: ; @_ZL13mul_mat_vec_qIL9ggml_type39ELi7ELb0ELb0EEvPKvS2_PKi31ggml_cuda_mm_fusion_args_devicePfj15HIP_vector_typeIjLj3EEjjjS8_jjjS8_jjjj
; %bb.0:
	s_load_dword s9, s[4:5], 0x40
	s_load_dwordx4 s[0:3], s[4:5], 0x50
	s_load_dword s25, s[4:5], 0x60
	s_load_dwordx4 s[12:15], s[4:5], 0x68
	;; [unrolled: 2-line block ×3, first 2 shown]
	v_lshl_or_b32 v2, v1, 6, v0
	s_waitcnt lgkmcnt(0)
	s_lshr_b32 s9, s9, 5
	v_lshrrev_b16_e32 v18, 1, v2
	s_lshl_b32 s6, s6, 1
	v_cmp_gt_u32_e32 vcc, s9, v18
	v_mov_b32_e32 v4, 0
	v_mov_b32_e32 v5, 0
	;; [unrolled: 1-line block ×14, first 2 shown]
	s_and_saveexec_b64 s[10:11], vcc
	s_cbranch_execz .LBB82_4
; %bb.1:
	s_load_dwordx4 s[20:23], s[4:5], 0x0
	s_mul_i32 s17, s17, s8
	s_mul_hi_u32 s19, s17, 36
	s_mul_i32 s17, s17, 36
	s_mul_i32 s13, s13, s7
	s_waitcnt lgkmcnt(0)
	s_add_u32 s17, s22, s17
	s_addc_u32 s19, s23, s19
	s_mul_hi_u32 s23, s13, 36
	s_mul_i32 s13, s13, 36
	s_add_u32 s22, s17, s13
	s_mul_hi_u32 s3, s3, s7
	s_addc_u32 s23, s19, s23
	s_add_i32 s3, s7, s3
	s_lshr_b32 s3, s3, s25
	s_mul_i32 s3, s3, s12
	s_mul_hi_u32 s12, s15, s8
	s_add_i32 s12, s8, s12
	s_lshr_b32 s12, s12, s24
	s_mul_i32 s12, s12, s16
	v_lshlrev_b32_e32 v3, 1, v0
	s_add_i32 s13, s6, 1
	v_and_b32_e32 v5, 2, v3
	s_add_i32 s12, s12, s3
	s_mul_i32 s3, s6, s0
	s_mul_i32 s0, s0, s13
	v_and_b32_e32 v3, 1, v0
	v_lshrrev_b32_e32 v2, 1, v2
	s_add_i32 s3, s12, s3
	s_add_i32 s0, s12, s0
	v_lshlrev_b32_e32 v20, 3, v3
	v_mad_u64_u32 v[2:3], s[12:13], v2, 36, s[22:23]
	v_mov_b32_e32 v4, 0
	v_lshlrev_b32_e32 v19, 2, v5
	s_lshl_b32 s15, s1, 1
	s_mul_i32 s16, s1, 3
	s_lshl_b32 s17, s1, 2
	s_mul_i32 s19, s1, 5
	s_mul_i32 s24, s1, 6
	s_mov_b64 s[12:13], 0
	s_mov_b32 s25, 0xc080604
	s_mov_b32 s26, 0xf4f8fafc
	v_lshlrev_b32_e32 v21, 2, v5
	v_mov_b32_e32 v22, 0x3020100
	v_mov_b32_e32 v23, 0xfdfeff00
	;; [unrolled: 1-line block ×16, first 2 shown]
.LBB82_2:                               ; =>This Inner Loop Header: Depth=1
	v_add_u32_e32 v27, s3, v18
	v_mad_i64_i32 v[32:33], s[28:29], v27, 17, s[20:21]
	v_add_co_u32_e32 v25, vcc, v2, v20
	v_addc_co_u32_e32 v26, vcc, 0, v3, vcc
	global_load_dwordx2 v[30:31], v[25:26], off offset:4
	global_load_dwordx2 v[34:35], v[25:26], off offset:20
	global_load_dword v28, v[2:3], off
	v_add_co_u32_e32 v25, vcc, v32, v19
	v_addc_co_u32_e32 v26, vcc, 0, v33, vcc
	global_load_dwordx2 v[26:27], v[25:26], off offset:1
	s_waitcnt vmcnt(1)
	v_cvt_f32_f16_e32 v40, v28
	s_waitcnt vmcnt(0)
	v_ashrrev_i32_e32 v28, 4, v26
	v_and_b32_e32 v25, 0x7070707, v26
	v_lshrrev_b32_e32 v26, 1, v26
	v_and_b32_e32 v26, 0x4040404, v26
	v_perm_b32 v29, s25, v22, v25
	v_perm_b32 v25, s26, v23, v25
	v_or_b32_e32 v26, 0x3020100, v26
	v_perm_b32 v25, v25, v29, v26
	v_lshrrev_b32_e32 v26, 1, v28
	v_and_b32_e32 v36, 0x7070707, v28
	v_and_b32_e32 v26, 0x4040404, v26
	v_perm_b32 v37, s25, v22, v36
	v_perm_b32 v36, s26, v23, v36
	v_or_b32_e32 v26, 0x3020100, v26
	v_perm_b32 v26, v36, v37, v26
	v_dot4_i32_i8 v28, v25, v30, 0
	v_dot4_i32_i8 v29, v26, v34, v28
	v_ashrrev_i32_e32 v28, 4, v27
	v_and_b32_e32 v36, 0x7070707, v27
	v_lshrrev_b32_e32 v27, 1, v27
	v_and_b32_e32 v38, 0x7070707, v28
	v_and_b32_e32 v27, 0x4040404, v27
	v_lshrrev_b32_e32 v28, 1, v28
	v_perm_b32 v37, s25, v22, v36
	v_perm_b32 v36, s26, v23, v36
	v_or_b32_e32 v27, 0x3020100, v27
	v_and_b32_e32 v28, 0x4040404, v28
	v_perm_b32 v39, s25, v22, v38
	v_perm_b32 v38, s26, v23, v38
	;; [unrolled: 1-line block ×3, first 2 shown]
	v_or_b32_e32 v28, 0x3020100, v28
	v_perm_b32 v28, v38, v39, v28
	v_dot4_i32_i8 v29, v27, v31, v29
	v_dot4_i32_i8 v36, v28, v35, v29
	global_load_ubyte v29, v[32:33], off
	v_cvt_f32_i32_e32 v33, v36
	s_waitcnt vmcnt(0)
	v_cmp_ne_u32_e32 vcc, 0, v29
	v_lshlrev_b32_e32 v29, 23, v29
	v_mul_f32_e32 v29, 0.5, v29
	v_cndmask_b32_e32 v29, v24, v29, vcc
	v_mul_f32_e32 v32, v29, v40
	v_fmac_f32_e32 v17, v32, v33
	v_add_u32_e32 v32, s0, v18
	v_mad_i64_i32 v[36:37], s[28:29], v32, 17, s[20:21]
	v_add_co_u32_e32 v32, vcc, v36, v19
	v_addc_co_u32_e32 v33, vcc, 0, v37, vcc
	global_load_dwordx2 v[38:39], v[32:33], off offset:1
	s_waitcnt vmcnt(0)
	v_ashrrev_i32_e32 v33, 4, v38
	v_and_b32_e32 v32, 0x7070707, v38
	v_lshrrev_b32_e32 v38, 1, v38
	v_and_b32_e32 v42, 0x7070707, v33
	v_and_b32_e32 v38, 0x4040404, v38
	v_lshrrev_b32_e32 v33, 1, v33
	v_perm_b32 v41, s25, v22, v32
	v_perm_b32 v32, s26, v23, v32
	v_or_b32_e32 v38, 0x3020100, v38
	v_and_b32_e32 v33, 0x4040404, v33
	v_perm_b32 v43, s25, v22, v42
	v_perm_b32 v42, s26, v23, v42
	;; [unrolled: 1-line block ×3, first 2 shown]
	v_or_b32_e32 v33, 0x3020100, v33
	v_perm_b32 v33, v42, v43, v33
	v_dot4_i32_i8 v30, v32, v30, 0
	v_dot4_i32_i8 v38, v33, v34, v30
	v_ashrrev_i32_e32 v30, 4, v39
	v_and_b32_e32 v34, 0x7070707, v39
	v_lshrrev_b32_e32 v39, 1, v39
	v_and_b32_e32 v42, 0x7070707, v30
	v_and_b32_e32 v39, 0x4040404, v39
	v_lshrrev_b32_e32 v30, 1, v30
	v_perm_b32 v41, s25, v22, v34
	v_perm_b32 v34, s26, v23, v34
	v_or_b32_e32 v39, 0x3020100, v39
	v_and_b32_e32 v30, 0x4040404, v30
	v_perm_b32 v43, s25, v22, v42
	v_perm_b32 v42, s26, v23, v42
	;; [unrolled: 1-line block ×3, first 2 shown]
	v_or_b32_e32 v30, 0x3020100, v30
	v_perm_b32 v30, v42, v43, v30
	v_dot4_i32_i8 v31, v34, v31, v38
	v_dot4_i32_i8 v35, v30, v35, v31
	global_load_ubyte v31, v[36:37], off
	v_cvt_f32_i32_e32 v35, v35
	s_waitcnt vmcnt(0)
	v_cmp_ne_u32_e32 vcc, 0, v31
	v_lshlrev_b32_e32 v31, 23, v31
	v_mul_f32_e32 v31, 0.5, v31
	v_cndmask_b32_e32 v31, v24, v31, vcc
	v_mul_f32_e32 v36, v31, v40
	v_fmac_f32_e32 v16, v36, v35
	v_add_u32_e32 v35, s1, v18
	v_mad_u64_u32 v[35:36], s[28:29], v35, 36, s[22:23]
	v_add_co_u32_e32 v37, vcc, v35, v21
	v_addc_co_u32_e32 v38, vcc, 0, v36, vcc
	global_load_dwordx2 v[39:40], v[37:38], off offset:4
	global_load_dwordx2 v[41:42], v[37:38], off offset:20
	global_load_dword v43, v[35:36], off
	s_waitcnt vmcnt(2)
	v_dot4_i32_i8 v36, v25, v39, 0
	s_waitcnt vmcnt(1)
	v_dot4_i32_i8 v36, v26, v41, v36
	v_dot4_i32_i8 v36, v27, v40, v36
	s_waitcnt vmcnt(0)
	v_cvt_f32_f16_e32 v35, v43
	v_dot4_i32_i8 v36, v28, v42, v36
	v_cvt_f32_i32_e32 v36, v36
	v_mul_f32_e32 v37, v29, v35
	v_mul_f32_e32 v35, v31, v35
	v_fmac_f32_e32 v15, v37, v36
	v_dot4_i32_i8 v36, v32, v39, 0
	v_dot4_i32_i8 v36, v33, v41, v36
	v_dot4_i32_i8 v36, v34, v40, v36
	v_dot4_i32_i8 v36, v30, v42, v36
	v_cvt_f32_i32_e32 v36, v36
	v_fmac_f32_e32 v14, v35, v36
	v_add_u32_e32 v35, s15, v18
	v_mad_u64_u32 v[35:36], s[28:29], v35, 36, s[22:23]
	v_add_co_u32_e32 v37, vcc, v35, v21
	v_addc_co_u32_e32 v38, vcc, 0, v36, vcc
	global_load_dwordx2 v[39:40], v[37:38], off offset:4
	global_load_dwordx2 v[41:42], v[37:38], off offset:20
	global_load_dword v43, v[35:36], off
	s_waitcnt vmcnt(2)
	v_dot4_i32_i8 v36, v25, v39, 0
	s_waitcnt vmcnt(1)
	v_dot4_i32_i8 v36, v26, v41, v36
	v_dot4_i32_i8 v36, v27, v40, v36
	s_waitcnt vmcnt(0)
	v_cvt_f32_f16_e32 v35, v43
	v_dot4_i32_i8 v36, v28, v42, v36
	v_cvt_f32_i32_e32 v36, v36
	v_mul_f32_e32 v37, v29, v35
	v_mul_f32_e32 v35, v31, v35
	v_fmac_f32_e32 v13, v37, v36
	v_dot4_i32_i8 v36, v32, v39, 0
	v_dot4_i32_i8 v36, v33, v41, v36
	v_dot4_i32_i8 v36, v34, v40, v36
	v_dot4_i32_i8 v36, v30, v42, v36
	v_cvt_f32_i32_e32 v36, v36
	;; [unrolled: 25-line block ×5, first 2 shown]
	v_fmac_f32_e32 v6, v35, v36
	v_add_u32_e32 v35, s24, v18
	v_mad_u64_u32 v[35:36], s[28:29], v35, 36, s[22:23]
	v_add_u32_e32 v18, 32, v18
	v_add_co_u32_e32 v37, vcc, v35, v21
	v_addc_co_u32_e32 v38, vcc, 0, v36, vcc
	global_load_dwordx2 v[39:40], v[37:38], off offset:4
	global_load_dwordx2 v[41:42], v[37:38], off offset:20
	global_load_dword v43, v[35:36], off
	v_add_co_u32_e32 v2, vcc, 0x480, v2
	v_addc_co_u32_e32 v3, vcc, 0, v3, vcc
	v_cmp_le_u32_e32 vcc, s9, v18
	s_or_b64 s[12:13], vcc, s[12:13]
	s_waitcnt vmcnt(2)
	v_dot4_i32_i8 v25, v25, v39, 0
	s_waitcnt vmcnt(1)
	v_dot4_i32_i8 v25, v26, v41, v25
	v_dot4_i32_i8 v25, v27, v40, v25
	s_waitcnt vmcnt(0)
	v_cvt_f32_f16_e32 v35, v43
	v_dot4_i32_i8 v25, v28, v42, v25
	v_cvt_f32_i32_e32 v25, v25
	v_mul_f32_e32 v26, v29, v35
	v_fmac_f32_e32 v5, v26, v25
	v_dot4_i32_i8 v25, v32, v39, 0
	v_dot4_i32_i8 v25, v33, v41, v25
	v_dot4_i32_i8 v25, v34, v40, v25
	v_dot4_i32_i8 v25, v30, v42, v25
	v_cvt_f32_i32_e32 v25, v25
	v_mul_f32_e32 v26, v31, v35
	v_fmac_f32_e32 v4, v26, v25
	s_andn2_b64 exec, exec, s[12:13]
	s_cbranch_execnz .LBB82_2
; %bb.3:
	s_or_b64 exec, exec, s[12:13]
.LBB82_4:
	s_or_b64 exec, exec, s[10:11]
	s_mov_b32 s1, 0
	v_cmp_eq_u32_e32 vcc, 0, v1
	; wave barrier
	s_and_saveexec_b64 s[10:11], vcc
	s_cbranch_execz .LBB82_19
; %bb.5:
	v_mbcnt_lo_u32_b32 v1, -1, 0
	v_mbcnt_hi_u32_b32 v19, -1, v1
	v_and_b32_e32 v1, 64, v19
	v_add_u32_e32 v20, 64, v1
	v_xor_b32_e32 v1, 32, v19
	v_cmp_lt_i32_e32 vcc, v1, v20
	v_cndmask_b32_e32 v1, v19, v1, vcc
	v_lshlrev_b32_e32 v1, 2, v1
	ds_bpermute_b32 v21, v1, v17
	ds_bpermute_b32 v22, v1, v16
	v_xor_b32_e32 v2, 16, v19
	v_cmp_lt_i32_e32 vcc, v2, v20
	v_cndmask_b32_e32 v2, v19, v2, vcc
	v_lshlrev_b32_e32 v2, 2, v2
	s_waitcnt lgkmcnt(1)
	v_add_f32_e32 v17, v17, v21
	s_waitcnt lgkmcnt(0)
	v_add_f32_e32 v16, v16, v22
	ds_bpermute_b32 v21, v2, v17
	ds_bpermute_b32 v22, v2, v16
	v_xor_b32_e32 v3, 8, v19
	v_cmp_lt_i32_e32 vcc, v3, v20
	v_cndmask_b32_e32 v3, v19, v3, vcc
	v_lshlrev_b32_e32 v3, 2, v3
	s_waitcnt lgkmcnt(1)
	v_add_f32_e32 v17, v17, v21
	s_waitcnt lgkmcnt(0)
	v_add_f32_e32 v22, v16, v22
	;; [unrolled: 10-line block ×3, first 2 shown]
	ds_bpermute_b32 v21, v18, v17
	ds_bpermute_b32 v24, v18, v22
	v_xor_b32_e32 v23, 2, v19
	v_cmp_lt_i32_e32 vcc, v23, v20
	v_cndmask_b32_e32 v23, v19, v23, vcc
	v_lshlrev_b32_e32 v16, 2, v23
	v_xor_b32_e32 v23, 1, v19
	v_cmp_lt_i32_e32 vcc, v23, v20
	s_waitcnt lgkmcnt(1)
	v_add_f32_e32 v17, v17, v21
	s_waitcnt lgkmcnt(0)
	v_add_f32_e32 v22, v22, v24
	v_cndmask_b32_e32 v19, v19, v23, vcc
	ds_bpermute_b32 v21, v16, v17
	ds_bpermute_b32 v23, v16, v22
	s_load_dwordx2 s[4:5], s[4:5], 0x38
	s_mul_i32 s3, s14, s7
	v_lshlrev_b32_e32 v20, 2, v19
	s_waitcnt lgkmcnt(0)
	v_add_f32_e32 v17, v17, v21
	v_add_f32_e32 v21, v22, v23
	s_mul_i32 s0, s18, s8
	s_add_i32 s3, s3, s6
	ds_bpermute_b32 v19, v20, v17
	ds_bpermute_b32 v22, v20, v21
	s_add_i32 s0, s3, s0
	s_lshl_b64 s[0:1], s[0:1], 2
	s_add_u32 s4, s4, s0
	v_add_u32_e32 v23, s6, v0
	s_addc_u32 s5, s5, s1
	v_cmp_gt_u32_e32 vcc, 2, v0
	v_cmp_gt_u32_e64 s[0:1], s2, v23
	s_and_b64 s[0:1], vcc, s[0:1]
	s_waitcnt lgkmcnt(1)
	v_add_f32_e32 v17, v17, v19
	s_waitcnt lgkmcnt(0)
	v_add_f32_e32 v19, v21, v22
	s_and_saveexec_b64 s[6:7], s[0:1]
	s_cbranch_execz .LBB82_7
; %bb.6:
	v_cmp_eq_u32_e32 vcc, 1, v0
	v_cndmask_b32_e32 v21, v17, v19, vcc
	v_cmp_eq_u32_e32 vcc, 2, v0
	v_cndmask_b32_e32 v21, v21, v15, vcc
	;; [unrolled: 2-line block ×13, first 2 shown]
	v_lshlrev_b32_e32 v22, 2, v0
	global_store_dword v22, v21, s[4:5]
.LBB82_7:
	s_or_b64 exec, exec, s[6:7]
	ds_bpermute_b32 v21, v1, v15
	ds_bpermute_b32 v22, v1, v14
	s_waitcnt lgkmcnt(1)
	v_add_f32_e32 v15, v15, v21
	s_waitcnt lgkmcnt(0)
	v_add_f32_e32 v14, v14, v22
	ds_bpermute_b32 v21, v2, v15
	ds_bpermute_b32 v22, v2, v14
	s_waitcnt lgkmcnt(1)
	v_add_f32_e32 v15, v15, v21
	s_waitcnt lgkmcnt(0)
	v_add_f32_e32 v14, v14, v22
	;; [unrolled: 6-line block ×6, first 2 shown]
	s_and_saveexec_b64 s[6:7], s[0:1]
	s_cbranch_execz .LBB82_9
; %bb.8:
	v_add_u32_e32 v21, 2, v0
	v_cmp_eq_u32_e32 vcc, 1, v21
	v_cndmask_b32_e32 v22, v17, v19, vcc
	v_cmp_eq_u32_e32 vcc, 2, v21
	v_cndmask_b32_e32 v22, v22, v15, vcc
	;; [unrolled: 2-line block ×13, first 2 shown]
	v_add_u32_e32 v21, s2, v0
	v_mov_b32_e32 v22, 0
	v_lshlrev_b64 v[21:22], 2, v[21:22]
	v_mov_b32_e32 v24, s5
	v_add_co_u32_e32 v21, vcc, s4, v21
	v_addc_co_u32_e32 v22, vcc, v24, v22, vcc
	global_store_dword v[21:22], v23, off
.LBB82_9:
	s_or_b64 exec, exec, s[6:7]
	ds_bpermute_b32 v21, v1, v13
	ds_bpermute_b32 v22, v1, v12
	s_waitcnt lgkmcnt(1)
	v_add_f32_e32 v13, v13, v21
	s_waitcnt lgkmcnt(0)
	v_add_f32_e32 v12, v12, v22
	ds_bpermute_b32 v21, v2, v13
	ds_bpermute_b32 v22, v2, v12
	s_waitcnt lgkmcnt(1)
	v_add_f32_e32 v13, v13, v21
	s_waitcnt lgkmcnt(0)
	v_add_f32_e32 v12, v12, v22
	;; [unrolled: 6-line block ×6, first 2 shown]
	s_and_saveexec_b64 s[6:7], s[0:1]
	s_cbranch_execz .LBB82_11
; %bb.10:
	v_add_u32_e32 v21, 4, v0
	v_cmp_eq_u32_e32 vcc, 1, v21
	v_cndmask_b32_e32 v22, v17, v19, vcc
	v_cmp_eq_u32_e32 vcc, 2, v21
	v_cndmask_b32_e32 v22, v22, v15, vcc
	;; [unrolled: 2-line block ×13, first 2 shown]
	v_lshl_or_b32 v21, s2, 1, v0
	v_mov_b32_e32 v22, 0
	v_lshlrev_b64 v[21:22], 2, v[21:22]
	v_mov_b32_e32 v24, s5
	v_add_co_u32_e32 v21, vcc, s4, v21
	v_addc_co_u32_e32 v22, vcc, v24, v22, vcc
	global_store_dword v[21:22], v23, off
.LBB82_11:
	s_or_b64 exec, exec, s[6:7]
	ds_bpermute_b32 v21, v1, v11
	ds_bpermute_b32 v22, v1, v10
	s_waitcnt lgkmcnt(1)
	v_add_f32_e32 v11, v11, v21
	s_waitcnt lgkmcnt(0)
	v_add_f32_e32 v10, v10, v22
	ds_bpermute_b32 v21, v2, v11
	ds_bpermute_b32 v22, v2, v10
	s_waitcnt lgkmcnt(1)
	v_add_f32_e32 v11, v11, v21
	s_waitcnt lgkmcnt(0)
	v_add_f32_e32 v10, v10, v22
	;; [unrolled: 6-line block ×6, first 2 shown]
	s_and_saveexec_b64 s[6:7], s[0:1]
	s_cbranch_execz .LBB82_13
; %bb.12:
	v_add_u32_e32 v23, 6, v0
	v_cmp_eq_u32_e32 vcc, 1, v23
	v_cndmask_b32_e32 v21, v17, v19, vcc
	v_cmp_eq_u32_e32 vcc, 2, v23
	v_cndmask_b32_e32 v21, v21, v15, vcc
	;; [unrolled: 2-line block ×12, first 2 shown]
	v_mad_u64_u32 v[21:22], s[8:9], s2, 3, v[0:1]
	v_mov_b32_e32 v22, 0
	v_cmp_eq_u32_e32 vcc, 13, v23
	v_lshlrev_b64 v[21:22], 2, v[21:22]
	v_cndmask_b32_e32 v23, v24, v4, vcc
	v_mov_b32_e32 v24, s5
	v_add_co_u32_e32 v21, vcc, s4, v21
	v_addc_co_u32_e32 v22, vcc, v24, v22, vcc
	global_store_dword v[21:22], v23, off
.LBB82_13:
	s_or_b64 exec, exec, s[6:7]
	ds_bpermute_b32 v21, v1, v9
	ds_bpermute_b32 v22, v1, v8
	s_waitcnt lgkmcnt(1)
	v_add_f32_e32 v9, v9, v21
	s_waitcnt lgkmcnt(0)
	v_add_f32_e32 v8, v8, v22
	ds_bpermute_b32 v21, v2, v9
	ds_bpermute_b32 v22, v2, v8
	s_waitcnt lgkmcnt(1)
	v_add_f32_e32 v9, v9, v21
	s_waitcnt lgkmcnt(0)
	v_add_f32_e32 v8, v8, v22
	;; [unrolled: 6-line block ×6, first 2 shown]
	s_and_saveexec_b64 s[6:7], s[0:1]
	s_cbranch_execz .LBB82_15
; %bb.14:
	v_add_u32_e32 v21, 8, v0
	v_cmp_eq_u32_e32 vcc, 1, v21
	v_cndmask_b32_e32 v22, v17, v19, vcc
	v_cmp_eq_u32_e32 vcc, 2, v21
	v_cndmask_b32_e32 v22, v22, v15, vcc
	;; [unrolled: 2-line block ×13, first 2 shown]
	v_lshl_or_b32 v21, s2, 2, v0
	v_mov_b32_e32 v22, 0
	v_lshlrev_b64 v[21:22], 2, v[21:22]
	v_mov_b32_e32 v24, s5
	v_add_co_u32_e32 v21, vcc, s4, v21
	v_addc_co_u32_e32 v22, vcc, v24, v22, vcc
	global_store_dword v[21:22], v23, off
.LBB82_15:
	s_or_b64 exec, exec, s[6:7]
	ds_bpermute_b32 v21, v1, v7
	ds_bpermute_b32 v22, v1, v6
	s_waitcnt lgkmcnt(1)
	v_add_f32_e32 v7, v7, v21
	s_waitcnt lgkmcnt(0)
	v_add_f32_e32 v6, v6, v22
	ds_bpermute_b32 v21, v2, v7
	ds_bpermute_b32 v22, v2, v6
	s_waitcnt lgkmcnt(1)
	v_add_f32_e32 v7, v7, v21
	s_waitcnt lgkmcnt(0)
	v_add_f32_e32 v6, v6, v22
	;; [unrolled: 6-line block ×6, first 2 shown]
	s_and_saveexec_b64 s[6:7], s[0:1]
	s_cbranch_execz .LBB82_17
; %bb.16:
	v_add_u32_e32 v23, 10, v0
	v_cmp_eq_u32_e32 vcc, 1, v23
	v_cndmask_b32_e32 v21, v17, v19, vcc
	v_cmp_eq_u32_e32 vcc, 2, v23
	v_cndmask_b32_e32 v21, v21, v15, vcc
	;; [unrolled: 2-line block ×12, first 2 shown]
	v_mad_u64_u32 v[21:22], s[8:9], s2, 5, v[0:1]
	v_mov_b32_e32 v22, 0
	v_cmp_eq_u32_e32 vcc, 13, v23
	v_lshlrev_b64 v[21:22], 2, v[21:22]
	v_cndmask_b32_e32 v23, v24, v4, vcc
	v_mov_b32_e32 v24, s5
	v_add_co_u32_e32 v21, vcc, s4, v21
	v_addc_co_u32_e32 v22, vcc, v24, v22, vcc
	global_store_dword v[21:22], v23, off
.LBB82_17:
	s_or_b64 exec, exec, s[6:7]
	ds_bpermute_b32 v21, v1, v5
	ds_bpermute_b32 v1, v1, v4
	s_waitcnt lgkmcnt(1)
	v_add_f32_e32 v5, v5, v21
	s_waitcnt lgkmcnt(0)
	v_add_f32_e32 v1, v4, v1
	ds_bpermute_b32 v4, v2, v5
	ds_bpermute_b32 v2, v2, v1
	s_waitcnt lgkmcnt(1)
	v_add_f32_e32 v4, v5, v4
	s_waitcnt lgkmcnt(0)
	v_add_f32_e32 v1, v1, v2
	ds_bpermute_b32 v2, v3, v4
	ds_bpermute_b32 v3, v3, v1
	s_waitcnt lgkmcnt(1)
	v_add_f32_e32 v2, v4, v2
	s_waitcnt lgkmcnt(0)
	v_add_f32_e32 v1, v1, v3
	ds_bpermute_b32 v3, v18, v2
	ds_bpermute_b32 v4, v18, v1
	s_waitcnt lgkmcnt(1)
	v_add_f32_e32 v2, v2, v3
	s_waitcnt lgkmcnt(0)
	v_add_f32_e32 v3, v1, v4
	ds_bpermute_b32 v1, v16, v2
	ds_bpermute_b32 v4, v16, v3
	s_waitcnt lgkmcnt(1)
	v_add_f32_e32 v1, v2, v1
	s_waitcnt lgkmcnt(0)
	v_add_f32_e32 v2, v3, v4
	ds_bpermute_b32 v3, v20, v1
	ds_bpermute_b32 v4, v20, v2
	s_and_b64 exec, exec, s[0:1]
	s_cbranch_execz .LBB82_19
; %bb.18:
	s_waitcnt lgkmcnt(1)
	v_add_f32_e32 v1, v1, v3
	v_add_u32_e32 v3, 12, v0
	v_cmp_eq_u32_e32 vcc, 1, v3
	s_waitcnt lgkmcnt(0)
	v_add_f32_e32 v2, v2, v4
	v_cndmask_b32_e32 v4, v17, v19, vcc
	v_cmp_eq_u32_e32 vcc, 2, v3
	v_cndmask_b32_e32 v4, v4, v15, vcc
	v_cmp_eq_u32_e32 vcc, 3, v3
	;; [unrolled: 2-line block ×12, first 2 shown]
	s_mul_i32 s0, s2, 6
	v_cndmask_b32_e32 v2, v1, v2, vcc
	v_or_b32_e32 v0, s0, v0
	v_mov_b32_e32 v1, 0
	v_lshlrev_b64 v[0:1], 2, v[0:1]
	v_mov_b32_e32 v3, s5
	v_add_co_u32_e32 v0, vcc, s4, v0
	v_addc_co_u32_e32 v1, vcc, v3, v1, vcc
	global_store_dword v[0:1], v2, off
.LBB82_19:
	s_endpgm
	.section	.rodata,"a",@progbits
	.p2align	6, 0x0
	.amdhsa_kernel _ZL13mul_mat_vec_qIL9ggml_type39ELi7ELb0ELb0EEvPKvS2_PKi31ggml_cuda_mm_fusion_args_devicePfj15HIP_vector_typeIjLj3EEjjjS8_jjjS8_jjjj
		.amdhsa_group_segment_fixed_size 0
		.amdhsa_private_segment_fixed_size 0
		.amdhsa_kernarg_size 144
		.amdhsa_user_sgpr_count 6
		.amdhsa_user_sgpr_private_segment_buffer 1
		.amdhsa_user_sgpr_dispatch_ptr 0
		.amdhsa_user_sgpr_queue_ptr 0
		.amdhsa_user_sgpr_kernarg_segment_ptr 1
		.amdhsa_user_sgpr_dispatch_id 0
		.amdhsa_user_sgpr_flat_scratch_init 0
		.amdhsa_user_sgpr_private_segment_size 0
		.amdhsa_uses_dynamic_stack 0
		.amdhsa_system_sgpr_private_segment_wavefront_offset 0
		.amdhsa_system_sgpr_workgroup_id_x 1
		.amdhsa_system_sgpr_workgroup_id_y 1
		.amdhsa_system_sgpr_workgroup_id_z 1
		.amdhsa_system_sgpr_workgroup_info 0
		.amdhsa_system_vgpr_workitem_id 1
		.amdhsa_next_free_vgpr 44
		.amdhsa_next_free_sgpr 30
		.amdhsa_reserve_vcc 1
		.amdhsa_reserve_flat_scratch 0
		.amdhsa_float_round_mode_32 0
		.amdhsa_float_round_mode_16_64 0
		.amdhsa_float_denorm_mode_32 3
		.amdhsa_float_denorm_mode_16_64 3
		.amdhsa_dx10_clamp 1
		.amdhsa_ieee_mode 1
		.amdhsa_fp16_overflow 0
		.amdhsa_exception_fp_ieee_invalid_op 0
		.amdhsa_exception_fp_denorm_src 0
		.amdhsa_exception_fp_ieee_div_zero 0
		.amdhsa_exception_fp_ieee_overflow 0
		.amdhsa_exception_fp_ieee_underflow 0
		.amdhsa_exception_fp_ieee_inexact 0
		.amdhsa_exception_int_div_zero 0
	.end_amdhsa_kernel
	.section	.text._ZL13mul_mat_vec_qIL9ggml_type39ELi7ELb0ELb0EEvPKvS2_PKi31ggml_cuda_mm_fusion_args_devicePfj15HIP_vector_typeIjLj3EEjjjS8_jjjS8_jjjj,"axG",@progbits,_ZL13mul_mat_vec_qIL9ggml_type39ELi7ELb0ELb0EEvPKvS2_PKi31ggml_cuda_mm_fusion_args_devicePfj15HIP_vector_typeIjLj3EEjjjS8_jjjS8_jjjj,comdat
.Lfunc_end82:
	.size	_ZL13mul_mat_vec_qIL9ggml_type39ELi7ELb0ELb0EEvPKvS2_PKi31ggml_cuda_mm_fusion_args_devicePfj15HIP_vector_typeIjLj3EEjjjS8_jjjS8_jjjj, .Lfunc_end82-_ZL13mul_mat_vec_qIL9ggml_type39ELi7ELb0ELb0EEvPKvS2_PKi31ggml_cuda_mm_fusion_args_devicePfj15HIP_vector_typeIjLj3EEjjjS8_jjjS8_jjjj
                                        ; -- End function
	.set _ZL13mul_mat_vec_qIL9ggml_type39ELi7ELb0ELb0EEvPKvS2_PKi31ggml_cuda_mm_fusion_args_devicePfj15HIP_vector_typeIjLj3EEjjjS8_jjjS8_jjjj.num_vgpr, 44
	.set _ZL13mul_mat_vec_qIL9ggml_type39ELi7ELb0ELb0EEvPKvS2_PKi31ggml_cuda_mm_fusion_args_devicePfj15HIP_vector_typeIjLj3EEjjjS8_jjjS8_jjjj.num_agpr, 0
	.set _ZL13mul_mat_vec_qIL9ggml_type39ELi7ELb0ELb0EEvPKvS2_PKi31ggml_cuda_mm_fusion_args_devicePfj15HIP_vector_typeIjLj3EEjjjS8_jjjS8_jjjj.numbered_sgpr, 30
	.set _ZL13mul_mat_vec_qIL9ggml_type39ELi7ELb0ELb0EEvPKvS2_PKi31ggml_cuda_mm_fusion_args_devicePfj15HIP_vector_typeIjLj3EEjjjS8_jjjS8_jjjj.num_named_barrier, 0
	.set _ZL13mul_mat_vec_qIL9ggml_type39ELi7ELb0ELb0EEvPKvS2_PKi31ggml_cuda_mm_fusion_args_devicePfj15HIP_vector_typeIjLj3EEjjjS8_jjjS8_jjjj.private_seg_size, 0
	.set _ZL13mul_mat_vec_qIL9ggml_type39ELi7ELb0ELb0EEvPKvS2_PKi31ggml_cuda_mm_fusion_args_devicePfj15HIP_vector_typeIjLj3EEjjjS8_jjjS8_jjjj.uses_vcc, 1
	.set _ZL13mul_mat_vec_qIL9ggml_type39ELi7ELb0ELb0EEvPKvS2_PKi31ggml_cuda_mm_fusion_args_devicePfj15HIP_vector_typeIjLj3EEjjjS8_jjjS8_jjjj.uses_flat_scratch, 0
	.set _ZL13mul_mat_vec_qIL9ggml_type39ELi7ELb0ELb0EEvPKvS2_PKi31ggml_cuda_mm_fusion_args_devicePfj15HIP_vector_typeIjLj3EEjjjS8_jjjS8_jjjj.has_dyn_sized_stack, 0
	.set _ZL13mul_mat_vec_qIL9ggml_type39ELi7ELb0ELb0EEvPKvS2_PKi31ggml_cuda_mm_fusion_args_devicePfj15HIP_vector_typeIjLj3EEjjjS8_jjjS8_jjjj.has_recursion, 0
	.set _ZL13mul_mat_vec_qIL9ggml_type39ELi7ELb0ELb0EEvPKvS2_PKi31ggml_cuda_mm_fusion_args_devicePfj15HIP_vector_typeIjLj3EEjjjS8_jjjS8_jjjj.has_indirect_call, 0
	.section	.AMDGPU.csdata,"",@progbits
; Kernel info:
; codeLenInByte = 4628
; TotalNumSgprs: 34
; NumVgprs: 44
; ScratchSize: 0
; MemoryBound: 0
; FloatMode: 240
; IeeeMode: 1
; LDSByteSize: 0 bytes/workgroup (compile time only)
; SGPRBlocks: 4
; VGPRBlocks: 10
; NumSGPRsForWavesPerEU: 34
; NumVGPRsForWavesPerEU: 44
; Occupancy: 5
; WaveLimiterHint : 0
; COMPUTE_PGM_RSRC2:SCRATCH_EN: 0
; COMPUTE_PGM_RSRC2:USER_SGPR: 6
; COMPUTE_PGM_RSRC2:TRAP_HANDLER: 0
; COMPUTE_PGM_RSRC2:TGID_X_EN: 1
; COMPUTE_PGM_RSRC2:TGID_Y_EN: 1
; COMPUTE_PGM_RSRC2:TGID_Z_EN: 1
; COMPUTE_PGM_RSRC2:TIDIG_COMP_CNT: 1
	.section	.text._ZL13mul_mat_vec_qIL9ggml_type39ELi8ELb0ELb0EEvPKvS2_PKi31ggml_cuda_mm_fusion_args_devicePfj15HIP_vector_typeIjLj3EEjjjS8_jjjS8_jjjj,"axG",@progbits,_ZL13mul_mat_vec_qIL9ggml_type39ELi8ELb0ELb0EEvPKvS2_PKi31ggml_cuda_mm_fusion_args_devicePfj15HIP_vector_typeIjLj3EEjjjS8_jjjS8_jjjj,comdat
	.globl	_ZL13mul_mat_vec_qIL9ggml_type39ELi8ELb0ELb0EEvPKvS2_PKi31ggml_cuda_mm_fusion_args_devicePfj15HIP_vector_typeIjLj3EEjjjS8_jjjS8_jjjj ; -- Begin function _ZL13mul_mat_vec_qIL9ggml_type39ELi8ELb0ELb0EEvPKvS2_PKi31ggml_cuda_mm_fusion_args_devicePfj15HIP_vector_typeIjLj3EEjjjS8_jjjS8_jjjj
	.p2align	8
	.type	_ZL13mul_mat_vec_qIL9ggml_type39ELi8ELb0ELb0EEvPKvS2_PKi31ggml_cuda_mm_fusion_args_devicePfj15HIP_vector_typeIjLj3EEjjjS8_jjjS8_jjjj,@function
_ZL13mul_mat_vec_qIL9ggml_type39ELi8ELb0ELb0EEvPKvS2_PKi31ggml_cuda_mm_fusion_args_devicePfj15HIP_vector_typeIjLj3EEjjjS8_jjjS8_jjjj: ; @_ZL13mul_mat_vec_qIL9ggml_type39ELi8ELb0ELb0EEvPKvS2_PKi31ggml_cuda_mm_fusion_args_devicePfj15HIP_vector_typeIjLj3EEjjjS8_jjjS8_jjjj
; %bb.0:
	s_load_dword s9, s[4:5], 0x40
	s_load_dwordx4 s[0:3], s[4:5], 0x50
	s_load_dword s25, s[4:5], 0x60
	s_load_dwordx4 s[12:15], s[4:5], 0x68
	;; [unrolled: 2-line block ×3, first 2 shown]
	v_lshl_or_b32 v2, v1, 6, v0
	s_waitcnt lgkmcnt(0)
	s_lshr_b32 s9, s9, 5
	v_lshrrev_b16_e32 v20, 1, v2
	v_mov_b32_e32 v4, 0
	s_lshl_b32 s6, s6, 1
	v_cmp_gt_u32_e32 vcc, s9, v20
	v_mov_b32_e32 v5, v4
	v_mov_b32_e32 v6, v4
	;; [unrolled: 1-line block ×15, first 2 shown]
	s_and_saveexec_b64 s[10:11], vcc
	s_cbranch_execz .LBB83_4
; %bb.1:
	s_load_dwordx4 s[20:23], s[4:5], 0x0
	s_mul_i32 s17, s17, s8
	s_mul_hi_u32 s19, s17, 36
	s_mul_i32 s17, s17, 36
	s_mul_i32 s13, s13, s7
	s_waitcnt lgkmcnt(0)
	s_add_u32 s17, s22, s17
	s_addc_u32 s19, s23, s19
	s_mul_hi_u32 s23, s13, 36
	s_mul_i32 s13, s13, 36
	s_add_u32 s22, s17, s13
	s_mul_hi_u32 s3, s3, s7
	s_addc_u32 s23, s19, s23
	s_add_i32 s3, s7, s3
	s_lshr_b32 s3, s3, s25
	s_mul_i32 s3, s3, s12
	s_mul_hi_u32 s12, s15, s8
	s_add_i32 s12, s8, s12
	s_lshr_b32 s12, s12, s24
	s_mul_i32 s12, s12, s16
	v_lshlrev_b32_e32 v3, 1, v0
	s_add_i32 s13, s6, 1
	v_and_b32_e32 v5, 2, v3
	s_add_i32 s12, s12, s3
	s_mul_i32 s3, s6, s0
	s_mul_i32 s0, s0, s13
	v_and_b32_e32 v3, 1, v0
	v_lshrrev_b32_e32 v2, 1, v2
	s_add_i32 s3, s12, s3
	s_add_i32 s0, s12, s0
	v_lshlrev_b32_e32 v22, 3, v3
	v_mad_u64_u32 v[2:3], s[12:13], v2, 36, s[22:23]
	v_mov_b32_e32 v4, 0
	v_lshlrev_b32_e32 v21, 2, v5
	s_lshl_b32 s15, s1, 1
	s_mul_i32 s16, s1, 3
	s_lshl_b32 s17, s1, 2
	s_mul_i32 s19, s1, 5
	s_mul_i32 s24, s1, 6
	;; [unrolled: 1-line block ×3, first 2 shown]
	s_mov_b64 s[12:13], 0
	s_mov_b32 s26, 0xc080604
	s_mov_b32 s27, 0xf4f8fafc
	v_lshlrev_b32_e32 v23, 2, v5
	v_mov_b32_e32 v24, 0x3020100
	v_mov_b32_e32 v25, 0xfdfeff00
	v_mov_b32_e32 v26, 0x200000
	v_mov_b32_e32 v5, v4
	v_mov_b32_e32 v6, v4
	v_mov_b32_e32 v7, v4
	v_mov_b32_e32 v8, v4
	v_mov_b32_e32 v9, v4
	v_mov_b32_e32 v10, v4
	v_mov_b32_e32 v11, v4
	v_mov_b32_e32 v12, v4
	v_mov_b32_e32 v13, v4
	v_mov_b32_e32 v14, v4
	v_mov_b32_e32 v15, v4
	v_mov_b32_e32 v16, v4
	v_mov_b32_e32 v17, v4
	v_mov_b32_e32 v18, v4
	v_mov_b32_e32 v19, v4
.LBB83_2:                               ; =>This Inner Loop Header: Depth=1
	v_add_u32_e32 v29, s3, v20
	v_mad_i64_i32 v[34:35], s[28:29], v29, 17, s[20:21]
	v_add_co_u32_e32 v27, vcc, v2, v22
	v_addc_co_u32_e32 v28, vcc, 0, v3, vcc
	global_load_dwordx2 v[32:33], v[27:28], off offset:4
	global_load_dwordx2 v[36:37], v[27:28], off offset:20
	global_load_dword v30, v[2:3], off
	v_add_co_u32_e32 v27, vcc, v34, v21
	v_addc_co_u32_e32 v28, vcc, 0, v35, vcc
	global_load_dwordx2 v[28:29], v[27:28], off offset:1
	s_waitcnt vmcnt(1)
	v_cvt_f32_f16_e32 v42, v30
	s_waitcnt vmcnt(0)
	v_ashrrev_i32_e32 v30, 4, v28
	v_and_b32_e32 v27, 0x7070707, v28
	v_lshrrev_b32_e32 v28, 1, v28
	v_and_b32_e32 v28, 0x4040404, v28
	v_perm_b32 v31, s26, v24, v27
	v_perm_b32 v27, s27, v25, v27
	v_or_b32_e32 v28, 0x3020100, v28
	v_perm_b32 v27, v27, v31, v28
	v_lshrrev_b32_e32 v28, 1, v30
	v_and_b32_e32 v38, 0x7070707, v30
	v_and_b32_e32 v28, 0x4040404, v28
	v_perm_b32 v39, s26, v24, v38
	v_perm_b32 v38, s27, v25, v38
	v_or_b32_e32 v28, 0x3020100, v28
	v_perm_b32 v28, v38, v39, v28
	v_dot4_i32_i8 v30, v27, v32, 0
	v_dot4_i32_i8 v31, v28, v36, v30
	v_ashrrev_i32_e32 v30, 4, v29
	v_and_b32_e32 v38, 0x7070707, v29
	v_lshrrev_b32_e32 v29, 1, v29
	v_and_b32_e32 v40, 0x7070707, v30
	v_and_b32_e32 v29, 0x4040404, v29
	v_lshrrev_b32_e32 v30, 1, v30
	v_perm_b32 v39, s26, v24, v38
	v_perm_b32 v38, s27, v25, v38
	v_or_b32_e32 v29, 0x3020100, v29
	v_and_b32_e32 v30, 0x4040404, v30
	v_perm_b32 v41, s26, v24, v40
	v_perm_b32 v40, s27, v25, v40
	;; [unrolled: 1-line block ×3, first 2 shown]
	v_or_b32_e32 v30, 0x3020100, v30
	v_perm_b32 v30, v40, v41, v30
	v_dot4_i32_i8 v31, v29, v33, v31
	v_dot4_i32_i8 v38, v30, v37, v31
	global_load_ubyte v31, v[34:35], off
	v_cvt_f32_i32_e32 v35, v38
	s_waitcnt vmcnt(0)
	v_cmp_ne_u32_e32 vcc, 0, v31
	v_lshlrev_b32_e32 v31, 23, v31
	v_mul_f32_e32 v31, 0.5, v31
	v_cndmask_b32_e32 v31, v26, v31, vcc
	v_mul_f32_e32 v34, v31, v42
	v_fmac_f32_e32 v19, v34, v35
	v_add_u32_e32 v34, s0, v20
	v_mad_i64_i32 v[38:39], s[28:29], v34, 17, s[20:21]
	v_add_co_u32_e32 v34, vcc, v38, v21
	v_addc_co_u32_e32 v35, vcc, 0, v39, vcc
	global_load_dwordx2 v[40:41], v[34:35], off offset:1
	s_waitcnt vmcnt(0)
	v_ashrrev_i32_e32 v35, 4, v40
	v_and_b32_e32 v34, 0x7070707, v40
	v_lshrrev_b32_e32 v40, 1, v40
	v_and_b32_e32 v44, 0x7070707, v35
	v_and_b32_e32 v40, 0x4040404, v40
	v_lshrrev_b32_e32 v35, 1, v35
	v_perm_b32 v43, s26, v24, v34
	v_perm_b32 v34, s27, v25, v34
	v_or_b32_e32 v40, 0x3020100, v40
	v_and_b32_e32 v35, 0x4040404, v35
	v_perm_b32 v45, s26, v24, v44
	v_perm_b32 v44, s27, v25, v44
	;; [unrolled: 1-line block ×3, first 2 shown]
	v_or_b32_e32 v35, 0x3020100, v35
	v_perm_b32 v35, v44, v45, v35
	v_dot4_i32_i8 v32, v34, v32, 0
	v_dot4_i32_i8 v40, v35, v36, v32
	v_ashrrev_i32_e32 v32, 4, v41
	v_and_b32_e32 v36, 0x7070707, v41
	v_lshrrev_b32_e32 v41, 1, v41
	v_and_b32_e32 v44, 0x7070707, v32
	v_and_b32_e32 v41, 0x4040404, v41
	v_lshrrev_b32_e32 v32, 1, v32
	v_perm_b32 v43, s26, v24, v36
	v_perm_b32 v36, s27, v25, v36
	v_or_b32_e32 v41, 0x3020100, v41
	v_and_b32_e32 v32, 0x4040404, v32
	v_perm_b32 v45, s26, v24, v44
	v_perm_b32 v44, s27, v25, v44
	;; [unrolled: 1-line block ×3, first 2 shown]
	v_or_b32_e32 v32, 0x3020100, v32
	v_perm_b32 v32, v44, v45, v32
	v_dot4_i32_i8 v33, v36, v33, v40
	v_dot4_i32_i8 v37, v32, v37, v33
	global_load_ubyte v33, v[38:39], off
	v_cvt_f32_i32_e32 v37, v37
	s_waitcnt vmcnt(0)
	v_cmp_ne_u32_e32 vcc, 0, v33
	v_lshlrev_b32_e32 v33, 23, v33
	v_mul_f32_e32 v33, 0.5, v33
	v_cndmask_b32_e32 v33, v26, v33, vcc
	v_mul_f32_e32 v38, v33, v42
	v_fmac_f32_e32 v18, v38, v37
	v_add_u32_e32 v37, s1, v20
	v_mad_u64_u32 v[37:38], s[28:29], v37, 36, s[22:23]
	v_add_co_u32_e32 v39, vcc, v37, v23
	v_addc_co_u32_e32 v40, vcc, 0, v38, vcc
	global_load_dwordx2 v[41:42], v[39:40], off offset:4
	global_load_dwordx2 v[43:44], v[39:40], off offset:20
	global_load_dword v45, v[37:38], off
	s_waitcnt vmcnt(2)
	v_dot4_i32_i8 v38, v27, v41, 0
	s_waitcnt vmcnt(1)
	v_dot4_i32_i8 v38, v28, v43, v38
	v_dot4_i32_i8 v38, v29, v42, v38
	s_waitcnt vmcnt(0)
	v_cvt_f32_f16_e32 v37, v45
	v_dot4_i32_i8 v38, v30, v44, v38
	v_cvt_f32_i32_e32 v38, v38
	v_mul_f32_e32 v39, v31, v37
	v_mul_f32_e32 v37, v33, v37
	v_fmac_f32_e32 v17, v39, v38
	v_dot4_i32_i8 v38, v34, v41, 0
	v_dot4_i32_i8 v38, v35, v43, v38
	v_dot4_i32_i8 v38, v36, v42, v38
	v_dot4_i32_i8 v38, v32, v44, v38
	v_cvt_f32_i32_e32 v38, v38
	v_fmac_f32_e32 v16, v37, v38
	v_add_u32_e32 v37, s15, v20
	v_mad_u64_u32 v[37:38], s[28:29], v37, 36, s[22:23]
	v_add_co_u32_e32 v39, vcc, v37, v23
	v_addc_co_u32_e32 v40, vcc, 0, v38, vcc
	global_load_dwordx2 v[41:42], v[39:40], off offset:4
	global_load_dwordx2 v[43:44], v[39:40], off offset:20
	global_load_dword v45, v[37:38], off
	s_waitcnt vmcnt(2)
	v_dot4_i32_i8 v38, v27, v41, 0
	s_waitcnt vmcnt(1)
	v_dot4_i32_i8 v38, v28, v43, v38
	v_dot4_i32_i8 v38, v29, v42, v38
	s_waitcnt vmcnt(0)
	v_cvt_f32_f16_e32 v37, v45
	v_dot4_i32_i8 v38, v30, v44, v38
	v_cvt_f32_i32_e32 v38, v38
	v_mul_f32_e32 v39, v31, v37
	v_mul_f32_e32 v37, v33, v37
	v_fmac_f32_e32 v15, v39, v38
	v_dot4_i32_i8 v38, v34, v41, 0
	v_dot4_i32_i8 v38, v35, v43, v38
	v_dot4_i32_i8 v38, v36, v42, v38
	v_dot4_i32_i8 v38, v32, v44, v38
	v_cvt_f32_i32_e32 v38, v38
	;; [unrolled: 25-line block ×6, first 2 shown]
	v_fmac_f32_e32 v6, v37, v38
	v_add_u32_e32 v37, s25, v20
	v_mad_u64_u32 v[37:38], s[28:29], v37, 36, s[22:23]
	v_add_u32_e32 v20, 32, v20
	v_add_co_u32_e32 v39, vcc, v37, v23
	v_addc_co_u32_e32 v40, vcc, 0, v38, vcc
	global_load_dwordx2 v[41:42], v[39:40], off offset:4
	global_load_dwordx2 v[43:44], v[39:40], off offset:20
	global_load_dword v45, v[37:38], off
	v_add_co_u32_e32 v2, vcc, 0x480, v2
	v_addc_co_u32_e32 v3, vcc, 0, v3, vcc
	v_cmp_le_u32_e32 vcc, s9, v20
	s_or_b64 s[12:13], vcc, s[12:13]
	s_waitcnt vmcnt(2)
	v_dot4_i32_i8 v27, v27, v41, 0
	s_waitcnt vmcnt(1)
	v_dot4_i32_i8 v27, v28, v43, v27
	v_dot4_i32_i8 v27, v29, v42, v27
	s_waitcnt vmcnt(0)
	v_cvt_f32_f16_e32 v37, v45
	v_dot4_i32_i8 v27, v30, v44, v27
	v_cvt_f32_i32_e32 v27, v27
	v_mul_f32_e32 v28, v31, v37
	v_fmac_f32_e32 v5, v28, v27
	v_dot4_i32_i8 v27, v34, v41, 0
	v_dot4_i32_i8 v27, v35, v43, v27
	;; [unrolled: 1-line block ×4, first 2 shown]
	v_cvt_f32_i32_e32 v27, v27
	v_mul_f32_e32 v28, v33, v37
	v_fmac_f32_e32 v4, v28, v27
	s_andn2_b64 exec, exec, s[12:13]
	s_cbranch_execnz .LBB83_2
; %bb.3:
	s_or_b64 exec, exec, s[12:13]
.LBB83_4:
	s_or_b64 exec, exec, s[10:11]
	s_mov_b32 s1, 0
	v_cmp_eq_u32_e32 vcc, 0, v1
	; wave barrier
	s_and_saveexec_b64 s[10:11], vcc
	s_cbranch_execz .LBB83_21
; %bb.5:
	v_mbcnt_lo_u32_b32 v1, -1, 0
	v_mbcnt_hi_u32_b32 v21, -1, v1
	v_and_b32_e32 v1, 64, v21
	v_add_u32_e32 v22, 64, v1
	v_xor_b32_e32 v1, 32, v21
	v_cmp_lt_i32_e32 vcc, v1, v22
	v_cndmask_b32_e32 v1, v21, v1, vcc
	v_lshlrev_b32_e32 v1, 2, v1
	ds_bpermute_b32 v23, v1, v19
	ds_bpermute_b32 v24, v1, v18
	v_xor_b32_e32 v2, 16, v21
	v_cmp_lt_i32_e32 vcc, v2, v22
	v_cndmask_b32_e32 v2, v21, v2, vcc
	v_lshlrev_b32_e32 v2, 2, v2
	s_waitcnt lgkmcnt(1)
	v_add_f32_e32 v19, v19, v23
	s_waitcnt lgkmcnt(0)
	v_add_f32_e32 v18, v18, v24
	ds_bpermute_b32 v23, v2, v19
	ds_bpermute_b32 v24, v2, v18
	v_xor_b32_e32 v3, 8, v21
	v_cmp_lt_i32_e32 vcc, v3, v22
	v_cndmask_b32_e32 v3, v21, v3, vcc
	v_lshlrev_b32_e32 v3, 2, v3
	s_waitcnt lgkmcnt(1)
	v_add_f32_e32 v19, v19, v23
	s_waitcnt lgkmcnt(0)
	v_add_f32_e32 v24, v18, v24
	;; [unrolled: 10-line block ×3, first 2 shown]
	ds_bpermute_b32 v23, v20, v19
	ds_bpermute_b32 v26, v20, v24
	v_xor_b32_e32 v25, 2, v21
	v_cmp_lt_i32_e32 vcc, v25, v22
	v_cndmask_b32_e32 v25, v21, v25, vcc
	v_lshlrev_b32_e32 v18, 2, v25
	v_xor_b32_e32 v25, 1, v21
	v_cmp_lt_i32_e32 vcc, v25, v22
	s_waitcnt lgkmcnt(1)
	v_add_f32_e32 v19, v19, v23
	s_waitcnt lgkmcnt(0)
	v_add_f32_e32 v24, v24, v26
	v_cndmask_b32_e32 v21, v21, v25, vcc
	ds_bpermute_b32 v23, v18, v19
	ds_bpermute_b32 v25, v18, v24
	s_load_dwordx2 s[4:5], s[4:5], 0x38
	s_mul_i32 s3, s14, s7
	v_lshlrev_b32_e32 v22, 2, v21
	s_waitcnt lgkmcnt(0)
	v_add_f32_e32 v19, v19, v23
	v_add_f32_e32 v23, v24, v25
	s_mul_i32 s0, s18, s8
	s_add_i32 s3, s3, s6
	ds_bpermute_b32 v21, v22, v19
	ds_bpermute_b32 v24, v22, v23
	s_add_i32 s0, s3, s0
	s_lshl_b64 s[0:1], s[0:1], 2
	s_add_u32 s4, s4, s0
	v_add_u32_e32 v25, s6, v0
	s_addc_u32 s5, s5, s1
	v_cmp_gt_u32_e32 vcc, 2, v0
	v_cmp_gt_u32_e64 s[0:1], s2, v25
	s_and_b64 s[0:1], vcc, s[0:1]
	s_waitcnt lgkmcnt(1)
	v_add_f32_e32 v19, v19, v21
	s_waitcnt lgkmcnt(0)
	v_add_f32_e32 v21, v23, v24
	s_and_saveexec_b64 s[6:7], s[0:1]
	s_cbranch_execz .LBB83_7
; %bb.6:
	v_cmp_eq_u32_e32 vcc, 1, v0
	v_cndmask_b32_e32 v23, v19, v21, vcc
	v_cmp_eq_u32_e32 vcc, 2, v0
	v_cndmask_b32_e32 v23, v23, v17, vcc
	;; [unrolled: 2-line block ×15, first 2 shown]
	v_lshlrev_b32_e32 v24, 2, v0
	global_store_dword v24, v23, s[4:5]
.LBB83_7:
	s_or_b64 exec, exec, s[6:7]
	ds_bpermute_b32 v23, v1, v17
	ds_bpermute_b32 v24, v1, v16
	s_waitcnt lgkmcnt(1)
	v_add_f32_e32 v17, v17, v23
	s_waitcnt lgkmcnt(0)
	v_add_f32_e32 v16, v16, v24
	ds_bpermute_b32 v23, v2, v17
	ds_bpermute_b32 v24, v2, v16
	s_waitcnt lgkmcnt(1)
	v_add_f32_e32 v17, v17, v23
	s_waitcnt lgkmcnt(0)
	v_add_f32_e32 v16, v16, v24
	;; [unrolled: 6-line block ×6, first 2 shown]
	s_and_saveexec_b64 s[6:7], s[0:1]
	s_cbranch_execz .LBB83_9
; %bb.8:
	v_add_u32_e32 v23, 2, v0
	v_cmp_eq_u32_e32 vcc, 1, v23
	v_cndmask_b32_e32 v24, v19, v21, vcc
	v_cmp_eq_u32_e32 vcc, 2, v23
	v_cndmask_b32_e32 v24, v24, v17, vcc
	;; [unrolled: 2-line block ×15, first 2 shown]
	v_add_u32_e32 v23, s2, v0
	v_mov_b32_e32 v24, 0
	v_lshlrev_b64 v[23:24], 2, v[23:24]
	v_mov_b32_e32 v26, s5
	v_add_co_u32_e32 v23, vcc, s4, v23
	v_addc_co_u32_e32 v24, vcc, v26, v24, vcc
	global_store_dword v[23:24], v25, off
.LBB83_9:
	s_or_b64 exec, exec, s[6:7]
	ds_bpermute_b32 v23, v1, v15
	ds_bpermute_b32 v24, v1, v14
	s_waitcnt lgkmcnt(1)
	v_add_f32_e32 v15, v15, v23
	s_waitcnt lgkmcnt(0)
	v_add_f32_e32 v14, v14, v24
	ds_bpermute_b32 v23, v2, v15
	ds_bpermute_b32 v24, v2, v14
	s_waitcnt lgkmcnt(1)
	v_add_f32_e32 v15, v15, v23
	s_waitcnt lgkmcnt(0)
	v_add_f32_e32 v14, v14, v24
	;; [unrolled: 6-line block ×6, first 2 shown]
	s_and_saveexec_b64 s[6:7], s[0:1]
	s_cbranch_execz .LBB83_11
; %bb.10:
	v_add_u32_e32 v23, 4, v0
	v_cmp_eq_u32_e32 vcc, 1, v23
	v_cndmask_b32_e32 v24, v19, v21, vcc
	v_cmp_eq_u32_e32 vcc, 2, v23
	v_cndmask_b32_e32 v24, v24, v17, vcc
	;; [unrolled: 2-line block ×15, first 2 shown]
	v_lshl_or_b32 v23, s2, 1, v0
	v_mov_b32_e32 v24, 0
	v_lshlrev_b64 v[23:24], 2, v[23:24]
	v_mov_b32_e32 v26, s5
	v_add_co_u32_e32 v23, vcc, s4, v23
	v_addc_co_u32_e32 v24, vcc, v26, v24, vcc
	global_store_dword v[23:24], v25, off
.LBB83_11:
	s_or_b64 exec, exec, s[6:7]
	ds_bpermute_b32 v23, v1, v13
	ds_bpermute_b32 v24, v1, v12
	s_waitcnt lgkmcnt(1)
	v_add_f32_e32 v13, v13, v23
	s_waitcnt lgkmcnt(0)
	v_add_f32_e32 v12, v12, v24
	ds_bpermute_b32 v23, v2, v13
	ds_bpermute_b32 v24, v2, v12
	s_waitcnt lgkmcnt(1)
	v_add_f32_e32 v13, v13, v23
	s_waitcnt lgkmcnt(0)
	v_add_f32_e32 v12, v12, v24
	;; [unrolled: 6-line block ×6, first 2 shown]
	s_and_saveexec_b64 s[6:7], s[0:1]
	s_cbranch_execz .LBB83_13
; %bb.12:
	v_add_u32_e32 v25, 6, v0
	v_cmp_eq_u32_e32 vcc, 1, v25
	v_cndmask_b32_e32 v23, v19, v21, vcc
	v_cmp_eq_u32_e32 vcc, 2, v25
	v_cndmask_b32_e32 v23, v23, v17, vcc
	;; [unrolled: 2-line block ×14, first 2 shown]
	v_mad_u64_u32 v[23:24], s[8:9], s2, 3, v[0:1]
	v_mov_b32_e32 v24, 0
	v_cmp_eq_u32_e32 vcc, 15, v25
	v_lshlrev_b64 v[23:24], 2, v[23:24]
	v_cndmask_b32_e32 v25, v26, v4, vcc
	v_mov_b32_e32 v26, s5
	v_add_co_u32_e32 v23, vcc, s4, v23
	v_addc_co_u32_e32 v24, vcc, v26, v24, vcc
	global_store_dword v[23:24], v25, off
.LBB83_13:
	s_or_b64 exec, exec, s[6:7]
	ds_bpermute_b32 v23, v1, v11
	ds_bpermute_b32 v24, v1, v10
	s_waitcnt lgkmcnt(1)
	v_add_f32_e32 v11, v11, v23
	s_waitcnt lgkmcnt(0)
	v_add_f32_e32 v10, v10, v24
	ds_bpermute_b32 v23, v2, v11
	ds_bpermute_b32 v24, v2, v10
	s_waitcnt lgkmcnt(1)
	v_add_f32_e32 v11, v11, v23
	s_waitcnt lgkmcnt(0)
	v_add_f32_e32 v10, v10, v24
	ds_bpermute_b32 v23, v3, v11
	ds_bpermute_b32 v24, v3, v10
	s_waitcnt lgkmcnt(1)
	v_add_f32_e32 v11, v11, v23
	s_waitcnt lgkmcnt(0)
	v_add_f32_e32 v10, v10, v24
	ds_bpermute_b32 v23, v20, v11
	ds_bpermute_b32 v24, v20, v10
	s_waitcnt lgkmcnt(1)
	v_add_f32_e32 v11, v11, v23
	s_waitcnt lgkmcnt(0)
	v_add_f32_e32 v10, v10, v24
	ds_bpermute_b32 v23, v18, v11
	ds_bpermute_b32 v24, v18, v10
	s_waitcnt lgkmcnt(1)
	v_add_f32_e32 v11, v11, v23
	s_waitcnt lgkmcnt(0)
	v_add_f32_e32 v10, v10, v24
	ds_bpermute_b32 v23, v22, v11
	ds_bpermute_b32 v24, v22, v10
	s_waitcnt lgkmcnt(1)
	v_add_f32_e32 v11, v11, v23
	s_waitcnt lgkmcnt(0)
	v_add_f32_e32 v10, v10, v24
	s_and_saveexec_b64 s[6:7], s[0:1]
	s_cbranch_execz .LBB83_15
; %bb.14:
	v_add_u32_e32 v23, 8, v0
	v_cmp_eq_u32_e32 vcc, 1, v23
	v_cndmask_b32_e32 v24, v19, v21, vcc
	v_cmp_eq_u32_e32 vcc, 2, v23
	v_cndmask_b32_e32 v24, v24, v17, vcc
	v_cmp_eq_u32_e32 vcc, 3, v23
	v_cndmask_b32_e32 v24, v24, v16, vcc
	v_cmp_eq_u32_e32 vcc, 4, v23
	v_cndmask_b32_e32 v24, v24, v15, vcc
	v_cmp_eq_u32_e32 vcc, 5, v23
	v_cndmask_b32_e32 v24, v24, v14, vcc
	v_cmp_eq_u32_e32 vcc, 6, v23
	v_cndmask_b32_e32 v24, v24, v13, vcc
	v_cmp_eq_u32_e32 vcc, 7, v23
	v_cndmask_b32_e32 v24, v24, v12, vcc
	v_cmp_eq_u32_e32 vcc, 8, v23
	v_cndmask_b32_e32 v24, v24, v11, vcc
	v_cmp_eq_u32_e32 vcc, 9, v23
	v_cndmask_b32_e32 v24, v24, v10, vcc
	v_cmp_eq_u32_e32 vcc, 10, v23
	v_cndmask_b32_e32 v24, v24, v9, vcc
	v_cmp_eq_u32_e32 vcc, 11, v23
	v_cndmask_b32_e32 v24, v24, v8, vcc
	v_cmp_eq_u32_e32 vcc, 12, v23
	v_cndmask_b32_e32 v24, v24, v7, vcc
	v_cmp_eq_u32_e32 vcc, 13, v23
	v_cndmask_b32_e32 v24, v24, v6, vcc
	v_cmp_eq_u32_e32 vcc, 14, v23
	v_cndmask_b32_e32 v24, v24, v5, vcc
	v_cmp_eq_u32_e32 vcc, 15, v23
	v_cndmask_b32_e32 v25, v24, v4, vcc
	v_lshl_or_b32 v23, s2, 2, v0
	v_mov_b32_e32 v24, 0
	v_lshlrev_b64 v[23:24], 2, v[23:24]
	v_mov_b32_e32 v26, s5
	v_add_co_u32_e32 v23, vcc, s4, v23
	v_addc_co_u32_e32 v24, vcc, v26, v24, vcc
	global_store_dword v[23:24], v25, off
.LBB83_15:
	s_or_b64 exec, exec, s[6:7]
	ds_bpermute_b32 v23, v1, v9
	ds_bpermute_b32 v24, v1, v8
	s_waitcnt lgkmcnt(1)
	v_add_f32_e32 v9, v9, v23
	s_waitcnt lgkmcnt(0)
	v_add_f32_e32 v8, v8, v24
	ds_bpermute_b32 v23, v2, v9
	ds_bpermute_b32 v24, v2, v8
	s_waitcnt lgkmcnt(1)
	v_add_f32_e32 v9, v9, v23
	s_waitcnt lgkmcnt(0)
	v_add_f32_e32 v8, v8, v24
	;; [unrolled: 6-line block ×6, first 2 shown]
	s_and_saveexec_b64 s[6:7], s[0:1]
	s_cbranch_execz .LBB83_17
; %bb.16:
	v_add_u32_e32 v25, 10, v0
	v_cmp_eq_u32_e32 vcc, 1, v25
	v_cndmask_b32_e32 v23, v19, v21, vcc
	v_cmp_eq_u32_e32 vcc, 2, v25
	v_cndmask_b32_e32 v23, v23, v17, vcc
	v_cmp_eq_u32_e32 vcc, 3, v25
	v_cndmask_b32_e32 v23, v23, v16, vcc
	v_cmp_eq_u32_e32 vcc, 4, v25
	v_cndmask_b32_e32 v23, v23, v15, vcc
	v_cmp_eq_u32_e32 vcc, 5, v25
	v_cndmask_b32_e32 v23, v23, v14, vcc
	v_cmp_eq_u32_e32 vcc, 6, v25
	v_cndmask_b32_e32 v23, v23, v13, vcc
	v_cmp_eq_u32_e32 vcc, 7, v25
	v_cndmask_b32_e32 v23, v23, v12, vcc
	v_cmp_eq_u32_e32 vcc, 8, v25
	v_cndmask_b32_e32 v23, v23, v11, vcc
	v_cmp_eq_u32_e32 vcc, 9, v25
	v_cndmask_b32_e32 v23, v23, v10, vcc
	v_cmp_eq_u32_e32 vcc, 10, v25
	v_cndmask_b32_e32 v23, v23, v9, vcc
	v_cmp_eq_u32_e32 vcc, 11, v25
	v_cndmask_b32_e32 v23, v23, v8, vcc
	v_cmp_eq_u32_e32 vcc, 12, v25
	v_cndmask_b32_e32 v23, v23, v7, vcc
	v_cmp_eq_u32_e32 vcc, 13, v25
	v_cndmask_b32_e32 v23, v23, v6, vcc
	v_cmp_eq_u32_e32 vcc, 14, v25
	v_cndmask_b32_e32 v26, v23, v5, vcc
	v_mad_u64_u32 v[23:24], s[8:9], s2, 5, v[0:1]
	v_mov_b32_e32 v24, 0
	v_cmp_eq_u32_e32 vcc, 15, v25
	v_lshlrev_b64 v[23:24], 2, v[23:24]
	v_cndmask_b32_e32 v25, v26, v4, vcc
	v_mov_b32_e32 v26, s5
	v_add_co_u32_e32 v23, vcc, s4, v23
	v_addc_co_u32_e32 v24, vcc, v26, v24, vcc
	global_store_dword v[23:24], v25, off
.LBB83_17:
	s_or_b64 exec, exec, s[6:7]
	ds_bpermute_b32 v23, v1, v7
	ds_bpermute_b32 v24, v1, v6
	s_waitcnt lgkmcnt(1)
	v_add_f32_e32 v7, v7, v23
	s_waitcnt lgkmcnt(0)
	v_add_f32_e32 v6, v6, v24
	ds_bpermute_b32 v23, v2, v7
	ds_bpermute_b32 v24, v2, v6
	s_waitcnt lgkmcnt(1)
	v_add_f32_e32 v7, v7, v23
	s_waitcnt lgkmcnt(0)
	v_add_f32_e32 v6, v6, v24
	;; [unrolled: 6-line block ×6, first 2 shown]
	s_and_saveexec_b64 s[6:7], s[0:1]
	s_cbranch_execz .LBB83_19
; %bb.18:
	v_add_u32_e32 v23, 12, v0
	v_cmp_eq_u32_e32 vcc, 1, v23
	v_cndmask_b32_e32 v24, v19, v21, vcc
	v_cmp_eq_u32_e32 vcc, 2, v23
	v_cndmask_b32_e32 v24, v24, v17, vcc
	;; [unrolled: 2-line block ×14, first 2 shown]
	v_cmp_eq_u32_e32 vcc, 15, v23
	s_mul_i32 s3, s2, 6
	v_cndmask_b32_e32 v25, v24, v4, vcc
	v_or_b32_e32 v23, s3, v0
	v_mov_b32_e32 v24, 0
	v_lshlrev_b64 v[23:24], 2, v[23:24]
	v_mov_b32_e32 v26, s5
	v_add_co_u32_e32 v23, vcc, s4, v23
	v_addc_co_u32_e32 v24, vcc, v26, v24, vcc
	global_store_dword v[23:24], v25, off
.LBB83_19:
	s_or_b64 exec, exec, s[6:7]
	ds_bpermute_b32 v23, v1, v5
	ds_bpermute_b32 v1, v1, v4
	s_waitcnt lgkmcnt(1)
	v_add_f32_e32 v5, v5, v23
	s_waitcnt lgkmcnt(0)
	v_add_f32_e32 v1, v4, v1
	ds_bpermute_b32 v4, v2, v5
	ds_bpermute_b32 v2, v2, v1
	s_waitcnt lgkmcnt(1)
	v_add_f32_e32 v4, v5, v4
	s_waitcnt lgkmcnt(0)
	v_add_f32_e32 v1, v1, v2
	;; [unrolled: 6-line block ×5, first 2 shown]
	ds_bpermute_b32 v3, v22, v1
	ds_bpermute_b32 v4, v22, v2
	s_and_b64 exec, exec, s[0:1]
	s_cbranch_execz .LBB83_21
; %bb.20:
	s_waitcnt lgkmcnt(1)
	v_add_f32_e32 v1, v1, v3
	v_add_u32_e32 v3, 14, v0
	v_cmp_eq_u32_e32 vcc, 1, v3
	s_waitcnt lgkmcnt(0)
	v_add_f32_e32 v2, v2, v4
	v_cndmask_b32_e32 v4, v19, v21, vcc
	v_cmp_eq_u32_e32 vcc, 2, v3
	v_cndmask_b32_e32 v4, v4, v17, vcc
	v_cmp_eq_u32_e32 vcc, 3, v3
	;; [unrolled: 2-line block ×13, first 2 shown]
	v_cndmask_b32_e32 v4, v4, v1, vcc
	v_mad_u64_u32 v[0:1], s[0:1], s2, 7, v[0:1]
	v_mov_b32_e32 v1, 0
	v_cmp_eq_u32_e32 vcc, 15, v3
	v_lshlrev_b64 v[0:1], 2, v[0:1]
	v_cndmask_b32_e32 v2, v4, v2, vcc
	v_mov_b32_e32 v3, s5
	v_add_co_u32_e32 v0, vcc, s4, v0
	v_addc_co_u32_e32 v1, vcc, v3, v1, vcc
	global_store_dword v[0:1], v2, off
.LBB83_21:
	s_endpgm
	.section	.rodata,"a",@progbits
	.p2align	6, 0x0
	.amdhsa_kernel _ZL13mul_mat_vec_qIL9ggml_type39ELi8ELb0ELb0EEvPKvS2_PKi31ggml_cuda_mm_fusion_args_devicePfj15HIP_vector_typeIjLj3EEjjjS8_jjjS8_jjjj
		.amdhsa_group_segment_fixed_size 0
		.amdhsa_private_segment_fixed_size 0
		.amdhsa_kernarg_size 144
		.amdhsa_user_sgpr_count 6
		.amdhsa_user_sgpr_private_segment_buffer 1
		.amdhsa_user_sgpr_dispatch_ptr 0
		.amdhsa_user_sgpr_queue_ptr 0
		.amdhsa_user_sgpr_kernarg_segment_ptr 1
		.amdhsa_user_sgpr_dispatch_id 0
		.amdhsa_user_sgpr_flat_scratch_init 0
		.amdhsa_user_sgpr_private_segment_size 0
		.amdhsa_uses_dynamic_stack 0
		.amdhsa_system_sgpr_private_segment_wavefront_offset 0
		.amdhsa_system_sgpr_workgroup_id_x 1
		.amdhsa_system_sgpr_workgroup_id_y 1
		.amdhsa_system_sgpr_workgroup_id_z 1
		.amdhsa_system_sgpr_workgroup_info 0
		.amdhsa_system_vgpr_workitem_id 1
		.amdhsa_next_free_vgpr 46
		.amdhsa_next_free_sgpr 30
		.amdhsa_reserve_vcc 1
		.amdhsa_reserve_flat_scratch 0
		.amdhsa_float_round_mode_32 0
		.amdhsa_float_round_mode_16_64 0
		.amdhsa_float_denorm_mode_32 3
		.amdhsa_float_denorm_mode_16_64 3
		.amdhsa_dx10_clamp 1
		.amdhsa_ieee_mode 1
		.amdhsa_fp16_overflow 0
		.amdhsa_exception_fp_ieee_invalid_op 0
		.amdhsa_exception_fp_denorm_src 0
		.amdhsa_exception_fp_ieee_div_zero 0
		.amdhsa_exception_fp_ieee_overflow 0
		.amdhsa_exception_fp_ieee_underflow 0
		.amdhsa_exception_fp_ieee_inexact 0
		.amdhsa_exception_int_div_zero 0
	.end_amdhsa_kernel
	.section	.text._ZL13mul_mat_vec_qIL9ggml_type39ELi8ELb0ELb0EEvPKvS2_PKi31ggml_cuda_mm_fusion_args_devicePfj15HIP_vector_typeIjLj3EEjjjS8_jjjS8_jjjj,"axG",@progbits,_ZL13mul_mat_vec_qIL9ggml_type39ELi8ELb0ELb0EEvPKvS2_PKi31ggml_cuda_mm_fusion_args_devicePfj15HIP_vector_typeIjLj3EEjjjS8_jjjS8_jjjj,comdat
.Lfunc_end83:
	.size	_ZL13mul_mat_vec_qIL9ggml_type39ELi8ELb0ELb0EEvPKvS2_PKi31ggml_cuda_mm_fusion_args_devicePfj15HIP_vector_typeIjLj3EEjjjS8_jjjS8_jjjj, .Lfunc_end83-_ZL13mul_mat_vec_qIL9ggml_type39ELi8ELb0ELb0EEvPKvS2_PKi31ggml_cuda_mm_fusion_args_devicePfj15HIP_vector_typeIjLj3EEjjjS8_jjjS8_jjjj
                                        ; -- End function
	.set _ZL13mul_mat_vec_qIL9ggml_type39ELi8ELb0ELb0EEvPKvS2_PKi31ggml_cuda_mm_fusion_args_devicePfj15HIP_vector_typeIjLj3EEjjjS8_jjjS8_jjjj.num_vgpr, 46
	.set _ZL13mul_mat_vec_qIL9ggml_type39ELi8ELb0ELb0EEvPKvS2_PKi31ggml_cuda_mm_fusion_args_devicePfj15HIP_vector_typeIjLj3EEjjjS8_jjjS8_jjjj.num_agpr, 0
	.set _ZL13mul_mat_vec_qIL9ggml_type39ELi8ELb0ELb0EEvPKvS2_PKi31ggml_cuda_mm_fusion_args_devicePfj15HIP_vector_typeIjLj3EEjjjS8_jjjS8_jjjj.numbered_sgpr, 30
	.set _ZL13mul_mat_vec_qIL9ggml_type39ELi8ELb0ELb0EEvPKvS2_PKi31ggml_cuda_mm_fusion_args_devicePfj15HIP_vector_typeIjLj3EEjjjS8_jjjS8_jjjj.num_named_barrier, 0
	.set _ZL13mul_mat_vec_qIL9ggml_type39ELi8ELb0ELb0EEvPKvS2_PKi31ggml_cuda_mm_fusion_args_devicePfj15HIP_vector_typeIjLj3EEjjjS8_jjjS8_jjjj.private_seg_size, 0
	.set _ZL13mul_mat_vec_qIL9ggml_type39ELi8ELb0ELb0EEvPKvS2_PKi31ggml_cuda_mm_fusion_args_devicePfj15HIP_vector_typeIjLj3EEjjjS8_jjjS8_jjjj.uses_vcc, 1
	.set _ZL13mul_mat_vec_qIL9ggml_type39ELi8ELb0ELb0EEvPKvS2_PKi31ggml_cuda_mm_fusion_args_devicePfj15HIP_vector_typeIjLj3EEjjjS8_jjjS8_jjjj.uses_flat_scratch, 0
	.set _ZL13mul_mat_vec_qIL9ggml_type39ELi8ELb0ELb0EEvPKvS2_PKi31ggml_cuda_mm_fusion_args_devicePfj15HIP_vector_typeIjLj3EEjjjS8_jjjS8_jjjj.has_dyn_sized_stack, 0
	.set _ZL13mul_mat_vec_qIL9ggml_type39ELi8ELb0ELb0EEvPKvS2_PKi31ggml_cuda_mm_fusion_args_devicePfj15HIP_vector_typeIjLj3EEjjjS8_jjjS8_jjjj.has_recursion, 0
	.set _ZL13mul_mat_vec_qIL9ggml_type39ELi8ELb0ELb0EEvPKvS2_PKi31ggml_cuda_mm_fusion_args_devicePfj15HIP_vector_typeIjLj3EEjjjS8_jjjS8_jjjj.has_indirect_call, 0
	.section	.AMDGPU.csdata,"",@progbits
; Kernel info:
; codeLenInByte = 5276
; TotalNumSgprs: 34
; NumVgprs: 46
; ScratchSize: 0
; MemoryBound: 0
; FloatMode: 240
; IeeeMode: 1
; LDSByteSize: 0 bytes/workgroup (compile time only)
; SGPRBlocks: 4
; VGPRBlocks: 11
; NumSGPRsForWavesPerEU: 34
; NumVGPRsForWavesPerEU: 46
; Occupancy: 5
; WaveLimiterHint : 0
; COMPUTE_PGM_RSRC2:SCRATCH_EN: 0
; COMPUTE_PGM_RSRC2:USER_SGPR: 6
; COMPUTE_PGM_RSRC2:TRAP_HANDLER: 0
; COMPUTE_PGM_RSRC2:TGID_X_EN: 1
; COMPUTE_PGM_RSRC2:TGID_Y_EN: 1
; COMPUTE_PGM_RSRC2:TGID_Z_EN: 1
; COMPUTE_PGM_RSRC2:TIDIG_COMP_CNT: 1
	.section	.text._ZL17mul_mat_vec_q_moeIL9ggml_type40ELi2EEvPKvS2_PKiPfj15HIP_vector_typeIjLj3EEjjjjjjjjj,"axG",@progbits,_ZL17mul_mat_vec_q_moeIL9ggml_type40ELi2EEvPKvS2_PKiPfj15HIP_vector_typeIjLj3EEjjjjjjjjj,comdat
	.globl	_ZL17mul_mat_vec_q_moeIL9ggml_type40ELi2EEvPKvS2_PKiPfj15HIP_vector_typeIjLj3EEjjjjjjjjj ; -- Begin function _ZL17mul_mat_vec_q_moeIL9ggml_type40ELi2EEvPKvS2_PKiPfj15HIP_vector_typeIjLj3EEjjjjjjjjj
	.p2align	8
	.type	_ZL17mul_mat_vec_q_moeIL9ggml_type40ELi2EEvPKvS2_PKiPfj15HIP_vector_typeIjLj3EEjjjjjjjjj,@function
_ZL17mul_mat_vec_q_moeIL9ggml_type40ELi2EEvPKvS2_PKiPfj15HIP_vector_typeIjLj3EEjjjjjjjjj: ; @_ZL17mul_mat_vec_q_moeIL9ggml_type40ELi2EEvPKvS2_PKiPfj15HIP_vector_typeIjLj3EEjjjjjjjjj
; %bb.0:
	s_load_dwordx8 s[8:15], s[4:5], 0x30
	s_waitcnt lgkmcnt(0)
	v_cmp_gt_u32_e32 vcc, s15, v1
	s_and_saveexec_b64 s[0:1], vcc
	s_cbranch_execz .LBB84_31
; %bb.1:
	s_load_dword s1, s[4:5], 0x20
	s_load_dword s0, s[4:5], 0x50
	s_load_dwordx8 s[16:23], s[4:5], 0x0
	v_lshrrev_b32_e32 v23, 1, v0
	s_lshl_b32 s6, s6, 1
	s_waitcnt lgkmcnt(0)
	s_lshr_b32 s15, s1, 6
	v_cmp_gt_u32_e32 vcc, s15, v23
	v_mov_b32_e32 v24, 0
	v_mov_b32_e32 v10, 0
	s_and_saveexec_b64 s[24:25], vcc
	s_cbranch_execz .LBB84_29
; %bb.2:
	v_mul_lo_u32 v2, s0, v1
	v_mov_b32_e32 v10, 0
	v_mov_b32_e32 v4, s21
	s_load_dwordx4 s[0:3], s[4:5], 0x24
	v_add_u32_e32 v9, s7, v2
	v_lshlrev_b64 v[2:3], 2, v[9:10]
	v_lshrrev_b32_e32 v6, 1, v0
	v_add_co_u32_e32 v2, vcc, s20, v2
	v_addc_co_u32_e32 v3, vcc, v4, v3, vcc
	global_load_dword v4, v[2:3], off
	v_mul_lo_u32 v2, s10, v1
	v_lshlrev_b32_e32 v3, 2, v0
	v_and_b32_e32 v27, 4, v3
	s_waitcnt lgkmcnt(0)
	s_mul_hi_u32 s0, s0, s7
	v_mad_u64_u32 v[2:3], s[28:29], v2, 36, 0
	s_add_i32 s0, s7, s0
	s_movk_i32 s30, 0x48
	s_lshr_b32 s0, s0, s1
	s_mul_i32 s2, s0, s2
	v_mad_u64_u32 v[2:3], s[0:1], v6, s30, v[2:3]
	s_sub_i32 s0, s7, s2
	s_mul_i32 s0, s0, s13
	v_mad_u64_u32 v[2:3], s[0:1], s0, 36, v[2:3]
	v_and_b32_e32 v5, 1, v0
	v_mov_b32_e32 v7, s19
	v_mad_u64_u32 v[2:3], s[0:1], v5, 36, v[2:3]
	s_add_i32 s27, s6, 1
	s_mul_i32 s3, s6, s9
	v_add_co_u32_e32 v2, vcc, s18, v2
	v_addc_co_u32_e32 v3, vcc, v7, v3, vcc
	s_mul_i32 s2, s9, s27
	v_or_b32_e32 v5, 2, v27
	v_add_co_u32_e32 v11, vcc, 16, v2
	s_mov_b64 s[4:5], 0
	s_movk_i32 s10, 0x7e
	s_movk_i32 s19, 0x7f
	s_mov_b32 s20, 0x3e000000
	s_mov_b32 s21, 0xf4f8fafc
	;; [unrolled: 1-line block ×3, first 2 shown]
	v_mov_b32_e32 v25, 0xfdfeff00
	v_mov_b32_e32 v26, 0x3020100
	v_lshrrev_b32_e32 v28, 1, v27
	v_lshrrev_b32_e32 v29, 1, v5
	v_addc_co_u32_e32 v12, vcc, 0, v3, vcc
	v_mov_b32_e32 v24, v10
	s_waitcnt vmcnt(0)
	v_mul_lo_u32 v4, v4, s12
	v_add_u32_e32 v30, s3, v4
	v_add_u32_e32 v31, s2, v4
	s_branch .LBB84_4
.LBB84_3:                               ;   in Loop: Header=BB84_4 Depth=1
	s_or_b64 exec, exec, s[2:3]
	v_ashrrev_i32_e32 v22, 4, v18
	v_and_b32_e32 v36, 0x7070707, v22
	v_lshrrev_b32_e32 v22, 1, v22
	v_and_b32_e32 v22, 0x4040404, v22
	v_perm_b32 v37, s21, v25, v36
	v_perm_b32 v36, s26, v26, v36
	v_or_b32_e32 v22, 0x3020100, v22
	v_perm_b32 v22, v37, v36, v22
	v_and_b32_e32 v36, 0x7070707, v18
	v_lshrrev_b32_e32 v18, 1, v18
	v_and_b32_e32 v18, 0x4040404, v18
	v_perm_b32 v37, s21, v25, v36
	v_perm_b32 v36, s26, v26, v36
	v_or_b32_e32 v18, 0x3020100, v18
	v_perm_b32 v18, v37, v36, v18
	v_ashrrev_i32_e32 v36, 4, v17
	v_and_b32_e32 v37, 0x7070707, v36
	v_lshrrev_b32_e32 v36, 1, v36
	v_and_b32_e32 v36, 0x4040404, v36
	v_perm_b32 v38, s21, v25, v37
	v_perm_b32 v37, s26, v26, v37
	v_or_b32_e32 v36, 0x3020100, v36
	v_perm_b32 v36, v38, v37, v36
	v_and_b32_e32 v37, 0x7070707, v17
	v_lshrrev_b32_e32 v17, 1, v17
	v_and_b32_e32 v17, 0x4040404, v17
	v_perm_b32 v38, s21, v25, v37
	v_perm_b32 v37, s26, v26, v37
	v_or_b32_e32 v17, 0x3020100, v17
	v_perm_b32 v17, v38, v37, v17
	v_dot4_i32_i8 v17, v17, v3, 0
	v_dot4_i32_i8 v17, v36, v5, v17
	;; [unrolled: 1-line block ×3, first 2 shown]
	v_ashrrev_i32_e32 v18, 4, v14
	v_and_b32_e32 v36, 0x7070707, v18
	v_lshrrev_b32_e32 v18, 1, v18
	v_and_b32_e32 v18, 0x4040404, v18
	v_perm_b32 v37, s21, v25, v36
	v_perm_b32 v36, s26, v26, v36
	v_or_b32_e32 v18, 0x3020100, v18
	v_perm_b32 v18, v37, v36, v18
	v_and_b32_e32 v36, 0x7070707, v14
	v_lshrrev_b32_e32 v14, 1, v14
	v_and_b32_e32 v14, 0x4040404, v14
	v_perm_b32 v37, s21, v25, v36
	v_perm_b32 v36, s26, v26, v36
	v_or_b32_e32 v14, 0x3020100, v14
	v_perm_b32 v14, v37, v36, v14
	v_ashrrev_i32_e32 v36, 4, v13
	v_and_b32_e32 v37, 0x7070707, v36
	v_lshrrev_b32_e32 v36, 1, v36
	v_and_b32_e32 v36, 0x4040404, v36
	v_perm_b32 v38, s21, v25, v37
	v_perm_b32 v37, s26, v26, v37
	v_or_b32_e32 v36, 0x3020100, v36
	v_perm_b32 v36, v38, v37, v36
	v_and_b32_e32 v37, 0x7070707, v13
	v_lshrrev_b32_e32 v13, 1, v13
	v_and_b32_e32 v13, 0x4040404, v13
	v_perm_b32 v38, s21, v25, v37
	v_perm_b32 v37, s26, v26, v37
	v_or_b32_e32 v13, 0x3020100, v13
	v_perm_b32 v13, v38, v37, v13
	v_dot4_i32_i8 v13, v13, v7, 0
	v_dot4_i32_i8 v13, v36, v9, v13
	;; [unrolled: 1-line block ×3, first 2 shown]
	v_cvt_f32_f16_e32 v6, v6
	v_dot4_i32_i8 v13, v18, v2, v13
	v_cvt_f32_i32_e32 v13, v13
	v_dot4_i32_i8 v14, v22, v32, v17
	v_cvt_f32_i32_e32 v14, v14
	v_mul_f32_e32 v17, v33, v6
	v_fma_f32 v13, v17, v13, 0
	v_mul_f32_e32 v17, v35, v6
	v_fmac_f32_e32 v13, v17, v14
	v_add_f32_e32 v10, v10, v13
	s_waitcnt vmcnt(0)
	v_ashrrev_i32_e32 v13, 4, v20
	v_and_b32_e32 v14, 0x7070707, v13
	v_lshrrev_b32_e32 v13, 1, v13
	v_and_b32_e32 v13, 0x4040404, v13
	v_perm_b32 v17, s21, v25, v14
	v_perm_b32 v14, s26, v26, v14
	v_or_b32_e32 v13, 0x3020100, v13
	v_lshrrev_b32_e32 v18, 1, v20
	v_perm_b32 v13, v17, v14, v13
	v_and_b32_e32 v14, 0x7070707, v20
	v_and_b32_e32 v18, 0x4040404, v18
	v_perm_b32 v17, s21, v25, v14
	v_perm_b32 v14, s26, v26, v14
	v_or_b32_e32 v18, 0x3020100, v18
	v_perm_b32 v14, v17, v14, v18
	v_ashrrev_i32_e32 v17, 4, v19
	v_and_b32_e32 v18, 0x7070707, v17
	v_lshrrev_b32_e32 v17, 1, v17
	v_and_b32_e32 v17, 0x4040404, v17
	v_perm_b32 v20, s21, v25, v18
	v_perm_b32 v18, s26, v26, v18
	v_or_b32_e32 v17, 0x3020100, v17
	v_perm_b32 v17, v20, v18, v17
	v_and_b32_e32 v18, 0x7070707, v19
	v_lshrrev_b32_e32 v19, 1, v19
	v_and_b32_e32 v19, 0x4040404, v19
	v_perm_b32 v20, s21, v25, v18
	v_perm_b32 v18, s26, v26, v18
	v_or_b32_e32 v19, 0x3020100, v19
	v_perm_b32 v18, v20, v18, v19
	v_dot4_i32_i8 v3, v18, v3, 0
	v_dot4_i32_i8 v3, v17, v5, v3
	;; [unrolled: 1-line block ×3, first 2 shown]
	v_ashrrev_i32_e32 v4, 4, v16
	v_and_b32_e32 v5, 0x7070707, v4
	v_lshrrev_b32_e32 v4, 1, v4
	v_and_b32_e32 v4, 0x4040404, v4
	v_perm_b32 v14, s21, v25, v5
	v_perm_b32 v5, s26, v26, v5
	v_or_b32_e32 v4, 0x3020100, v4
	v_perm_b32 v4, v14, v5, v4
	v_and_b32_e32 v5, 0x7070707, v16
	v_lshrrev_b32_e32 v16, 1, v16
	v_and_b32_e32 v16, 0x4040404, v16
	v_perm_b32 v14, s21, v25, v5
	v_perm_b32 v5, s26, v26, v5
	v_or_b32_e32 v16, 0x3020100, v16
	v_perm_b32 v5, v14, v5, v16
	v_ashrrev_i32_e32 v14, 4, v15
	v_and_b32_e32 v16, 0x7070707, v14
	v_lshrrev_b32_e32 v14, 1, v14
	v_and_b32_e32 v14, 0x4040404, v14
	v_perm_b32 v17, s21, v25, v16
	v_perm_b32 v16, s26, v26, v16
	v_or_b32_e32 v14, 0x3020100, v14
	v_perm_b32 v14, v17, v16, v14
	v_and_b32_e32 v16, 0x7070707, v15
	v_lshrrev_b32_e32 v15, 1, v15
	v_and_b32_e32 v15, 0x4040404, v15
	v_perm_b32 v17, s21, v25, v16
	v_perm_b32 v16, s26, v26, v16
	v_or_b32_e32 v15, 0x3020100, v15
	v_perm_b32 v15, v17, v16, v15
	v_dot4_i32_i8 v7, v15, v7, 0
	v_dot4_i32_i8 v7, v14, v9, v7
	;; [unrolled: 1-line block ×4, first 2 shown]
	v_cvt_f32_i32_e32 v2, v2
	v_dot4_i32_i8 v3, v13, v32, v3
	v_cvt_f32_i32_e32 v3, v3
	v_mul_f32_e32 v4, v34, v6
	v_fma_f32 v2, v4, v2, 0
	v_mul_f32_e32 v4, v21, v6
	v_add_u32_e32 v23, 32, v23
	v_fmac_f32_e32 v2, v4, v3
	v_add_co_u32_e32 v11, vcc, 0x900, v11
	v_cmp_le_u32_e64 s[0:1], s15, v23
	v_add_f32_e32 v24, v24, v2
	s_or_b64 s[4:5], s[0:1], s[4:5]
	v_addc_co_u32_e32 v12, vcc, 0, v12, vcc
	s_andn2_b64 exec, exec, s[4:5]
	s_cbranch_execz .LBB84_28
.LBB84_4:                               ; =>This Inner Loop Header: Depth=1
	v_add_u32_e32 v2, v30, v23
	v_mad_i64_i32 v[17:18], s[0:1], v2, 36, s[16:17]
	v_lshlrev_b32_e32 v21, 2, v27
	global_load_dword v32, v[11:12], off offset:16
	v_add_co_u32_e32 v15, vcc, v17, v21
	v_addc_co_u32_e32 v16, vcc, 0, v18, vcc
	v_add_co_u32_e32 v33, vcc, v17, v28
	v_addc_co_u32_e32 v34, vcc, 0, v18, vcc
	global_load_dwordx2 v[13:14], v[15:16], off offset:4
	global_load_ubyte v19, v[33:34], off
	global_load_dwordx4 v[2:5], v[11:12], off
	global_load_dwordx4 v[6:9], v[11:12], off offset:-16
	s_mov_b64 s[0:1], 0
	s_waitcnt vmcnt(2)
	v_cmp_lt_i16_e32 vcc, s10, v19
	s_and_saveexec_b64 s[2:3], vcc
	s_xor_b64 s[2:3], exec, s[2:3]
	s_cbranch_execnz .LBB84_19
; %bb.5:                                ;   in Loop: Header=BB84_4 Depth=1
	s_andn2_saveexec_b64 s[2:3], s[2:3]
	s_cbranch_execnz .LBB84_20
.LBB84_6:                               ;   in Loop: Header=BB84_4 Depth=1
	s_or_b64 exec, exec, s[2:3]
	v_mov_b32_e32 v33, 0
	s_and_saveexec_b64 s[2:3], s[0:1]
	s_cbranch_execz .LBB84_8
.LBB84_7:                               ;   in Loop: Header=BB84_4 Depth=1
	v_and_b32_e32 v19, 0xffff, v19
	v_bfe_u32 v20, v19, 3, 4
	v_and_b32_e32 v19, 7, v19
	v_cvt_f32_ubyte0_e32 v19, v19
	v_fma_f32 v22, v19, s20, 1.0
	v_add_u32_e32 v33, -7, v20
	v_cmp_eq_u32_e32 vcc, 0, v20
	v_cndmask_b32_e32 v19, v22, v19, vcc
	v_cndmask_b32_e64 v20, v33, -9, vcc
	v_ldexp_f32 v19, v19, v20
	v_mul_f32_e32 v33, 0.5, v19
.LBB84_8:                               ;   in Loop: Header=BB84_4 Depth=1
	s_or_b64 exec, exec, s[2:3]
	v_add_co_u32_e32 v34, vcc, v17, v29
	v_addc_co_u32_e32 v35, vcc, 0, v18, vcc
	global_load_ubyte v19, v[34:35], off
	global_load_dwordx2 v[17:18], v[15:16], off offset:12
	s_mov_b64 s[0:1], 0
	s_waitcnt vmcnt(1)
	v_cmp_lt_i16_e32 vcc, s10, v19
	s_and_saveexec_b64 s[2:3], vcc
	s_xor_b64 s[2:3], exec, s[2:3]
	s_cbranch_execnz .LBB84_21
; %bb.9:                                ;   in Loop: Header=BB84_4 Depth=1
	s_andn2_saveexec_b64 s[2:3], s[2:3]
	s_cbranch_execnz .LBB84_22
.LBB84_10:                              ;   in Loop: Header=BB84_4 Depth=1
	s_or_b64 exec, exec, s[2:3]
	v_mov_b32_e32 v35, 0
	s_and_saveexec_b64 s[2:3], s[0:1]
	s_cbranch_execz .LBB84_12
.LBB84_11:                              ;   in Loop: Header=BB84_4 Depth=1
	v_and_b32_e32 v15, 0xffff, v19
	v_bfe_u32 v16, v15, 3, 4
	v_and_b32_e32 v15, 7, v15
	v_cvt_f32_ubyte0_e32 v15, v15
	v_fma_f32 v19, v15, s20, 1.0
	v_add_u32_e32 v20, -7, v16
	v_cmp_eq_u32_e32 vcc, 0, v16
	v_cndmask_b32_e32 v15, v19, v15, vcc
	v_cndmask_b32_e64 v16, v20, -9, vcc
	v_ldexp_f32 v15, v15, v16
	v_mul_f32_e32 v35, 0.5, v15
.LBB84_12:                              ;   in Loop: Header=BB84_4 Depth=1
	s_or_b64 exec, exec, s[2:3]
	v_add_u32_e32 v15, v31, v23
	v_mad_i64_i32 v[19:20], s[0:1], v15, 36, s[16:17]
	s_mov_b64 s[0:1], 0
	v_add_co_u32_e32 v15, vcc, v19, v28
	v_addc_co_u32_e32 v16, vcc, 0, v20, vcc
	v_add_co_u32_e32 v21, vcc, v19, v21
	global_load_ubyte v36, v[15:16], off
	v_addc_co_u32_e32 v22, vcc, 0, v20, vcc
	global_load_dwordx2 v[15:16], v[21:22], off offset:4
	s_waitcnt vmcnt(1)
	v_cmp_lt_i16_e32 vcc, s10, v36
	s_and_saveexec_b64 s[2:3], vcc
	s_xor_b64 s[2:3], exec, s[2:3]
	s_cbranch_execnz .LBB84_23
; %bb.13:                               ;   in Loop: Header=BB84_4 Depth=1
	s_andn2_saveexec_b64 s[2:3], s[2:3]
	s_cbranch_execnz .LBB84_24
.LBB84_14:                              ;   in Loop: Header=BB84_4 Depth=1
	s_or_b64 exec, exec, s[2:3]
	v_mov_b32_e32 v34, 0
	s_and_saveexec_b64 s[2:3], s[0:1]
	s_cbranch_execz .LBB84_16
.LBB84_15:                              ;   in Loop: Header=BB84_4 Depth=1
	v_and_b32_e32 v34, 0xffff, v36
	v_bfe_u32 v36, v34, 3, 4
	v_and_b32_e32 v34, 7, v34
	v_cvt_f32_ubyte0_e32 v34, v34
	v_fma_f32 v37, v34, s20, 1.0
	v_add_u32_e32 v38, -7, v36
	v_cmp_eq_u32_e32 vcc, 0, v36
	v_cndmask_b32_e32 v34, v37, v34, vcc
	v_cndmask_b32_e64 v36, v38, -9, vcc
	v_ldexp_f32 v34, v34, v36
	v_mul_f32_e32 v34, 0.5, v34
.LBB84_16:                              ;   in Loop: Header=BB84_4 Depth=1
	s_or_b64 exec, exec, s[2:3]
	v_add_co_u32_e32 v37, vcc, v19, v29
	v_addc_co_u32_e32 v38, vcc, 0, v20, vcc
	global_load_ubyte v36, v[37:38], off
	global_load_dwordx2 v[19:20], v[21:22], off offset:12
	s_mov_b64 s[0:1], 0
	s_waitcnt vmcnt(1)
	v_cmp_lt_i16_e32 vcc, s10, v36
	s_and_saveexec_b64 s[2:3], vcc
	s_xor_b64 s[2:3], exec, s[2:3]
	s_cbranch_execnz .LBB84_25
; %bb.17:                               ;   in Loop: Header=BB84_4 Depth=1
	s_andn2_saveexec_b64 s[2:3], s[2:3]
	s_cbranch_execnz .LBB84_26
.LBB84_18:                              ;   in Loop: Header=BB84_4 Depth=1
	s_or_b64 exec, exec, s[2:3]
	v_mov_b32_e32 v21, 0
	s_and_saveexec_b64 s[2:3], s[0:1]
	s_cbranch_execz .LBB84_3
	s_branch .LBB84_27
.LBB84_19:                              ;   in Loop: Header=BB84_4 Depth=1
	v_cmp_ne_u16_e32 vcc, s19, v19
	s_and_b64 s[0:1], vcc, exec
	s_andn2_saveexec_b64 s[2:3], s[2:3]
	s_cbranch_execz .LBB84_6
.LBB84_20:                              ;   in Loop: Header=BB84_4 Depth=1
	v_cmp_ne_u16_e32 vcc, 0, v19
	s_andn2_b64 s[0:1], s[0:1], exec
	s_and_b64 s[12:13], vcc, exec
	s_or_b64 s[0:1], s[0:1], s[12:13]
	s_or_b64 exec, exec, s[2:3]
	v_mov_b32_e32 v33, 0
	s_and_saveexec_b64 s[2:3], s[0:1]
	s_cbranch_execnz .LBB84_7
	s_branch .LBB84_8
.LBB84_21:                              ;   in Loop: Header=BB84_4 Depth=1
	v_cmp_ne_u16_e32 vcc, s19, v19
	s_and_b64 s[0:1], vcc, exec
	s_andn2_saveexec_b64 s[2:3], s[2:3]
	s_cbranch_execz .LBB84_10
.LBB84_22:                              ;   in Loop: Header=BB84_4 Depth=1
	v_cmp_ne_u16_e32 vcc, 0, v19
	s_andn2_b64 s[0:1], s[0:1], exec
	s_and_b64 s[12:13], vcc, exec
	s_or_b64 s[0:1], s[0:1], s[12:13]
	s_or_b64 exec, exec, s[2:3]
	v_mov_b32_e32 v35, 0
	s_and_saveexec_b64 s[2:3], s[0:1]
	s_cbranch_execnz .LBB84_11
	s_branch .LBB84_12
.LBB84_23:                              ;   in Loop: Header=BB84_4 Depth=1
	v_cmp_ne_u16_e32 vcc, s19, v36
	s_and_b64 s[0:1], vcc, exec
	s_andn2_saveexec_b64 s[2:3], s[2:3]
	s_cbranch_execz .LBB84_14
.LBB84_24:                              ;   in Loop: Header=BB84_4 Depth=1
	v_cmp_ne_u16_e32 vcc, 0, v36
	s_andn2_b64 s[0:1], s[0:1], exec
	s_and_b64 s[12:13], vcc, exec
	s_or_b64 s[0:1], s[0:1], s[12:13]
	s_or_b64 exec, exec, s[2:3]
	v_mov_b32_e32 v34, 0
	s_and_saveexec_b64 s[2:3], s[0:1]
	s_cbranch_execnz .LBB84_15
	s_branch .LBB84_16
.LBB84_25:                              ;   in Loop: Header=BB84_4 Depth=1
	v_cmp_ne_u16_e32 vcc, s19, v36
	s_and_b64 s[0:1], vcc, exec
	s_andn2_saveexec_b64 s[2:3], s[2:3]
	s_cbranch_execz .LBB84_18
.LBB84_26:                              ;   in Loop: Header=BB84_4 Depth=1
	v_cmp_ne_u16_e32 vcc, 0, v36
	s_andn2_b64 s[0:1], s[0:1], exec
	s_and_b64 s[12:13], vcc, exec
	s_or_b64 s[0:1], s[0:1], s[12:13]
	s_or_b64 exec, exec, s[2:3]
	v_mov_b32_e32 v21, 0
	s_and_saveexec_b64 s[2:3], s[0:1]
	s_cbranch_execz .LBB84_3
.LBB84_27:                              ;   in Loop: Header=BB84_4 Depth=1
	v_and_b32_e32 v21, 0xffff, v36
	v_bfe_u32 v22, v21, 3, 4
	v_and_b32_e32 v21, 7, v21
	v_cvt_f32_ubyte0_e32 v21, v21
	v_fma_f32 v36, v21, s20, 1.0
	v_add_u32_e32 v37, -7, v22
	v_cmp_eq_u32_e32 vcc, 0, v22
	v_cndmask_b32_e32 v21, v36, v21, vcc
	v_cndmask_b32_e64 v22, v37, -9, vcc
	v_ldexp_f32 v21, v21, v22
	v_mul_f32_e32 v21, 0.5, v21
	s_branch .LBB84_3
.LBB84_28:
	s_or_b64 exec, exec, s[4:5]
.LBB84_29:
	s_or_b64 exec, exec, s[24:25]
	v_mbcnt_lo_u32_b32 v2, -1, 0
	v_mbcnt_hi_u32_b32 v2, -1, v2
	v_and_b32_e32 v3, 64, v2
	v_add_u32_e32 v3, 64, v3
	v_xor_b32_e32 v4, 32, v2
	v_cmp_lt_i32_e32 vcc, v4, v3
	v_cndmask_b32_e32 v4, v2, v4, vcc
	v_lshlrev_b32_e32 v4, 2, v4
	ds_bpermute_b32 v7, v4, v10
	ds_bpermute_b32 v4, v4, v24
	v_xor_b32_e32 v5, 16, v2
	v_cmp_lt_i32_e32 vcc, v5, v3
	v_cndmask_b32_e32 v5, v2, v5, vcc
	v_lshlrev_b32_e32 v5, 2, v5
	s_waitcnt lgkmcnt(1)
	v_add_f32_e32 v7, v10, v7
	s_waitcnt lgkmcnt(0)
	v_add_f32_e32 v4, v24, v4
	ds_bpermute_b32 v9, v5, v7
	ds_bpermute_b32 v5, v5, v4
	v_xor_b32_e32 v6, 8, v2
	v_cmp_lt_i32_e32 vcc, v6, v3
	v_cndmask_b32_e32 v6, v2, v6, vcc
	v_lshlrev_b32_e32 v6, 2, v6
	s_waitcnt lgkmcnt(1)
	v_add_f32_e32 v7, v7, v9
	s_waitcnt lgkmcnt(0)
	v_add_f32_e32 v4, v4, v5
	ds_bpermute_b32 v9, v6, v7
	ds_bpermute_b32 v5, v6, v4
	v_xor_b32_e32 v8, 4, v2
	v_cmp_lt_i32_e32 vcc, v8, v3
	v_cndmask_b32_e32 v8, v2, v8, vcc
	v_lshlrev_b32_e32 v8, 2, v8
	s_waitcnt lgkmcnt(1)
	v_add_f32_e32 v7, v7, v9
	s_waitcnt lgkmcnt(0)
	v_add_f32_e32 v4, v4, v5
	ds_bpermute_b32 v9, v8, v7
	ds_bpermute_b32 v5, v8, v4
	v_xor_b32_e32 v10, 2, v2
	v_cmp_lt_i32_e32 vcc, v10, v3
	v_cndmask_b32_e32 v6, v2, v10, vcc
	v_lshlrev_b32_e32 v6, 2, v6
	s_waitcnt lgkmcnt(1)
	v_add_f32_e32 v7, v7, v9
	s_waitcnt lgkmcnt(0)
	v_add_f32_e32 v4, v4, v5
	ds_bpermute_b32 v9, v6, v7
	ds_bpermute_b32 v5, v6, v4
	v_xor_b32_e32 v8, 1, v2
	v_cmp_lt_i32_e32 vcc, v8, v3
	v_cndmask_b32_e32 v2, v2, v8, vcc
	v_lshlrev_b32_e32 v6, 2, v2
	s_waitcnt lgkmcnt(1)
	v_add_f32_e32 v2, v7, v9
	s_waitcnt lgkmcnt(0)
	v_add_f32_e32 v4, v4, v5
	ds_bpermute_b32 v3, v6, v2
	ds_bpermute_b32 v5, v6, v4
	v_add_u32_e32 v6, s6, v0
	v_cmp_gt_u32_e32 vcc, 2, v0
	v_cmp_gt_u32_e64 s[0:1], s8, v6
	s_and_b64 s[0:1], vcc, s[0:1]
	s_and_b64 exec, exec, s[0:1]
	s_cbranch_execz .LBB84_31
; %bb.30:
	v_mul_lo_u32 v1, s11, v1
	v_cmp_eq_u32_e32 vcc, 1, v0
	s_mul_i32 s0, s14, s7
	v_or_b32_e32 v0, s6, v0
	v_add3_u32 v0, v0, v1, s0
	v_mov_b32_e32 v1, 0
	v_lshlrev_b64 v[0:1], 2, v[0:1]
	s_waitcnt lgkmcnt(1)
	v_add_f32_e32 v2, v2, v3
	s_waitcnt lgkmcnt(0)
	v_add_f32_e32 v3, v4, v5
	v_cndmask_b32_e32 v2, v2, v3, vcc
	v_mov_b32_e32 v3, s23
	v_add_co_u32_e32 v0, vcc, s22, v0
	v_addc_co_u32_e32 v1, vcc, v3, v1, vcc
	global_store_dword v[0:1], v2, off
.LBB84_31:
	s_endpgm
	.section	.rodata,"a",@progbits
	.p2align	6, 0x0
	.amdhsa_kernel _ZL17mul_mat_vec_q_moeIL9ggml_type40ELi2EEvPKvS2_PKiPfj15HIP_vector_typeIjLj3EEjjjjjjjjj
		.amdhsa_group_segment_fixed_size 0
		.amdhsa_private_segment_fixed_size 0
		.amdhsa_kernarg_size 84
		.amdhsa_user_sgpr_count 6
		.amdhsa_user_sgpr_private_segment_buffer 1
		.amdhsa_user_sgpr_dispatch_ptr 0
		.amdhsa_user_sgpr_queue_ptr 0
		.amdhsa_user_sgpr_kernarg_segment_ptr 1
		.amdhsa_user_sgpr_dispatch_id 0
		.amdhsa_user_sgpr_flat_scratch_init 0
		.amdhsa_user_sgpr_private_segment_size 0
		.amdhsa_uses_dynamic_stack 0
		.amdhsa_system_sgpr_private_segment_wavefront_offset 0
		.amdhsa_system_sgpr_workgroup_id_x 1
		.amdhsa_system_sgpr_workgroup_id_y 1
		.amdhsa_system_sgpr_workgroup_id_z 0
		.amdhsa_system_sgpr_workgroup_info 0
		.amdhsa_system_vgpr_workitem_id 1
		.amdhsa_next_free_vgpr 39
		.amdhsa_next_free_sgpr 31
		.amdhsa_reserve_vcc 1
		.amdhsa_reserve_flat_scratch 0
		.amdhsa_float_round_mode_32 0
		.amdhsa_float_round_mode_16_64 0
		.amdhsa_float_denorm_mode_32 3
		.amdhsa_float_denorm_mode_16_64 3
		.amdhsa_dx10_clamp 1
		.amdhsa_ieee_mode 1
		.amdhsa_fp16_overflow 0
		.amdhsa_exception_fp_ieee_invalid_op 0
		.amdhsa_exception_fp_denorm_src 0
		.amdhsa_exception_fp_ieee_div_zero 0
		.amdhsa_exception_fp_ieee_overflow 0
		.amdhsa_exception_fp_ieee_underflow 0
		.amdhsa_exception_fp_ieee_inexact 0
		.amdhsa_exception_int_div_zero 0
	.end_amdhsa_kernel
	.section	.text._ZL17mul_mat_vec_q_moeIL9ggml_type40ELi2EEvPKvS2_PKiPfj15HIP_vector_typeIjLj3EEjjjjjjjjj,"axG",@progbits,_ZL17mul_mat_vec_q_moeIL9ggml_type40ELi2EEvPKvS2_PKiPfj15HIP_vector_typeIjLj3EEjjjjjjjjj,comdat
.Lfunc_end84:
	.size	_ZL17mul_mat_vec_q_moeIL9ggml_type40ELi2EEvPKvS2_PKiPfj15HIP_vector_typeIjLj3EEjjjjjjjjj, .Lfunc_end84-_ZL17mul_mat_vec_q_moeIL9ggml_type40ELi2EEvPKvS2_PKiPfj15HIP_vector_typeIjLj3EEjjjjjjjjj
                                        ; -- End function
	.set _ZL17mul_mat_vec_q_moeIL9ggml_type40ELi2EEvPKvS2_PKiPfj15HIP_vector_typeIjLj3EEjjjjjjjjj.num_vgpr, 39
	.set _ZL17mul_mat_vec_q_moeIL9ggml_type40ELi2EEvPKvS2_PKiPfj15HIP_vector_typeIjLj3EEjjjjjjjjj.num_agpr, 0
	.set _ZL17mul_mat_vec_q_moeIL9ggml_type40ELi2EEvPKvS2_PKiPfj15HIP_vector_typeIjLj3EEjjjjjjjjj.numbered_sgpr, 31
	.set _ZL17mul_mat_vec_q_moeIL9ggml_type40ELi2EEvPKvS2_PKiPfj15HIP_vector_typeIjLj3EEjjjjjjjjj.num_named_barrier, 0
	.set _ZL17mul_mat_vec_q_moeIL9ggml_type40ELi2EEvPKvS2_PKiPfj15HIP_vector_typeIjLj3EEjjjjjjjjj.private_seg_size, 0
	.set _ZL17mul_mat_vec_q_moeIL9ggml_type40ELi2EEvPKvS2_PKiPfj15HIP_vector_typeIjLj3EEjjjjjjjjj.uses_vcc, 1
	.set _ZL17mul_mat_vec_q_moeIL9ggml_type40ELi2EEvPKvS2_PKiPfj15HIP_vector_typeIjLj3EEjjjjjjjjj.uses_flat_scratch, 0
	.set _ZL17mul_mat_vec_q_moeIL9ggml_type40ELi2EEvPKvS2_PKiPfj15HIP_vector_typeIjLj3EEjjjjjjjjj.has_dyn_sized_stack, 0
	.set _ZL17mul_mat_vec_q_moeIL9ggml_type40ELi2EEvPKvS2_PKiPfj15HIP_vector_typeIjLj3EEjjjjjjjjj.has_recursion, 0
	.set _ZL17mul_mat_vec_q_moeIL9ggml_type40ELi2EEvPKvS2_PKiPfj15HIP_vector_typeIjLj3EEjjjjjjjjj.has_indirect_call, 0
	.section	.AMDGPU.csdata,"",@progbits
; Kernel info:
; codeLenInByte = 2704
; TotalNumSgprs: 35
; NumVgprs: 39
; ScratchSize: 0
; MemoryBound: 0
; FloatMode: 240
; IeeeMode: 1
; LDSByteSize: 0 bytes/workgroup (compile time only)
; SGPRBlocks: 4
; VGPRBlocks: 9
; NumSGPRsForWavesPerEU: 35
; NumVGPRsForWavesPerEU: 39
; Occupancy: 6
; WaveLimiterHint : 1
; COMPUTE_PGM_RSRC2:SCRATCH_EN: 0
; COMPUTE_PGM_RSRC2:USER_SGPR: 6
; COMPUTE_PGM_RSRC2:TRAP_HANDLER: 0
; COMPUTE_PGM_RSRC2:TGID_X_EN: 1
; COMPUTE_PGM_RSRC2:TGID_Y_EN: 1
; COMPUTE_PGM_RSRC2:TGID_Z_EN: 0
; COMPUTE_PGM_RSRC2:TIDIG_COMP_CNT: 1
	.section	.text._ZL13mul_mat_vec_qIL9ggml_type40ELi1ELb1ELb1EEvPKvS2_PKi31ggml_cuda_mm_fusion_args_devicePfj15HIP_vector_typeIjLj3EEjjjS8_jjjS8_jjjj,"axG",@progbits,_ZL13mul_mat_vec_qIL9ggml_type40ELi1ELb1ELb1EEvPKvS2_PKi31ggml_cuda_mm_fusion_args_devicePfj15HIP_vector_typeIjLj3EEjjjS8_jjjS8_jjjj,comdat
	.globl	_ZL13mul_mat_vec_qIL9ggml_type40ELi1ELb1ELb1EEvPKvS2_PKi31ggml_cuda_mm_fusion_args_devicePfj15HIP_vector_typeIjLj3EEjjjS8_jjjS8_jjjj ; -- Begin function _ZL13mul_mat_vec_qIL9ggml_type40ELi1ELb1ELb1EEvPKvS2_PKi31ggml_cuda_mm_fusion_args_devicePfj15HIP_vector_typeIjLj3EEjjjS8_jjjS8_jjjj
	.p2align	8
	.type	_ZL13mul_mat_vec_qIL9ggml_type40ELi1ELb1ELb1EEvPKvS2_PKi31ggml_cuda_mm_fusion_args_devicePfj15HIP_vector_typeIjLj3EEjjjS8_jjjS8_jjjj,@function
_ZL13mul_mat_vec_qIL9ggml_type40ELi1ELb1ELb1EEvPKvS2_PKi31ggml_cuda_mm_fusion_args_devicePfj15HIP_vector_typeIjLj3EEjjjS8_jjjS8_jjjj: ; @_ZL13mul_mat_vec_qIL9ggml_type40ELi1ELb1ELb1EEvPKvS2_PKi31ggml_cuda_mm_fusion_args_devicePfj15HIP_vector_typeIjLj3EEjjjS8_jjjS8_jjjj
; %bb.0:
	s_load_dwordx8 s[12:19], s[4:5], 0x0
	s_load_dwordx4 s[28:31], s[4:5], 0x20
	s_load_dwordx4 s[36:39], s[4:5], 0x40
	;; [unrolled: 1-line block ×3, first 2 shown]
	s_mov_b32 s34, s7
	s_waitcnt lgkmcnt(0)
	s_cmp_lg_u64 s[16:17], 0
	s_cselect_b64 s[0:1], -1, 0
	s_cmp_eq_u64 s[16:17], 0
	s_mov_b64 s[2:3], 0
	s_cbranch_scc1 .LBB85_5
; %bb.1:
	s_mov_b32 s35, 0
	s_lshl_b64 s[10:11], s[34:35], 2
	s_add_u32 s10, s16, s10
	s_addc_u32 s11, s17, s11
	s_load_dword s35, s[10:11], 0x0
	s_load_dword s33, s[4:5], 0x50
	;; [unrolled: 1-line block ×3, first 2 shown]
	s_andn2_b64 vcc, exec, s[2:3]
	s_cbranch_vccnz .LBB85_3
.LBB85_2:
	s_load_dwordx2 s[2:3], s[4:5], 0x5c
	s_waitcnt lgkmcnt(0)
	s_mul_hi_u32 s2, s2, s34
	s_add_i32 s2, s34, s2
	s_lshr_b32 s35, s2, s3
.LBB85_3:
	s_andn2_b64 vcc, exec, s[0:1]
	s_cbranch_vccnz .LBB85_6
; %bb.4:
	s_mul_hi_u32 s0, s37, s34
	s_add_i32 s0, s34, s0
	s_lshr_b32 s0, s0, s38
	s_mul_i32 s0, s0, s39
	s_sub_i32 s37, s34, s0
	s_waitcnt lgkmcnt(0)
	s_mov_b32 s43, s35
	s_branch .LBB85_7
.LBB85_5:
                                        ; implicit-def: $sgpr35
	s_load_dword s33, s[4:5], 0x50
	s_load_dword s42, s[4:5], 0x78
	s_branch .LBB85_2
.LBB85_6:
	s_mov_b32 s43, s34
	s_mov_b32 s37, s34
.LBB85_7:
	s_load_dword s9, s[4:5], 0x58
	s_load_dwordx4 s[24:27], s[4:5], 0x80
	s_lshl_b32 s16, s6, 1
	s_cmp_eq_u64 s[18:19], 0
	s_cselect_b64 s[0:1], -1, 0
	v_mov_b32_e32 v31, 0
	s_and_b64 vcc, exec, s[0:1]
	v_cmp_gt_u32_e64 s[2:3], 2, v0
	v_cmp_eq_u32_e64 s[6:7], 0, v1
	v_add_u32_e32 v30, s16, v0
	v_mov_b32_e32 v32, 0
	s_cbranch_vccnz .LBB85_11
; %bb.8:
	s_waitcnt lgkmcnt(0)
	v_cmp_gt_u32_e32 vcc, s9, v30
	s_and_b64 s[2:3], s[2:3], vcc
	s_mov_b32 s11, 0
	s_and_b64 s[6:7], s[2:3], s[6:7]
	v_mov_b32_e32 v32, 0
	s_and_saveexec_b64 s[2:3], s[6:7]
	s_cbranch_execz .LBB85_10
; %bb.9:
	s_mul_i32 s10, s26, s8
	s_lshl_b64 s[6:7], s[10:11], 2
	s_add_u32 s17, s18, s6
	s_mul_i32 s10, s43, s22
	s_addc_u32 s18, s19, s7
	s_lshl_b64 s[6:7], s[10:11], 2
	s_add_u32 s10, s17, s6
	s_addc_u32 s11, s18, s7
	s_ashr_i32 s17, s16, 31
	s_lshl_b64 s[6:7], s[16:17], 2
	s_add_u32 s6, s10, s6
	s_addc_u32 s7, s11, s7
	v_lshlrev_b32_e32 v2, 2, v0
	global_load_dword v32, v2, s[6:7]
.LBB85_10:
	s_or_b64 exec, exec, s[2:3]
.LBB85_11:
	s_cmp_lg_u64 s[28:29], 0
	s_cselect_b64 s[18:19], -1, 0
	s_cmp_eq_u64 s[28:29], 0
	s_cselect_b64 s[38:39], -1, 0
	s_cmp_lg_u64 s[30:31], 0
	s_cselect_b64 s[2:3], -1, 0
	s_and_b64 s[6:7], s[2:3], s[18:19]
	s_andn2_b64 vcc, exec, s[6:7]
	s_waitcnt lgkmcnt(0)
	v_cmp_gt_u32_e64 s[6:7], s9, v30
	s_cbranch_vccnz .LBB85_15
; %bb.12:
	v_cmp_gt_u32_e32 vcc, 2, v0
	v_cmp_eq_u32_e64 s[10:11], 0, v1
	s_and_b64 s[6:7], vcc, s[6:7]
	s_mov_b32 s41, 0
	s_and_b64 s[10:11], s[6:7], s[10:11]
	v_mov_b32_e32 v31, 0
	s_and_saveexec_b64 s[6:7], s[10:11]
	s_cbranch_execz .LBB85_14
; %bb.13:
	s_mul_i32 s40, s26, s8
	s_lshl_b64 s[10:11], s[40:41], 2
	s_add_u32 s17, s30, s10
	s_mul_i32 s40, s43, s22
	s_addc_u32 s27, s31, s11
	s_lshl_b64 s[10:11], s[40:41], 2
	s_add_u32 s30, s17, s10
	s_addc_u32 s27, s27, s11
	s_ashr_i32 s17, s16, 31
	s_lshl_b64 s[10:11], s[16:17], 2
	s_add_u32 s10, s30, s10
	s_addc_u32 s11, s27, s11
	v_lshlrev_b32_e32 v2, 2, v0
	global_load_dword v31, v2, s[10:11]
.LBB85_14:
	s_or_b64 exec, exec, s[6:7]
.LBB85_15:
	v_lshlrev_b32_e32 v2, 6, v1
	v_add_u16_e32 v3, v2, v0
	v_mov_b32_e32 v12, 0
	s_lshr_b32 s17, s36, 6
	v_lshrrev_b16_e32 v34, 1, v3
	v_mov_b32_e32 v13, v12
	v_mov_b32_e32 v10, v12
	v_cmp_gt_u32_e32 vcc, s17, v34
	v_lshlrev_b32_e32 v29, 2, v0
	v_mov_b32_e32 v33, v12
	v_mov_b32_e32 v11, v13
	s_and_saveexec_b64 s[10:11], vcc
	s_cbranch_execz .LBB85_71
; %bb.16:
	s_mul_hi_u32 s6, s23, s8
	s_add_i32 s6, s8, s6
	s_lshr_b32 s6, s6, s42
	s_mul_i32 s7, s37, s21
	s_mul_i32 s20, s35, s20
	;; [unrolled: 1-line block ×3, first 2 shown]
	v_and_b32_e32 v35, 4, v29
	v_add_u32_e32 v2, v2, v0
	s_add_i32 s27, s20, s6
	v_or_b32_e32 v3, 2, v35
	s_mul_hi_u32 s6, s7, 36
	s_mul_i32 s7, s7, 36
	v_lshrrev_b32_e32 v37, 1, v3
	v_lshrrev_b32_e32 v5, 1, v2
	v_mov_b32_e32 v2, s7
	v_mov_b32_e32 v3, s6
	s_movk_i32 s6, 0x48
	v_mad_u64_u32 v[2:3], s[6:7], v5, s6, v[2:3]
	s_mul_i32 s25, s25, s8
	s_mul_i32 s6, s16, s33
	s_add_i32 s23, s27, s6
	v_mad_u64_u32 v[2:3], s[6:7], s25, 36, v[2:3]
	v_and_b32_e32 v4, 1, v0
	s_add_i32 s6, s16, 1
	s_mul_i32 s33, s33, s6
	v_mad_u64_u32 v[2:3], s[6:7], v4, 36, v[2:3]
	v_mov_b32_e32 v4, s15
	v_mov_b32_e32 v10, 0
	v_add_co_u32_e32 v2, vcc, s14, v2
	v_addc_co_u32_e32 v3, vcc, v4, v3, vcc
	v_add_co_u32_e32 v13, vcc, 16, v2
	v_lshrrev_b32_e32 v36, 1, v35
	s_add_i32 s27, s27, s33
	v_addc_co_u32_e32 v14, vcc, 0, v3, vcc
	v_mov_b32_e32 v11, v10
	s_mov_b64 s[14:15], 0
	s_movk_i32 s30, 0x7e
	s_movk_i32 s31, 0x7f
	s_mov_b32 s33, 0x3e000000
	s_mov_b32 s35, 0xf4f8fafc
	;; [unrolled: 1-line block ×3, first 2 shown]
	v_mov_b32_e32 v38, 0xfdfeff00
	v_mov_b32_e32 v39, 0x3020100
	;; [unrolled: 1-line block ×4, first 2 shown]
	s_branch .LBB85_19
.LBB85_17:                              ;   in Loop: Header=BB85_19 Depth=1
	s_or_b64 exec, exec, s[20:21]
	s_waitcnt vmcnt(0)
	v_ashrrev_i32_e32 v28, 4, v26
	v_and_b32_e32 v46, 0x7070707, v28
	v_lshrrev_b32_e32 v28, 1, v28
	v_and_b32_e32 v28, 0x4040404, v28
	v_perm_b32 v47, s35, v38, v46
	v_perm_b32 v46, s36, v39, v46
	v_or_b32_e32 v28, 0x3020100, v28
	v_perm_b32 v28, v47, v46, v28
	v_and_b32_e32 v46, 0x7070707, v26
	v_lshrrev_b32_e32 v26, 1, v26
	v_and_b32_e32 v26, 0x4040404, v26
	v_perm_b32 v47, s35, v38, v46
	v_perm_b32 v46, s36, v39, v46
	v_or_b32_e32 v26, 0x3020100, v26
	v_perm_b32 v26, v47, v46, v26
	v_ashrrev_i32_e32 v46, 4, v25
	v_and_b32_e32 v47, 0x7070707, v46
	v_lshrrev_b32_e32 v46, 1, v46
	v_and_b32_e32 v46, 0x4040404, v46
	v_perm_b32 v48, s35, v38, v47
	v_perm_b32 v47, s36, v39, v47
	v_or_b32_e32 v46, 0x3020100, v46
	v_perm_b32 v46, v48, v47, v46
	v_and_b32_e32 v47, 0x7070707, v25
	v_lshrrev_b32_e32 v25, 1, v25
	v_and_b32_e32 v25, 0x4040404, v25
	v_perm_b32 v48, s35, v38, v47
	v_perm_b32 v47, s36, v39, v47
	v_or_b32_e32 v25, 0x3020100, v25
	v_perm_b32 v25, v48, v47, v25
	v_dot4_i32_i8 v25, v25, v3, 0
	v_dot4_i32_i8 v25, v46, v5, v25
	;; [unrolled: 1-line block ×3, first 2 shown]
	v_ashrrev_i32_e32 v26, 4, v24
	v_and_b32_e32 v46, 0x7070707, v26
	v_lshrrev_b32_e32 v26, 1, v26
	v_and_b32_e32 v26, 0x4040404, v26
	v_perm_b32 v47, s35, v38, v46
	v_perm_b32 v46, s36, v39, v46
	v_or_b32_e32 v26, 0x3020100, v26
	v_perm_b32 v26, v47, v46, v26
	v_and_b32_e32 v46, 0x7070707, v24
	v_lshrrev_b32_e32 v24, 1, v24
	v_and_b32_e32 v24, 0x4040404, v24
	v_perm_b32 v47, s35, v38, v46
	v_perm_b32 v46, s36, v39, v46
	v_or_b32_e32 v24, 0x3020100, v24
	v_perm_b32 v24, v47, v46, v24
	v_ashrrev_i32_e32 v46, 4, v23
	v_and_b32_e32 v47, 0x7070707, v46
	v_lshrrev_b32_e32 v46, 1, v46
	v_and_b32_e32 v46, 0x4040404, v46
	v_perm_b32 v48, s35, v38, v47
	v_perm_b32 v47, s36, v39, v47
	v_or_b32_e32 v46, 0x3020100, v46
	v_perm_b32 v46, v48, v47, v46
	v_and_b32_e32 v47, 0x7070707, v23
	v_lshrrev_b32_e32 v23, 1, v23
	v_and_b32_e32 v23, 0x4040404, v23
	v_perm_b32 v48, s35, v38, v47
	v_perm_b32 v47, s36, v39, v47
	v_or_b32_e32 v23, 0x3020100, v23
	v_perm_b32 v23, v48, v47, v23
	v_dot4_i32_i8 v23, v23, v7, 0
	v_dot4_i32_i8 v23, v46, v9, v23
	;; [unrolled: 1-line block ×4, first 2 shown]
	v_cvt_f32_i32_e32 v23, v23
	v_dot4_i32_i8 v24, v28, v40, v25
	v_cvt_f32_i32_e32 v24, v24
	v_mul_f32_e32 v25, v45, v6
	v_fma_f32 v23, v25, v23, 0
	v_mul_f32_e32 v25, v27, v6
	v_fmac_f32_e32 v23, v25, v24
	v_add_f32_e32 v11, v11, v23
.LBB85_18:                              ;   in Loop: Header=BB85_19 Depth=1
	v_ashrrev_i32_e32 v23, 4, v18
	v_and_b32_e32 v24, 0x7070707, v23
	v_lshrrev_b32_e32 v23, 1, v23
	v_and_b32_e32 v23, 0x4040404, v23
	v_perm_b32 v25, s35, v38, v24
	v_perm_b32 v24, s36, v39, v24
	v_or_b32_e32 v23, 0x3020100, v23
	v_perm_b32 v23, v25, v24, v23
	v_and_b32_e32 v24, 0x7070707, v18
	v_lshrrev_b32_e32 v18, 1, v18
	v_and_b32_e32 v18, 0x4040404, v18
	v_perm_b32 v25, s35, v38, v24
	v_perm_b32 v24, s36, v39, v24
	v_or_b32_e32 v18, 0x3020100, v18
	v_perm_b32 v18, v25, v24, v18
	v_ashrrev_i32_e32 v24, 4, v17
	v_and_b32_e32 v25, 0x7070707, v24
	v_lshrrev_b32_e32 v24, 1, v24
	v_and_b32_e32 v24, 0x4040404, v24
	v_perm_b32 v26, s35, v38, v25
	v_perm_b32 v25, s36, v39, v25
	v_or_b32_e32 v24, 0x3020100, v24
	v_perm_b32 v24, v26, v25, v24
	v_and_b32_e32 v25, 0x7070707, v17
	v_lshrrev_b32_e32 v17, 1, v17
	v_and_b32_e32 v17, 0x4040404, v17
	v_perm_b32 v26, s35, v38, v25
	v_perm_b32 v25, s36, v39, v25
	v_or_b32_e32 v17, 0x3020100, v17
	v_perm_b32 v17, v26, v25, v17
	v_dot4_i32_i8 v17, v17, v3, 0
	v_dot4_i32_i8 v17, v24, v5, v17
	v_dot4_i32_i8 v17, v18, v4, v17
	v_ashrrev_i32_e32 v18, 4, v16
	v_and_b32_e32 v24, 0x7070707, v18
	v_lshrrev_b32_e32 v18, 1, v18
	v_and_b32_e32 v18, 0x4040404, v18
	v_perm_b32 v25, s35, v38, v24
	v_perm_b32 v24, s36, v39, v24
	v_or_b32_e32 v18, 0x3020100, v18
	v_perm_b32 v18, v25, v24, v18
	v_and_b32_e32 v24, 0x7070707, v16
	v_lshrrev_b32_e32 v16, 1, v16
	v_and_b32_e32 v16, 0x4040404, v16
	v_perm_b32 v25, s35, v38, v24
	v_perm_b32 v24, s36, v39, v24
	v_or_b32_e32 v16, 0x3020100, v16
	v_perm_b32 v16, v25, v24, v16
	v_ashrrev_i32_e32 v24, 4, v15
	v_and_b32_e32 v25, 0x7070707, v24
	v_lshrrev_b32_e32 v24, 1, v24
	v_and_b32_e32 v24, 0x4040404, v24
	v_perm_b32 v26, s35, v38, v25
	v_perm_b32 v25, s36, v39, v25
	v_or_b32_e32 v24, 0x3020100, v24
	v_perm_b32 v24, v26, v25, v24
	v_and_b32_e32 v25, 0x7070707, v15
	v_lshrrev_b32_e32 v15, 1, v15
	v_and_b32_e32 v15, 0x4040404, v15
	v_perm_b32 v26, s35, v38, v25
	v_perm_b32 v25, s36, v39, v25
	v_or_b32_e32 v15, 0x3020100, v15
	v_perm_b32 v15, v26, v25, v15
	v_dot4_i32_i8 v15, v15, v7, 0
	v_dot4_i32_i8 v15, v24, v9, v15
	;; [unrolled: 1-line block ×4, first 2 shown]
	v_cvt_f32_i32_e32 v15, v15
	v_dot4_i32_i8 v16, v23, v40, v17
	v_cvt_f32_i32_e32 v16, v16
	v_mul_f32_e32 v17, v41, v6
	v_fma_f32 v15, v17, v15, 0
	v_mul_f32_e32 v17, v42, v6
	v_fmac_f32_e32 v15, v17, v16
	v_add_f32_e32 v33, v33, v15
	s_waitcnt vmcnt(0)
	v_ashrrev_i32_e32 v15, 4, v22
	v_and_b32_e32 v16, 0x7070707, v15
	v_lshrrev_b32_e32 v15, 1, v15
	v_and_b32_e32 v15, 0x4040404, v15
	v_perm_b32 v17, s35, v38, v16
	v_perm_b32 v16, s36, v39, v16
	v_or_b32_e32 v15, 0x3020100, v15
	v_lshrrev_b32_e32 v18, 1, v22
	v_perm_b32 v15, v17, v16, v15
	v_and_b32_e32 v16, 0x7070707, v22
	v_and_b32_e32 v18, 0x4040404, v18
	v_perm_b32 v17, s35, v38, v16
	v_perm_b32 v16, s36, v39, v16
	v_or_b32_e32 v18, 0x3020100, v18
	v_perm_b32 v16, v17, v16, v18
	v_ashrrev_i32_e32 v17, 4, v21
	v_and_b32_e32 v18, 0x7070707, v17
	v_lshrrev_b32_e32 v17, 1, v17
	v_and_b32_e32 v17, 0x4040404, v17
	v_perm_b32 v22, s35, v38, v18
	v_perm_b32 v18, s36, v39, v18
	v_or_b32_e32 v17, 0x3020100, v17
	v_perm_b32 v17, v22, v18, v17
	v_and_b32_e32 v18, 0x7070707, v21
	v_lshrrev_b32_e32 v21, 1, v21
	v_and_b32_e32 v21, 0x4040404, v21
	v_perm_b32 v22, s35, v38, v18
	v_perm_b32 v18, s36, v39, v18
	v_or_b32_e32 v21, 0x3020100, v21
	v_perm_b32 v18, v22, v18, v21
	v_dot4_i32_i8 v3, v18, v3, 0
	v_dot4_i32_i8 v3, v17, v5, v3
	;; [unrolled: 1-line block ×3, first 2 shown]
	v_ashrrev_i32_e32 v4, 4, v20
	v_and_b32_e32 v5, 0x7070707, v4
	v_lshrrev_b32_e32 v4, 1, v4
	v_and_b32_e32 v4, 0x4040404, v4
	v_perm_b32 v16, s35, v38, v5
	v_perm_b32 v5, s36, v39, v5
	v_or_b32_e32 v4, 0x3020100, v4
	v_lshrrev_b32_e32 v17, 1, v20
	v_perm_b32 v4, v16, v5, v4
	v_and_b32_e32 v5, 0x7070707, v20
	v_and_b32_e32 v17, 0x4040404, v17
	v_perm_b32 v16, s35, v38, v5
	v_perm_b32 v5, s36, v39, v5
	v_or_b32_e32 v17, 0x3020100, v17
	v_perm_b32 v5, v16, v5, v17
	v_ashrrev_i32_e32 v16, 4, v19
	v_and_b32_e32 v17, 0x7070707, v16
	v_lshrrev_b32_e32 v16, 1, v16
	v_and_b32_e32 v16, 0x4040404, v16
	v_perm_b32 v18, s35, v38, v17
	v_perm_b32 v17, s36, v39, v17
	v_or_b32_e32 v16, 0x3020100, v16
	v_perm_b32 v16, v18, v17, v16
	v_and_b32_e32 v17, 0x7070707, v19
	v_lshrrev_b32_e32 v19, 1, v19
	v_and_b32_e32 v19, 0x4040404, v19
	v_perm_b32 v18, s35, v38, v17
	v_perm_b32 v17, s36, v39, v17
	v_or_b32_e32 v19, 0x3020100, v19
	v_perm_b32 v17, v18, v17, v19
	v_dot4_i32_i8 v7, v17, v7, 0
	v_dot4_i32_i8 v7, v16, v9, v7
	;; [unrolled: 1-line block ×4, first 2 shown]
	v_cvt_f32_i32_e32 v2, v2
	v_dot4_i32_i8 v3, v15, v40, v3
	v_cvt_f32_i32_e32 v3, v3
	v_mul_f32_e32 v4, v43, v6
	v_fma_f32 v2, v4, v2, 0
	v_mul_f32_e32 v4, v44, v6
	v_add_u32_e32 v34, 64, v34
	v_fmac_f32_e32 v2, v4, v3
	v_add_co_u32_e32 v13, vcc, 0x1200, v13
	v_cmp_le_u32_e64 s[6:7], s17, v34
	v_add_f32_e32 v12, v12, v2
	s_or_b64 s[14:15], s[6:7], s[14:15]
	v_addc_co_u32_e32 v14, vcc, 0, v14, vcc
	s_andn2_b64 exec, exec, s[14:15]
	s_cbranch_execz .LBB85_70
.LBB85_19:                              ; =>This Inner Loop Header: Depth=1
	v_add_u32_e32 v21, s23, v34
	v_mad_i64_i32 v[17:18], s[6:7], v21, 36, s[12:13]
	v_lshlrev_b32_e32 v27, 2, v35
	global_load_dword v40, v[13:14], off offset:16
	v_add_co_u32_e32 v19, vcc, v17, v27
	v_addc_co_u32_e32 v20, vcc, 0, v18, vcc
	v_add_co_u32_e32 v23, vcc, v17, v36
	v_addc_co_u32_e32 v24, vcc, 0, v18, vcc
	global_load_dwordx2 v[15:16], v[19:20], off offset:4
	global_load_ubyte v22, v[23:24], off
	global_load_dwordx4 v[2:5], v[13:14], off
	global_load_dwordx4 v[6:9], v[13:14], off offset:-16
	s_mov_b64 s[6:7], 0
	s_waitcnt vmcnt(2)
	v_cmp_lt_i16_e32 vcc, s30, v22
	s_and_saveexec_b64 s[20:21], vcc
	s_xor_b64 s[20:21], exec, s[20:21]
	s_cbranch_execnz .LBB85_45
; %bb.20:                               ;   in Loop: Header=BB85_19 Depth=1
	s_andn2_saveexec_b64 s[20:21], s[20:21]
	s_cbranch_execnz .LBB85_46
.LBB85_21:                              ;   in Loop: Header=BB85_19 Depth=1
	s_or_b64 exec, exec, s[20:21]
	v_mov_b32_e32 v41, 0
	s_and_saveexec_b64 s[20:21], s[6:7]
	s_cbranch_execz .LBB85_23
.LBB85_22:                              ;   in Loop: Header=BB85_19 Depth=1
	v_and_b32_e32 v22, 0xffff, v22
	v_bfe_u32 v23, v22, 3, 4
	v_and_b32_e32 v22, 7, v22
	v_cvt_f32_ubyte0_e32 v22, v22
	v_fma_f32 v24, v22, s33, 1.0
	v_add_u32_e32 v25, -7, v23
	v_cmp_eq_u32_e32 vcc, 0, v23
	v_cndmask_b32_e32 v22, v24, v22, vcc
	v_cndmask_b32_e64 v23, v25, -9, vcc
	v_ldexp_f32 v22, v22, v23
	v_mul_f32_e32 v41, 0.5, v22
.LBB85_23:                              ;   in Loop: Header=BB85_19 Depth=1
	s_or_b64 exec, exec, s[20:21]
	v_add_co_u32_e32 v23, vcc, v17, v37
	v_addc_co_u32_e32 v24, vcc, 0, v18, vcc
	global_load_ubyte v22, v[23:24], off
	global_load_dwordx2 v[17:18], v[19:20], off offset:12
	s_mov_b64 s[6:7], 0
	s_waitcnt vmcnt(1)
	v_cmp_lt_i16_e32 vcc, s30, v22
	s_and_saveexec_b64 s[20:21], vcc
	s_xor_b64 s[20:21], exec, s[20:21]
	s_cbranch_execnz .LBB85_47
; %bb.24:                               ;   in Loop: Header=BB85_19 Depth=1
	s_andn2_saveexec_b64 s[20:21], s[20:21]
	s_cbranch_execnz .LBB85_48
.LBB85_25:                              ;   in Loop: Header=BB85_19 Depth=1
	s_or_b64 exec, exec, s[20:21]
	v_mov_b32_e32 v42, 0
	s_and_saveexec_b64 s[20:21], s[6:7]
	s_cbranch_execz .LBB85_27
.LBB85_26:                              ;   in Loop: Header=BB85_19 Depth=1
	v_and_b32_e32 v19, 0xffff, v22
	v_bfe_u32 v20, v19, 3, 4
	v_and_b32_e32 v19, 7, v19
	v_cvt_f32_ubyte0_e32 v19, v19
	v_fma_f32 v22, v19, s33, 1.0
	v_add_u32_e32 v23, -7, v20
	v_cmp_eq_u32_e32 vcc, 0, v20
	v_cndmask_b32_e32 v19, v22, v19, vcc
	v_cndmask_b32_e64 v20, v23, -9, vcc
	v_ldexp_f32 v19, v19, v20
	v_mul_f32_e32 v42, 0.5, v19
.LBB85_27:                              ;   in Loop: Header=BB85_19 Depth=1
	s_or_b64 exec, exec, s[20:21]
	v_cvt_f32_f16_e32 v6, v6
	v_cndmask_b32_e64 v19, 0, 1, s[18:19]
	v_cmp_ne_u32_e64 s[6:7], 1, v19
	s_andn2_b64 vcc, exec, s[18:19]
	s_cbranch_vccnz .LBB85_37
; %bb.28:                               ;   in Loop: Header=BB85_19 Depth=1
	v_mad_i64_i32 v[21:22], s[20:21], v21, 36, s[28:29]
	s_mov_b64 s[20:21], 0
	v_add_co_u32_e32 v19, vcc, v21, v36
	v_addc_co_u32_e32 v20, vcc, 0, v22, vcc
	v_add_co_u32_e32 v23, vcc, v21, v27
	global_load_ubyte v26, v[19:20], off
	v_addc_co_u32_e32 v24, vcc, 0, v22, vcc
	global_load_dwordx2 v[19:20], v[23:24], off offset:4
	s_waitcnt vmcnt(1)
	v_cmp_lt_i16_e32 vcc, s30, v26
	s_and_saveexec_b64 s[24:25], vcc
	s_xor_b64 s[24:25], exec, s[24:25]
	s_cbranch_execnz .LBB85_61
; %bb.29:                               ;   in Loop: Header=BB85_19 Depth=1
	s_andn2_saveexec_b64 s[24:25], s[24:25]
	s_cbranch_execnz .LBB85_62
.LBB85_30:                              ;   in Loop: Header=BB85_19 Depth=1
	s_or_b64 exec, exec, s[24:25]
	v_mov_b32_e32 v25, 0
	s_and_saveexec_b64 s[24:25], s[20:21]
	s_cbranch_execz .LBB85_32
.LBB85_31:                              ;   in Loop: Header=BB85_19 Depth=1
	v_and_b32_e32 v25, 0xffff, v26
	v_bfe_u32 v26, v25, 3, 4
	v_and_b32_e32 v25, 7, v25
	v_cvt_f32_ubyte0_e32 v25, v25
	v_fma_f32 v28, v25, s33, 1.0
	v_add_u32_e32 v43, -7, v26
	v_cmp_eq_u32_e32 vcc, 0, v26
	v_cndmask_b32_e32 v25, v28, v25, vcc
	v_cndmask_b32_e64 v26, v43, -9, vcc
	v_ldexp_f32 v25, v25, v26
	v_mul_f32_e32 v25, 0.5, v25
.LBB85_32:                              ;   in Loop: Header=BB85_19 Depth=1
	s_or_b64 exec, exec, s[24:25]
	v_add_co_u32_e32 v43, vcc, v21, v37
	v_addc_co_u32_e32 v44, vcc, 0, v22, vcc
	global_load_ubyte v26, v[43:44], off
	global_load_dwordx2 v[21:22], v[23:24], off offset:12
	s_mov_b64 s[20:21], 0
	s_waitcnt vmcnt(1)
	v_cmp_lt_i16_e32 vcc, s30, v26
	s_and_saveexec_b64 s[24:25], vcc
	s_xor_b64 s[24:25], exec, s[24:25]
	s_cbranch_execnz .LBB85_63
; %bb.33:                               ;   in Loop: Header=BB85_19 Depth=1
	s_andn2_saveexec_b64 s[24:25], s[24:25]
	s_cbranch_execnz .LBB85_64
.LBB85_34:                              ;   in Loop: Header=BB85_19 Depth=1
	s_or_b64 exec, exec, s[24:25]
	v_mov_b32_e32 v23, 0
	s_and_saveexec_b64 s[24:25], s[20:21]
	s_cbranch_execz .LBB85_36
.LBB85_35:                              ;   in Loop: Header=BB85_19 Depth=1
	v_and_b32_e32 v23, 0xffff, v26
	v_bfe_u32 v24, v23, 3, 4
	v_and_b32_e32 v23, 7, v23
	v_cvt_f32_ubyte0_e32 v23, v23
	v_fma_f32 v26, v23, s33, 1.0
	v_add_u32_e32 v28, -7, v24
	v_cmp_eq_u32_e32 vcc, 0, v24
	v_cndmask_b32_e32 v23, v26, v23, vcc
	v_cndmask_b32_e64 v24, v28, -9, vcc
	v_ldexp_f32 v23, v23, v24
	v_mul_f32_e32 v23, 0.5, v23
.LBB85_36:                              ;   in Loop: Header=BB85_19 Depth=1
	s_or_b64 exec, exec, s[24:25]
	s_waitcnt vmcnt(0)
	v_ashrrev_i32_e32 v24, 4, v22
	v_and_b32_e32 v26, 0x7070707, v24
	v_lshrrev_b32_e32 v24, 1, v24
	v_and_b32_e32 v24, 0x4040404, v24
	v_perm_b32 v28, s35, v38, v26
	v_perm_b32 v26, s36, v39, v26
	v_or_b32_e32 v24, 0x3020100, v24
	v_perm_b32 v24, v28, v26, v24
	v_and_b32_e32 v26, 0x7070707, v22
	v_lshrrev_b32_e32 v22, 1, v22
	v_and_b32_e32 v22, 0x4040404, v22
	v_perm_b32 v28, s35, v38, v26
	v_perm_b32 v26, s36, v39, v26
	v_or_b32_e32 v22, 0x3020100, v22
	v_perm_b32 v22, v28, v26, v22
	v_ashrrev_i32_e32 v26, 4, v21
	v_and_b32_e32 v28, 0x7070707, v26
	v_lshrrev_b32_e32 v26, 1, v26
	v_and_b32_e32 v26, 0x4040404, v26
	v_perm_b32 v43, s35, v38, v28
	v_perm_b32 v28, s36, v39, v28
	v_or_b32_e32 v26, 0x3020100, v26
	v_perm_b32 v26, v43, v28, v26
	v_and_b32_e32 v28, 0x7070707, v21
	v_lshrrev_b32_e32 v21, 1, v21
	v_and_b32_e32 v21, 0x4040404, v21
	v_perm_b32 v43, s35, v38, v28
	v_perm_b32 v28, s36, v39, v28
	v_or_b32_e32 v21, 0x3020100, v21
	v_perm_b32 v21, v43, v28, v21
	v_dot4_i32_i8 v21, v21, v3, 0
	v_dot4_i32_i8 v21, v26, v5, v21
	;; [unrolled: 1-line block ×3, first 2 shown]
	v_ashrrev_i32_e32 v22, 4, v20
	v_and_b32_e32 v26, 0x7070707, v22
	v_lshrrev_b32_e32 v22, 1, v22
	v_and_b32_e32 v22, 0x4040404, v22
	v_perm_b32 v28, s35, v38, v26
	v_perm_b32 v26, s36, v39, v26
	v_or_b32_e32 v22, 0x3020100, v22
	v_perm_b32 v22, v28, v26, v22
	v_and_b32_e32 v26, 0x7070707, v20
	v_lshrrev_b32_e32 v20, 1, v20
	v_and_b32_e32 v20, 0x4040404, v20
	v_perm_b32 v28, s35, v38, v26
	v_perm_b32 v26, s36, v39, v26
	v_or_b32_e32 v20, 0x3020100, v20
	v_perm_b32 v20, v28, v26, v20
	v_ashrrev_i32_e32 v26, 4, v19
	v_and_b32_e32 v28, 0x7070707, v26
	v_lshrrev_b32_e32 v26, 1, v26
	v_and_b32_e32 v26, 0x4040404, v26
	v_perm_b32 v43, s35, v38, v28
	v_perm_b32 v28, s36, v39, v28
	v_or_b32_e32 v26, 0x3020100, v26
	v_perm_b32 v26, v43, v28, v26
	v_and_b32_e32 v28, 0x7070707, v19
	v_lshrrev_b32_e32 v19, 1, v19
	v_and_b32_e32 v19, 0x4040404, v19
	v_perm_b32 v43, s35, v38, v28
	v_perm_b32 v28, s36, v39, v28
	v_or_b32_e32 v19, 0x3020100, v19
	v_perm_b32 v19, v43, v28, v19
	v_dot4_i32_i8 v19, v19, v7, 0
	v_dot4_i32_i8 v19, v26, v9, v19
	;; [unrolled: 1-line block ×4, first 2 shown]
	v_cvt_f32_i32_e32 v19, v19
	v_dot4_i32_i8 v20, v24, v40, v21
	v_cvt_f32_i32_e32 v20, v20
	v_mul_f32_e32 v21, v25, v6
	v_fma_f32 v19, v21, v19, 0
	v_mul_f32_e32 v21, v23, v6
	v_fmac_f32_e32 v19, v21, v20
	v_add_f32_e32 v10, v10, v19
.LBB85_37:                              ;   in Loop: Header=BB85_19 Depth=1
	v_add_u32_e32 v25, s27, v34
	v_mad_i64_i32 v[21:22], s[20:21], v25, 36, s[12:13]
	s_mov_b64 s[20:21], 0
	v_add_co_u32_e32 v19, vcc, v21, v36
	v_addc_co_u32_e32 v20, vcc, 0, v22, vcc
	v_add_co_u32_e32 v23, vcc, v21, v27
	global_load_ubyte v26, v[19:20], off
	v_addc_co_u32_e32 v24, vcc, 0, v22, vcc
	global_load_dwordx2 v[19:20], v[23:24], off offset:4
	s_waitcnt vmcnt(1)
	v_cmp_lt_i16_e32 vcc, s30, v26
	s_and_saveexec_b64 s[24:25], vcc
	s_xor_b64 s[24:25], exec, s[24:25]
	s_cbranch_execnz .LBB85_49
; %bb.38:                               ;   in Loop: Header=BB85_19 Depth=1
	s_andn2_saveexec_b64 s[24:25], s[24:25]
	s_cbranch_execnz .LBB85_50
.LBB85_39:                              ;   in Loop: Header=BB85_19 Depth=1
	s_or_b64 exec, exec, s[24:25]
	v_mov_b32_e32 v43, 0
	s_and_saveexec_b64 s[24:25], s[20:21]
	s_cbranch_execz .LBB85_41
.LBB85_40:                              ;   in Loop: Header=BB85_19 Depth=1
	v_and_b32_e32 v26, 0xffff, v26
	v_bfe_u32 v28, v26, 3, 4
	v_and_b32_e32 v26, 7, v26
	v_cvt_f32_ubyte0_e32 v26, v26
	v_fma_f32 v43, v26, s33, 1.0
	v_add_u32_e32 v44, -7, v28
	v_cmp_eq_u32_e32 vcc, 0, v28
	v_cndmask_b32_e32 v26, v43, v26, vcc
	v_cndmask_b32_e64 v28, v44, -9, vcc
	v_ldexp_f32 v26, v26, v28
	v_mul_f32_e32 v43, 0.5, v26
.LBB85_41:                              ;   in Loop: Header=BB85_19 Depth=1
	s_or_b64 exec, exec, s[24:25]
	v_add_co_u32_e32 v44, vcc, v21, v37
	v_addc_co_u32_e32 v45, vcc, 0, v22, vcc
	global_load_ubyte v26, v[44:45], off
	global_load_dwordx2 v[21:22], v[23:24], off offset:12
	s_mov_b64 s[20:21], 0
	s_waitcnt vmcnt(1)
	v_cmp_lt_i16_e32 vcc, s30, v26
	s_and_saveexec_b64 s[24:25], vcc
	s_xor_b64 s[24:25], exec, s[24:25]
	s_cbranch_execnz .LBB85_51
; %bb.42:                               ;   in Loop: Header=BB85_19 Depth=1
	s_andn2_saveexec_b64 s[24:25], s[24:25]
	s_cbranch_execnz .LBB85_52
.LBB85_43:                              ;   in Loop: Header=BB85_19 Depth=1
	s_or_b64 exec, exec, s[24:25]
	v_mov_b32_e32 v44, 0
	s_and_saveexec_b64 s[24:25], s[20:21]
	s_cbranch_execnz .LBB85_53
.LBB85_44:                              ;   in Loop: Header=BB85_19 Depth=1
	s_or_b64 exec, exec, s[24:25]
	s_and_b64 vcc, exec, s[6:7]
	s_cbranch_vccz .LBB85_54
	s_branch .LBB85_18
.LBB85_45:                              ;   in Loop: Header=BB85_19 Depth=1
	v_cmp_ne_u16_e32 vcc, s31, v22
	s_and_b64 s[6:7], vcc, exec
	s_andn2_saveexec_b64 s[20:21], s[20:21]
	s_cbranch_execz .LBB85_21
.LBB85_46:                              ;   in Loop: Header=BB85_19 Depth=1
	v_cmp_ne_u16_e32 vcc, 0, v22
	s_andn2_b64 s[6:7], s[6:7], exec
	s_and_b64 s[24:25], vcc, exec
	s_or_b64 s[6:7], s[6:7], s[24:25]
	s_or_b64 exec, exec, s[20:21]
	v_mov_b32_e32 v41, 0
	s_and_saveexec_b64 s[20:21], s[6:7]
	s_cbranch_execnz .LBB85_22
	s_branch .LBB85_23
.LBB85_47:                              ;   in Loop: Header=BB85_19 Depth=1
	v_cmp_ne_u16_e32 vcc, s31, v22
	s_and_b64 s[6:7], vcc, exec
	s_andn2_saveexec_b64 s[20:21], s[20:21]
	s_cbranch_execz .LBB85_25
.LBB85_48:                              ;   in Loop: Header=BB85_19 Depth=1
	v_cmp_ne_u16_e32 vcc, 0, v22
	s_andn2_b64 s[6:7], s[6:7], exec
	s_and_b64 s[24:25], vcc, exec
	s_or_b64 s[6:7], s[6:7], s[24:25]
	s_or_b64 exec, exec, s[20:21]
	v_mov_b32_e32 v42, 0
	s_and_saveexec_b64 s[20:21], s[6:7]
	s_cbranch_execnz .LBB85_26
	s_branch .LBB85_27
.LBB85_49:                              ;   in Loop: Header=BB85_19 Depth=1
	v_cmp_ne_u16_e32 vcc, s31, v26
	s_and_b64 s[20:21], vcc, exec
	s_andn2_saveexec_b64 s[24:25], s[24:25]
	s_cbranch_execz .LBB85_39
.LBB85_50:                              ;   in Loop: Header=BB85_19 Depth=1
	v_cmp_ne_u16_e32 vcc, 0, v26
	s_andn2_b64 s[20:21], s[20:21], exec
	s_and_b64 s[40:41], vcc, exec
	s_or_b64 s[20:21], s[20:21], s[40:41]
	s_or_b64 exec, exec, s[24:25]
	v_mov_b32_e32 v43, 0
	s_and_saveexec_b64 s[24:25], s[20:21]
	s_cbranch_execnz .LBB85_40
	s_branch .LBB85_41
.LBB85_51:                              ;   in Loop: Header=BB85_19 Depth=1
	v_cmp_ne_u16_e32 vcc, s31, v26
	s_and_b64 s[20:21], vcc, exec
	s_andn2_saveexec_b64 s[24:25], s[24:25]
	s_cbranch_execz .LBB85_43
.LBB85_52:                              ;   in Loop: Header=BB85_19 Depth=1
	v_cmp_ne_u16_e32 vcc, 0, v26
	s_andn2_b64 s[20:21], s[20:21], exec
	s_and_b64 s[40:41], vcc, exec
	s_or_b64 s[20:21], s[20:21], s[40:41]
	s_or_b64 exec, exec, s[24:25]
	v_mov_b32_e32 v44, 0
	s_and_saveexec_b64 s[24:25], s[20:21]
	s_cbranch_execz .LBB85_44
.LBB85_53:                              ;   in Loop: Header=BB85_19 Depth=1
	v_and_b32_e32 v23, 0xffff, v26
	v_bfe_u32 v24, v23, 3, 4
	v_and_b32_e32 v23, 7, v23
	v_cvt_f32_ubyte0_e32 v23, v23
	v_fma_f32 v26, v23, s33, 1.0
	v_add_u32_e32 v28, -7, v24
	v_cmp_eq_u32_e32 vcc, 0, v24
	v_cndmask_b32_e32 v23, v26, v23, vcc
	v_cndmask_b32_e64 v24, v28, -9, vcc
	v_ldexp_f32 v23, v23, v24
	v_mul_f32_e32 v44, 0.5, v23
	s_or_b64 exec, exec, s[24:25]
	s_and_b64 vcc, exec, s[6:7]
	s_cbranch_vccnz .LBB85_18
.LBB85_54:                              ;   in Loop: Header=BB85_19 Depth=1
	v_mad_i64_i32 v[25:26], s[6:7], v25, 36, s[28:29]
	s_mov_b64 s[6:7], 0
	v_add_co_u32_e32 v23, vcc, v25, v36
	v_addc_co_u32_e32 v24, vcc, 0, v26, vcc
	v_add_co_u32_e32 v27, vcc, v25, v27
	global_load_ubyte v46, v[23:24], off
	v_addc_co_u32_e32 v28, vcc, 0, v26, vcc
	global_load_dwordx2 v[23:24], v[27:28], off offset:4
	s_waitcnt vmcnt(1)
	v_cmp_lt_i16_e32 vcc, s30, v46
	s_and_saveexec_b64 s[20:21], vcc
	s_xor_b64 s[20:21], exec, s[20:21]
	s_cbranch_execnz .LBB85_65
; %bb.55:                               ;   in Loop: Header=BB85_19 Depth=1
	s_andn2_saveexec_b64 s[20:21], s[20:21]
	s_cbranch_execnz .LBB85_66
.LBB85_56:                              ;   in Loop: Header=BB85_19 Depth=1
	s_or_b64 exec, exec, s[20:21]
	v_mov_b32_e32 v45, 0
	s_and_saveexec_b64 s[20:21], s[6:7]
	s_cbranch_execz .LBB85_58
.LBB85_57:                              ;   in Loop: Header=BB85_19 Depth=1
	v_and_b32_e32 v45, 0xffff, v46
	v_bfe_u32 v46, v45, 3, 4
	v_and_b32_e32 v45, 7, v45
	v_cvt_f32_ubyte0_e32 v45, v45
	v_fma_f32 v47, v45, s33, 1.0
	v_add_u32_e32 v48, -7, v46
	v_cmp_eq_u32_e32 vcc, 0, v46
	v_cndmask_b32_e32 v45, v47, v45, vcc
	v_cndmask_b32_e64 v46, v48, -9, vcc
	v_ldexp_f32 v45, v45, v46
	v_mul_f32_e32 v45, 0.5, v45
.LBB85_58:                              ;   in Loop: Header=BB85_19 Depth=1
	s_or_b64 exec, exec, s[20:21]
	v_add_co_u32_e32 v47, vcc, v25, v37
	v_addc_co_u32_e32 v48, vcc, 0, v26, vcc
	global_load_ubyte v46, v[47:48], off
	global_load_dwordx2 v[25:26], v[27:28], off offset:12
	s_mov_b64 s[6:7], 0
	s_waitcnt vmcnt(1)
	v_cmp_lt_i16_e32 vcc, s30, v46
	s_and_saveexec_b64 s[20:21], vcc
	s_xor_b64 s[20:21], exec, s[20:21]
	s_cbranch_execnz .LBB85_67
; %bb.59:                               ;   in Loop: Header=BB85_19 Depth=1
	s_andn2_saveexec_b64 s[20:21], s[20:21]
	s_cbranch_execnz .LBB85_68
.LBB85_60:                              ;   in Loop: Header=BB85_19 Depth=1
	s_or_b64 exec, exec, s[20:21]
	v_mov_b32_e32 v27, 0
	s_and_saveexec_b64 s[20:21], s[6:7]
	s_cbranch_execz .LBB85_17
	s_branch .LBB85_69
.LBB85_61:                              ;   in Loop: Header=BB85_19 Depth=1
	v_cmp_ne_u16_e32 vcc, s31, v26
	s_and_b64 s[20:21], vcc, exec
	s_andn2_saveexec_b64 s[24:25], s[24:25]
	s_cbranch_execz .LBB85_30
.LBB85_62:                              ;   in Loop: Header=BB85_19 Depth=1
	v_cmp_ne_u16_e32 vcc, 0, v26
	s_andn2_b64 s[20:21], s[20:21], exec
	s_and_b64 s[40:41], vcc, exec
	s_or_b64 s[20:21], s[20:21], s[40:41]
	s_or_b64 exec, exec, s[24:25]
	v_mov_b32_e32 v25, 0
	s_and_saveexec_b64 s[24:25], s[20:21]
	s_cbranch_execnz .LBB85_31
	s_branch .LBB85_32
.LBB85_63:                              ;   in Loop: Header=BB85_19 Depth=1
	v_cmp_ne_u16_e32 vcc, s31, v26
	s_and_b64 s[20:21], vcc, exec
	s_andn2_saveexec_b64 s[24:25], s[24:25]
	s_cbranch_execz .LBB85_34
.LBB85_64:                              ;   in Loop: Header=BB85_19 Depth=1
	v_cmp_ne_u16_e32 vcc, 0, v26
	s_andn2_b64 s[20:21], s[20:21], exec
	s_and_b64 s[40:41], vcc, exec
	s_or_b64 s[20:21], s[20:21], s[40:41]
	s_or_b64 exec, exec, s[24:25]
	v_mov_b32_e32 v23, 0
	s_and_saveexec_b64 s[24:25], s[20:21]
	s_cbranch_execnz .LBB85_35
	s_branch .LBB85_36
.LBB85_65:                              ;   in Loop: Header=BB85_19 Depth=1
	v_cmp_ne_u16_e32 vcc, s31, v46
	s_and_b64 s[6:7], vcc, exec
	s_andn2_saveexec_b64 s[20:21], s[20:21]
	s_cbranch_execz .LBB85_56
.LBB85_66:                              ;   in Loop: Header=BB85_19 Depth=1
	v_cmp_ne_u16_e32 vcc, 0, v46
	s_andn2_b64 s[6:7], s[6:7], exec
	s_and_b64 s[24:25], vcc, exec
	s_or_b64 s[6:7], s[6:7], s[24:25]
	s_or_b64 exec, exec, s[20:21]
	v_mov_b32_e32 v45, 0
	s_and_saveexec_b64 s[20:21], s[6:7]
	s_cbranch_execnz .LBB85_57
	s_branch .LBB85_58
.LBB85_67:                              ;   in Loop: Header=BB85_19 Depth=1
	v_cmp_ne_u16_e32 vcc, s31, v46
	s_and_b64 s[6:7], vcc, exec
	s_andn2_saveexec_b64 s[20:21], s[20:21]
	s_cbranch_execz .LBB85_60
.LBB85_68:                              ;   in Loop: Header=BB85_19 Depth=1
	v_cmp_ne_u16_e32 vcc, 0, v46
	s_andn2_b64 s[6:7], s[6:7], exec
	s_and_b64 s[24:25], vcc, exec
	s_or_b64 s[6:7], s[6:7], s[24:25]
	s_or_b64 exec, exec, s[20:21]
	v_mov_b32_e32 v27, 0
	s_and_saveexec_b64 s[20:21], s[6:7]
	s_cbranch_execz .LBB85_17
.LBB85_69:                              ;   in Loop: Header=BB85_19 Depth=1
	v_and_b32_e32 v27, 0xffff, v46
	v_bfe_u32 v28, v27, 3, 4
	v_and_b32_e32 v27, 7, v27
	v_cvt_f32_ubyte0_e32 v27, v27
	v_fma_f32 v46, v27, s33, 1.0
	v_add_u32_e32 v47, -7, v28
	v_cmp_eq_u32_e32 vcc, 0, v28
	v_cndmask_b32_e32 v27, v46, v27, vcc
	v_cndmask_b32_e64 v28, v47, -9, vcc
	v_ldexp_f32 v27, v27, v28
	v_mul_f32_e32 v27, 0.5, v27
	s_branch .LBB85_17
.LBB85_70:
	s_or_b64 exec, exec, s[14:15]
.LBB85_71:
	s_or_b64 exec, exec, s[10:11]
	s_load_dword s14, s[4:5], 0x30
	v_cmp_eq_u32_e64 s[6:7], 0, v1
	v_cmp_ne_u32_e32 vcc, 0, v1
	s_and_saveexec_b64 s[10:11], vcc
	s_cbranch_execz .LBB85_76
; %bb.72:
	v_lshl_or_b32 v1, v1, 9, v29
	v_add_u32_e32 v2, 0xfffffe00, v1
	s_mov_b64 s[12:13], -1
	s_and_b64 vcc, exec, s[38:39]
	ds_write_b32 v2, v33
	s_cbranch_vccz .LBB85_74
; %bb.73:
	ds_write_b32 v2, v12 offset:256
	s_mov_b64 s[12:13], 0
.LBB85_74:
	s_andn2_b64 vcc, exec, s[12:13]
	s_cbranch_vccnz .LBB85_76
; %bb.75:
	ds_write_b32 v2, v12 offset:256
	ds_write2st64_b32 v1, v10, v11 offset1:1
.LBB85_76:
	s_or_b64 exec, exec, s[10:11]
	s_waitcnt vmcnt(0) lgkmcnt(0)
	s_barrier
	s_and_saveexec_b64 s[10:11], s[6:7]
	s_cbranch_execz .LBB85_109
; %bb.77:
	ds_read_b32 v3, v29
	v_cndmask_b32_e64 v1, 0, 1, s[18:19]
	v_cmp_ne_u32_e64 s[6:7], 1, v1
	s_andn2_b64 vcc, exec, s[18:19]
	v_or_b32_e32 v2, 0x200, v29
	s_cbranch_vccnz .LBB85_79
; %bb.78:
	ds_read_b32 v1, v2
	s_waitcnt lgkmcnt(0)
	v_add_f32_e32 v10, v10, v1
.LBB85_79:
	v_mbcnt_lo_u32_b32 v1, -1, 0
	v_mbcnt_hi_u32_b32 v4, -1, v1
	v_and_b32_e32 v1, 64, v4
	v_add_u32_e32 v9, 64, v1
	v_xor_b32_e32 v1, 32, v4
	v_cmp_lt_i32_e32 vcc, v1, v9
	v_cndmask_b32_e32 v1, v4, v1, vcc
	v_lshlrev_b32_e32 v1, 2, v1
	s_waitcnt lgkmcnt(0)
	v_add_f32_e32 v3, v33, v3
	ds_bpermute_b32 v6, v1, v3
	v_xor_b32_e32 v5, 16, v4
	v_cmp_lt_i32_e32 vcc, v5, v9
	v_cndmask_b32_e32 v5, v4, v5, vcc
	v_lshlrev_b32_e32 v5, 2, v5
	s_waitcnt lgkmcnt(0)
	v_add_f32_e32 v3, v3, v6
	ds_bpermute_b32 v7, v5, v3
	;; [unrolled: 7-line block ×6, first 2 shown]
	s_and_b64 vcc, exec, s[6:7]
	s_cbranch_vccnz .LBB85_81
; %bb.80:
	ds_bpermute_b32 v13, v1, v10
	s_waitcnt lgkmcnt(0)
	v_add_f32_e32 v10, v10, v13
	ds_bpermute_b32 v13, v5, v10
	s_waitcnt lgkmcnt(0)
	v_add_f32_e32 v10, v10, v13
	;; [unrolled: 3-line block ×6, first 2 shown]
.LBB85_81:
	ds_read_b32 v13, v29 offset:256
	s_and_b64 vcc, exec, s[6:7]
	s_cbranch_vccnz .LBB85_83
; %bb.82:
	ds_read_b32 v2, v2 offset:256
	s_waitcnt lgkmcnt(0)
	v_add_f32_e32 v11, v11, v2
.LBB85_83:
	s_waitcnt lgkmcnt(0)
	v_add_f32_e32 v2, v12, v13
	ds_bpermute_b32 v12, v1, v2
	s_and_b64 vcc, exec, s[6:7]
	s_waitcnt lgkmcnt(0)
	v_add_f32_e32 v2, v2, v12
	ds_bpermute_b32 v12, v5, v2
	s_waitcnt lgkmcnt(0)
	v_add_f32_e32 v2, v2, v12
	ds_bpermute_b32 v12, v6, v2
	;; [unrolled: 3-line block ×5, first 2 shown]
	s_cbranch_vccnz .LBB85_85
; %bb.84:
	ds_bpermute_b32 v1, v1, v11
	s_waitcnt lgkmcnt(0)
	v_add_f32_e32 v1, v11, v1
	ds_bpermute_b32 v5, v5, v1
	s_waitcnt lgkmcnt(0)
	v_add_f32_e32 v1, v1, v5
	;; [unrolled: 3-line block ×6, first 2 shown]
.LBB85_85:
	v_cmp_gt_u32_e32 vcc, s9, v30
	v_cmp_gt_u32_e64 s[10:11], 2, v0
	s_and_b64 s[10:11], s[10:11], vcc
	s_and_b64 exec, exec, s[10:11]
	s_cbranch_execz .LBB85_109
; %bb.86:
	v_add_f32_e32 v1, v3, v4
	s_waitcnt lgkmcnt(0)
	v_add_f32_e32 v2, v2, v12
	v_cmp_eq_u32_e64 s[10:11], 1, v0
	v_cndmask_b32_e64 v0, v1, v2, s[10:11]
	v_add_f32_e32 v1, v32, v0
	s_and_b64 vcc, exec, s[6:7]
	v_cndmask_b32_e64 v0, v1, v0, s[0:1]
	s_cbranch_vccnz .LBB85_108
; %bb.87:
	v_cndmask_b32_e64 v1, v10, v11, s[10:11]
	v_add_f32_e32 v2, v31, v1
	v_cndmask_b32_e64 v1, v1, v2, s[2:3]
	s_cmp_lt_i32 s14, 2
	s_mov_b64 s[0:1], 0
	s_cbranch_scc1 .LBB85_91
; %bb.88:
	s_cmp_gt_i32 s14, 2
	s_cbranch_scc0 .LBB85_92
; %bb.89:
	s_cmp_eq_u32 s14, 3
	s_cbranch_scc0 .LBB85_93
; %bb.90:
	v_max_f32_e32 v2, v1, v1
	v_min_f32_e32 v2, 0x40e00000, v2
	v_mul_f32_e32 v3, 0xbfd9db23, v2
	s_mov_b32 s2, 0x3fb8aa3b
	v_mul_f32_e32 v4, 0x3fb8aa3b, v3
	v_fma_f32 v5, v3, s2, -v4
	v_rndne_f32_e32 v6, v4
	v_fmac_f32_e32 v5, 0x32a5705f, v3
	v_sub_f32_e32 v4, v4, v6
	v_add_f32_e32 v4, v4, v5
	v_exp_f32_e32 v4, v4
	v_cvt_i32_f32_e32 v5, v6
	s_mov_b32 s2, 0xc2ce8ed0
	v_cmp_ngt_f32_e32 vcc, s2, v3
	s_mov_b32 s2, 0x42b17218
	v_ldexp_f32 v4, v4, v5
	v_cndmask_b32_e32 v4, 0, v4, vcc
	v_mov_b32_e32 v5, 0x7f800000
	v_cmp_nlt_f32_e32 vcc, s2, v3
	v_cndmask_b32_e32 v3, v5, v4, vcc
	v_add_f32_e32 v3, 1.0, v3
	v_div_scale_f32 v4, s[2:3], v3, v3, v2
	v_div_scale_f32 v5, vcc, v2, v3, v2
	s_mov_b64 s[2:3], 0
	v_rcp_f32_e32 v6, v4
	v_fma_f32 v7, -v4, v6, 1.0
	v_fmac_f32_e32 v6, v7, v6
	v_mul_f32_e32 v7, v5, v6
	v_fma_f32 v8, -v4, v7, v5
	v_fmac_f32_e32 v7, v8, v6
	v_fma_f32 v4, -v4, v7, v5
	v_div_fmas_f32 v4, v4, v6, v7
	v_max_f32_e32 v5, v0, v0
	v_min_f32_e32 v5, 0x40e00000, v5
	v_max_f32_e32 v5, 0xc0e00000, v5
	v_add_f32_e32 v5, 1.0, v5
	v_div_fixup_f32 v2, v4, v3, v2
	v_mul_f32_e32 v2, v5, v2
	s_branch .LBB85_94
.LBB85_91:
                                        ; implicit-def: $vgpr2
	s_mov_b64 s[2:3], 0
	s_cbranch_execnz .LBB85_98
	s_branch .LBB85_99
.LBB85_92:
	s_mov_b64 s[6:7], -1
	s_mov_b64 s[2:3], 0
                                        ; implicit-def: $vgpr2
	s_branch .LBB85_95
.LBB85_93:
	s_mov_b64 s[2:3], -1
                                        ; implicit-def: $vgpr2
.LBB85_94:
	s_mov_b64 s[6:7], 0
.LBB85_95:
	s_and_b64 vcc, exec, s[6:7]
	s_cbranch_vccz .LBB85_97
; %bb.96:
	v_mul_f32_e32 v2, 0xbfb8aa3b, v1
	s_mov_b32 s6, 0xbfb8aa3b
	v_rndne_f32_e32 v3, v2
	v_sub_f32_e32 v4, v2, v3
	v_fma_f32 v2, v1, s6, -v2
	v_fmac_f32_e32 v2, 0xb2a5705f, v1
	v_add_f32_e32 v2, v4, v2
	v_exp_f32_e32 v2, v2
	v_cvt_i32_f32_e32 v3, v3
	s_mov_b32 s6, 0x42ce8ed0
	v_cmp_nlt_f32_e32 vcc, s6, v1
	s_mov_b32 s6, 0xc2b17218
	v_ldexp_f32 v2, v2, v3
	v_cndmask_b32_e32 v2, 0, v2, vcc
	v_mov_b32_e32 v3, 0x7f800000
	v_cmp_ngt_f32_e32 vcc, s6, v1
	v_cndmask_b32_e32 v2, v3, v2, vcc
	v_add_f32_e32 v2, 1.0, v2
	v_div_scale_f32 v3, s[6:7], v2, v2, v1
	v_div_scale_f32 v4, vcc, v1, v2, v1
	v_rcp_f32_e32 v5, v3
	v_fma_f32 v6, -v3, v5, 1.0
	v_fmac_f32_e32 v5, v6, v5
	v_mul_f32_e32 v6, v4, v5
	v_fma_f32 v7, -v3, v6, v4
	v_fmac_f32_e32 v6, v7, v5
	v_fma_f32 v3, -v3, v6, v4
	v_div_fmas_f32 v3, v3, v5, v6
	v_div_fixup_f32 v2, v3, v2, v1
	v_mul_f32_e32 v2, v0, v2
.LBB85_97:
	s_branch .LBB85_99
.LBB85_98:
	s_cmp_lg_u32 s14, 1
	s_mov_b64 s[0:1], -1
	s_cselect_b64 s[2:3], -1, 0
.LBB85_99:
	s_andn2_b64 vcc, exec, s[2:3]
	s_cbranch_vccz .LBB85_101
; %bb.100:
	s_andn2_b64 vcc, exec, s[0:1]
	s_cbranch_vccz .LBB85_102
	s_branch .LBB85_107
.LBB85_101:
	v_mul_f32_e32 v2, v1, v0
	s_cbranch_execnz .LBB85_107
.LBB85_102:
	v_mul_f32_e32 v3, 0x3d372713, v1
	v_mul_f32_e32 v2, 0x3f4c422a, v1
	v_fma_f32 v3, v1, v3, 1.0
	v_mul_f32_e32 v2, v2, v3
	s_mov_b32 s0, 0x3f200000
	v_cmp_nlt_f32_e64 s[0:1], |v2|, s0
                                        ; implicit-def: $vgpr3
	s_and_saveexec_b64 s[2:3], s[0:1]
	s_xor_b64 s[0:1], exec, s[2:3]
	s_cbranch_execz .LBB85_104
; %bb.103:
	v_add_f32_e64 v3, |v2|, |v2|
	v_mul_f32_e32 v4, 0x3fb8aa3b, v3
	s_mov_b32 s2, 0x3fb8aa3b
	v_rndne_f32_e32 v5, v4
	v_sub_f32_e32 v6, v4, v5
	v_fma_f32 v4, v3, s2, -v4
	v_fmac_f32_e32 v4, 0x32a5705f, v3
	v_add_f32_e32 v4, v6, v4
	v_exp_f32_e32 v4, v4
	v_cvt_i32_f32_e32 v5, v5
	s_mov_b32 s2, 0xc2ce8ed0
	v_cmp_ngt_f32_e32 vcc, s2, v3
	s_mov_b32 s2, 0x42b17218
	v_ldexp_f32 v4, v4, v5
	v_cndmask_b32_e32 v4, 0, v4, vcc
	v_mov_b32_e32 v5, 0x7f800000
	v_cmp_nlt_f32_e32 vcc, s2, v3
	v_cndmask_b32_e32 v3, v5, v4, vcc
	v_add_f32_e32 v3, 1.0, v3
	v_rcp_f32_e32 v3, v3
	v_fma_f32 v3, v3, -2.0, 1.0
.LBB85_104:
	s_andn2_saveexec_b64 s[0:1], s[0:1]
	s_cbranch_execz .LBB85_106
; %bb.105:
	v_mul_f32_e32 v3, v2, v2
	v_mov_b32_e32 v4, 0x3ca908c9
	v_fmac_f32_e32 v4, 0xbbbac73d, v3
	v_mov_b32_e32 v5, 0xbd5c1c4e
	v_fmac_f32_e32 v5, v3, v4
	;; [unrolled: 2-line block ×4, first 2 shown]
	v_mul_f32_e64 v4, |v2|, v5
	v_fma_f32 v3, v3, v4, |v2|
.LBB85_106:
	s_or_b64 exec, exec, s[0:1]
	s_brev_b32 s0, -2
	v_bfi_b32 v2, s0, v3, v2
	v_mul_f32_e32 v1, 0.5, v1
	v_add_f32_e32 v2, 1.0, v2
	v_mul_f32_e32 v1, v1, v2
	v_mul_f32_e32 v2, v0, v1
.LBB85_107:
	v_mov_b32_e32 v0, v2
.LBB85_108:
	s_load_dwordx2 s[0:1], s[4:5], 0x38
	s_mul_i32 s3, s22, s34
	s_mul_i32 s2, s26, s8
	s_add_i32 s3, s3, s16
	s_add_i32 s2, s3, s2
	s_mov_b32 s3, 0
	s_lshl_b64 s[2:3], s[2:3], 2
	s_waitcnt lgkmcnt(0)
	s_add_u32 s0, s0, s2
	s_addc_u32 s1, s1, s3
	global_store_dword v29, v0, s[0:1]
.LBB85_109:
	s_endpgm
	.section	.rodata,"a",@progbits
	.p2align	6, 0x0
	.amdhsa_kernel _ZL13mul_mat_vec_qIL9ggml_type40ELi1ELb1ELb1EEvPKvS2_PKi31ggml_cuda_mm_fusion_args_devicePfj15HIP_vector_typeIjLj3EEjjjS8_jjjS8_jjjj
		.amdhsa_group_segment_fixed_size 1024
		.amdhsa_private_segment_fixed_size 0
		.amdhsa_kernarg_size 144
		.amdhsa_user_sgpr_count 6
		.amdhsa_user_sgpr_private_segment_buffer 1
		.amdhsa_user_sgpr_dispatch_ptr 0
		.amdhsa_user_sgpr_queue_ptr 0
		.amdhsa_user_sgpr_kernarg_segment_ptr 1
		.amdhsa_user_sgpr_dispatch_id 0
		.amdhsa_user_sgpr_flat_scratch_init 0
		.amdhsa_user_sgpr_private_segment_size 0
		.amdhsa_uses_dynamic_stack 0
		.amdhsa_system_sgpr_private_segment_wavefront_offset 0
		.amdhsa_system_sgpr_workgroup_id_x 1
		.amdhsa_system_sgpr_workgroup_id_y 1
		.amdhsa_system_sgpr_workgroup_id_z 1
		.amdhsa_system_sgpr_workgroup_info 0
		.amdhsa_system_vgpr_workitem_id 1
		.amdhsa_next_free_vgpr 49
		.amdhsa_next_free_sgpr 44
		.amdhsa_reserve_vcc 1
		.amdhsa_reserve_flat_scratch 0
		.amdhsa_float_round_mode_32 0
		.amdhsa_float_round_mode_16_64 0
		.amdhsa_float_denorm_mode_32 3
		.amdhsa_float_denorm_mode_16_64 3
		.amdhsa_dx10_clamp 1
		.amdhsa_ieee_mode 1
		.amdhsa_fp16_overflow 0
		.amdhsa_exception_fp_ieee_invalid_op 0
		.amdhsa_exception_fp_denorm_src 0
		.amdhsa_exception_fp_ieee_div_zero 0
		.amdhsa_exception_fp_ieee_overflow 0
		.amdhsa_exception_fp_ieee_underflow 0
		.amdhsa_exception_fp_ieee_inexact 0
		.amdhsa_exception_int_div_zero 0
	.end_amdhsa_kernel
	.section	.text._ZL13mul_mat_vec_qIL9ggml_type40ELi1ELb1ELb1EEvPKvS2_PKi31ggml_cuda_mm_fusion_args_devicePfj15HIP_vector_typeIjLj3EEjjjS8_jjjS8_jjjj,"axG",@progbits,_ZL13mul_mat_vec_qIL9ggml_type40ELi1ELb1ELb1EEvPKvS2_PKi31ggml_cuda_mm_fusion_args_devicePfj15HIP_vector_typeIjLj3EEjjjS8_jjjS8_jjjj,comdat
.Lfunc_end85:
	.size	_ZL13mul_mat_vec_qIL9ggml_type40ELi1ELb1ELb1EEvPKvS2_PKi31ggml_cuda_mm_fusion_args_devicePfj15HIP_vector_typeIjLj3EEjjjS8_jjjS8_jjjj, .Lfunc_end85-_ZL13mul_mat_vec_qIL9ggml_type40ELi1ELb1ELb1EEvPKvS2_PKi31ggml_cuda_mm_fusion_args_devicePfj15HIP_vector_typeIjLj3EEjjjS8_jjjS8_jjjj
                                        ; -- End function
	.set _ZL13mul_mat_vec_qIL9ggml_type40ELi1ELb1ELb1EEvPKvS2_PKi31ggml_cuda_mm_fusion_args_devicePfj15HIP_vector_typeIjLj3EEjjjS8_jjjS8_jjjj.num_vgpr, 49
	.set _ZL13mul_mat_vec_qIL9ggml_type40ELi1ELb1ELb1EEvPKvS2_PKi31ggml_cuda_mm_fusion_args_devicePfj15HIP_vector_typeIjLj3EEjjjS8_jjjS8_jjjj.num_agpr, 0
	.set _ZL13mul_mat_vec_qIL9ggml_type40ELi1ELb1ELb1EEvPKvS2_PKi31ggml_cuda_mm_fusion_args_devicePfj15HIP_vector_typeIjLj3EEjjjS8_jjjS8_jjjj.numbered_sgpr, 44
	.set _ZL13mul_mat_vec_qIL9ggml_type40ELi1ELb1ELb1EEvPKvS2_PKi31ggml_cuda_mm_fusion_args_devicePfj15HIP_vector_typeIjLj3EEjjjS8_jjjS8_jjjj.num_named_barrier, 0
	.set _ZL13mul_mat_vec_qIL9ggml_type40ELi1ELb1ELb1EEvPKvS2_PKi31ggml_cuda_mm_fusion_args_devicePfj15HIP_vector_typeIjLj3EEjjjS8_jjjS8_jjjj.private_seg_size, 0
	.set _ZL13mul_mat_vec_qIL9ggml_type40ELi1ELb1ELb1EEvPKvS2_PKi31ggml_cuda_mm_fusion_args_devicePfj15HIP_vector_typeIjLj3EEjjjS8_jjjS8_jjjj.uses_vcc, 1
	.set _ZL13mul_mat_vec_qIL9ggml_type40ELi1ELb1ELb1EEvPKvS2_PKi31ggml_cuda_mm_fusion_args_devicePfj15HIP_vector_typeIjLj3EEjjjS8_jjjS8_jjjj.uses_flat_scratch, 0
	.set _ZL13mul_mat_vec_qIL9ggml_type40ELi1ELb1ELb1EEvPKvS2_PKi31ggml_cuda_mm_fusion_args_devicePfj15HIP_vector_typeIjLj3EEjjjS8_jjjS8_jjjj.has_dyn_sized_stack, 0
	.set _ZL13mul_mat_vec_qIL9ggml_type40ELi1ELb1ELb1EEvPKvS2_PKi31ggml_cuda_mm_fusion_args_devicePfj15HIP_vector_typeIjLj3EEjjjS8_jjjS8_jjjj.has_recursion, 0
	.set _ZL13mul_mat_vec_qIL9ggml_type40ELi1ELb1ELb1EEvPKvS2_PKi31ggml_cuda_mm_fusion_args_devicePfj15HIP_vector_typeIjLj3EEjjjS8_jjjS8_jjjj.has_indirect_call, 0
	.section	.AMDGPU.csdata,"",@progbits
; Kernel info:
; codeLenInByte = 6328
; TotalNumSgprs: 48
; NumVgprs: 49
; ScratchSize: 0
; MemoryBound: 0
; FloatMode: 240
; IeeeMode: 1
; LDSByteSize: 1024 bytes/workgroup (compile time only)
; SGPRBlocks: 5
; VGPRBlocks: 12
; NumSGPRsForWavesPerEU: 48
; NumVGPRsForWavesPerEU: 49
; Occupancy: 4
; WaveLimiterHint : 0
; COMPUTE_PGM_RSRC2:SCRATCH_EN: 0
; COMPUTE_PGM_RSRC2:USER_SGPR: 6
; COMPUTE_PGM_RSRC2:TRAP_HANDLER: 0
; COMPUTE_PGM_RSRC2:TGID_X_EN: 1
; COMPUTE_PGM_RSRC2:TGID_Y_EN: 1
; COMPUTE_PGM_RSRC2:TGID_Z_EN: 1
; COMPUTE_PGM_RSRC2:TIDIG_COMP_CNT: 1
	.section	.text._ZL13mul_mat_vec_qIL9ggml_type40ELi1ELb0ELb1EEvPKvS2_PKi31ggml_cuda_mm_fusion_args_devicePfj15HIP_vector_typeIjLj3EEjjjS8_jjjS8_jjjj,"axG",@progbits,_ZL13mul_mat_vec_qIL9ggml_type40ELi1ELb0ELb1EEvPKvS2_PKi31ggml_cuda_mm_fusion_args_devicePfj15HIP_vector_typeIjLj3EEjjjS8_jjjS8_jjjj,comdat
	.globl	_ZL13mul_mat_vec_qIL9ggml_type40ELi1ELb0ELb1EEvPKvS2_PKi31ggml_cuda_mm_fusion_args_devicePfj15HIP_vector_typeIjLj3EEjjjS8_jjjS8_jjjj ; -- Begin function _ZL13mul_mat_vec_qIL9ggml_type40ELi1ELb0ELb1EEvPKvS2_PKi31ggml_cuda_mm_fusion_args_devicePfj15HIP_vector_typeIjLj3EEjjjS8_jjjS8_jjjj
	.p2align	8
	.type	_ZL13mul_mat_vec_qIL9ggml_type40ELi1ELb0ELb1EEvPKvS2_PKi31ggml_cuda_mm_fusion_args_devicePfj15HIP_vector_typeIjLj3EEjjjS8_jjjS8_jjjj,@function
_ZL13mul_mat_vec_qIL9ggml_type40ELi1ELb0ELb1EEvPKvS2_PKi31ggml_cuda_mm_fusion_args_devicePfj15HIP_vector_typeIjLj3EEjjjS8_jjjS8_jjjj: ; @_ZL13mul_mat_vec_qIL9ggml_type40ELi1ELb0ELb1EEvPKvS2_PKi31ggml_cuda_mm_fusion_args_devicePfj15HIP_vector_typeIjLj3EEjjjS8_jjjS8_jjjj
; %bb.0:
	s_load_dwordx2 s[0:1], s[4:5], 0x10
	s_load_dwordx4 s[16:19], s[4:5], 0x40
	s_mov_b32 s10, s7
	s_mov_b64 s[14:15], 0
	s_waitcnt lgkmcnt(0)
	s_cmp_lg_u64 s[0:1], 0
	s_cselect_b64 s[12:13], -1, 0
	s_cmp_eq_u64 s[0:1], 0
	s_cbranch_scc1 .LBB86_5
; %bb.1:
	s_mov_b32 s11, 0
	s_lshl_b64 s[2:3], s[10:11], 2
	s_add_u32 s0, s0, s2
	s_addc_u32 s1, s1, s3
	s_load_dword s21, s[0:1], 0x0
	s_nop 0
	s_load_dwordx4 s[0:3], s[4:5], 0x68
	s_load_dword s20, s[4:5], 0x50
	s_andn2_b64 vcc, exec, s[14:15]
	s_cbranch_vccnz .LBB86_3
.LBB86_2:
	s_load_dwordx2 s[14:15], s[4:5], 0x5c
	s_waitcnt lgkmcnt(0)
	s_mul_hi_u32 s7, s14, s10
	s_add_i32 s7, s10, s7
	s_lshr_b32 s21, s7, s15
.LBB86_3:
	s_load_dword s22, s[4:5], 0x78
	s_andn2_b64 vcc, exec, s[12:13]
	s_cbranch_vccnz .LBB86_6
; %bb.4:
	s_mul_hi_u32 s7, s17, s10
	s_add_i32 s7, s10, s7
	s_lshr_b32 s7, s7, s18
	s_mul_i32 s7, s7, s19
	s_sub_i32 s23, s10, s7
	s_branch .LBB86_7
.LBB86_5:
                                        ; implicit-def: $sgpr21
	s_load_dwordx4 s[0:3], s[4:5], 0x68
	s_load_dword s20, s[4:5], 0x50
	s_branch .LBB86_2
.LBB86_6:
	s_mov_b32 s23, s10
.LBB86_7:
	s_load_dwordx4 s[12:15], s[4:5], 0x80
	v_lshlrev_b32_e32 v2, 6, v1
	v_add_u16_e32 v3, v2, v0
	s_lshr_b32 s11, s16, 6
	v_lshrrev_b16_e32 v25, 1, v3
	s_lshl_b32 s9, s6, 1
	v_cmp_gt_u32_e32 vcc, s11, v25
	v_mov_b32_e32 v24, 0
	v_lshlrev_b32_e32 v22, 2, v0
	v_mov_b32_e32 v23, 0
	s_and_saveexec_b64 s[6:7], vcc
	s_cbranch_execz .LBB86_35
; %bb.8:
	s_waitcnt lgkmcnt(0)
	s_mul_hi_u32 s3, s3, s8
	s_add_i32 s3, s8, s3
	s_lshr_b32 s3, s3, s22
	s_mul_i32 s1, s23, s1
	s_mul_i32 s0, s21, s0
	;; [unrolled: 1-line block ×3, first 2 shown]
	v_and_b32_e32 v4, 4, v22
	v_add_u32_e32 v2, v2, v0
	s_add_i32 s15, s0, s3
	v_or_b32_e32 v3, 2, v4
	s_mul_hi_u32 s0, s1, 36
	s_mul_i32 s1, s1, 36
	v_lshrrev_b32_e32 v27, 1, v3
	v_lshrrev_b32_e32 v6, 1, v2
	v_mov_b32_e32 v2, s1
	v_mov_b32_e32 v3, s0
	s_movk_i32 s0, 0x48
	v_mad_u64_u32 v[2:3], s[0:1], v6, s0, v[2:3]
	s_mul_i32 s13, s13, s8
	s_mul_i32 s0, s9, s20
	s_add_i32 s3, s15, s0
	v_mad_u64_u32 v[2:3], s[0:1], s13, 36, v[2:3]
	s_load_dwordx4 s[16:19], s[4:5], 0x0
	v_and_b32_e32 v5, 1, v0
	s_add_i32 s0, s9, 1
	s_mul_i32 s20, s20, s0
	v_mad_u64_u32 v[2:3], s[0:1], v5, 36, v[2:3]
	s_waitcnt lgkmcnt(0)
	v_mov_b32_e32 v5, s19
	v_lshrrev_b32_e32 v26, 1, v4
	v_add_co_u32_e32 v2, vcc, s18, v2
	v_addc_co_u32_e32 v3, vcc, v5, v3, vcc
	v_add_co_u32_e32 v10, vcc, 16, v2
	v_mov_b32_e32 v23, 0
	s_add_i32 s15, s15, s20
	v_addc_co_u32_e32 v11, vcc, 0, v3, vcc
	s_mov_b64 s[12:13], 0
	s_movk_i32 s20, 0x7e
	s_movk_i32 s21, 0x7f
	s_mov_b32 s22, 0x3e000000
	s_mov_b32 s23, 0xf4f8fafc
	;; [unrolled: 1-line block ×3, first 2 shown]
	v_lshlrev_b32_e32 v28, 2, v4
	v_mov_b32_e32 v29, 0xfdfeff00
	v_mov_b32_e32 v30, 0x3020100
	;; [unrolled: 1-line block ×3, first 2 shown]
	s_branch .LBB86_10
.LBB86_9:                               ;   in Loop: Header=BB86_10 Depth=1
	s_or_b64 exec, exec, s[18:19]
	v_ashrrev_i32_e32 v21, 4, v17
	v_and_b32_e32 v35, 0x7070707, v21
	v_lshrrev_b32_e32 v21, 1, v21
	v_and_b32_e32 v21, 0x4040404, v21
	v_perm_b32 v36, s23, v29, v35
	v_perm_b32 v35, s24, v30, v35
	v_or_b32_e32 v21, 0x3020100, v21
	v_perm_b32 v21, v36, v35, v21
	v_and_b32_e32 v35, 0x7070707, v17
	v_lshrrev_b32_e32 v17, 1, v17
	v_and_b32_e32 v17, 0x4040404, v17
	v_perm_b32 v36, s23, v29, v35
	v_perm_b32 v35, s24, v30, v35
	v_or_b32_e32 v17, 0x3020100, v17
	v_perm_b32 v17, v36, v35, v17
	v_ashrrev_i32_e32 v35, 4, v16
	v_and_b32_e32 v36, 0x7070707, v35
	v_lshrrev_b32_e32 v35, 1, v35
	v_and_b32_e32 v35, 0x4040404, v35
	v_perm_b32 v37, s23, v29, v36
	v_perm_b32 v36, s24, v30, v36
	v_or_b32_e32 v35, 0x3020100, v35
	v_perm_b32 v35, v37, v36, v35
	v_and_b32_e32 v36, 0x7070707, v16
	v_lshrrev_b32_e32 v16, 1, v16
	v_and_b32_e32 v16, 0x4040404, v16
	v_perm_b32 v37, s23, v29, v36
	v_perm_b32 v36, s24, v30, v36
	v_or_b32_e32 v16, 0x3020100, v16
	v_perm_b32 v16, v37, v36, v16
	v_dot4_i32_i8 v16, v16, v3, 0
	v_dot4_i32_i8 v16, v35, v5, v16
	;; [unrolled: 1-line block ×3, first 2 shown]
	v_ashrrev_i32_e32 v17, 4, v13
	v_and_b32_e32 v35, 0x7070707, v17
	v_lshrrev_b32_e32 v17, 1, v17
	v_and_b32_e32 v17, 0x4040404, v17
	v_perm_b32 v36, s23, v29, v35
	v_perm_b32 v35, s24, v30, v35
	v_or_b32_e32 v17, 0x3020100, v17
	v_perm_b32 v17, v36, v35, v17
	v_and_b32_e32 v35, 0x7070707, v13
	v_lshrrev_b32_e32 v13, 1, v13
	v_and_b32_e32 v13, 0x4040404, v13
	v_perm_b32 v36, s23, v29, v35
	v_perm_b32 v35, s24, v30, v35
	v_or_b32_e32 v13, 0x3020100, v13
	v_perm_b32 v13, v36, v35, v13
	v_ashrrev_i32_e32 v35, 4, v12
	v_and_b32_e32 v36, 0x7070707, v35
	v_lshrrev_b32_e32 v35, 1, v35
	v_and_b32_e32 v35, 0x4040404, v35
	v_perm_b32 v37, s23, v29, v36
	v_perm_b32 v36, s24, v30, v36
	v_or_b32_e32 v35, 0x3020100, v35
	v_perm_b32 v35, v37, v36, v35
	v_and_b32_e32 v36, 0x7070707, v12
	v_lshrrev_b32_e32 v12, 1, v12
	v_and_b32_e32 v12, 0x4040404, v12
	v_perm_b32 v37, s23, v29, v36
	v_perm_b32 v36, s24, v30, v36
	v_or_b32_e32 v12, 0x3020100, v12
	v_perm_b32 v12, v37, v36, v12
	v_dot4_i32_i8 v12, v12, v7, 0
	v_dot4_i32_i8 v12, v35, v9, v12
	;; [unrolled: 1-line block ×3, first 2 shown]
	v_cvt_f32_f16_e32 v6, v6
	v_dot4_i32_i8 v12, v17, v2, v12
	v_cvt_f32_i32_e32 v12, v12
	v_dot4_i32_i8 v13, v21, v31, v16
	v_cvt_f32_i32_e32 v13, v13
	v_mul_f32_e32 v16, v32, v6
	v_fma_f32 v12, v16, v12, 0
	v_mul_f32_e32 v16, v34, v6
	v_fmac_f32_e32 v12, v16, v13
	v_add_f32_e32 v23, v23, v12
	s_waitcnt vmcnt(0)
	v_ashrrev_i32_e32 v12, 4, v19
	v_and_b32_e32 v13, 0x7070707, v12
	v_lshrrev_b32_e32 v12, 1, v12
	v_and_b32_e32 v12, 0x4040404, v12
	v_perm_b32 v16, s23, v29, v13
	v_perm_b32 v13, s24, v30, v13
	v_or_b32_e32 v12, 0x3020100, v12
	v_lshrrev_b32_e32 v17, 1, v19
	v_perm_b32 v12, v16, v13, v12
	v_and_b32_e32 v13, 0x7070707, v19
	v_and_b32_e32 v17, 0x4040404, v17
	v_perm_b32 v16, s23, v29, v13
	v_perm_b32 v13, s24, v30, v13
	v_or_b32_e32 v17, 0x3020100, v17
	v_perm_b32 v13, v16, v13, v17
	v_ashrrev_i32_e32 v16, 4, v18
	v_and_b32_e32 v17, 0x7070707, v16
	v_lshrrev_b32_e32 v16, 1, v16
	v_and_b32_e32 v16, 0x4040404, v16
	v_perm_b32 v19, s23, v29, v17
	v_perm_b32 v17, s24, v30, v17
	v_or_b32_e32 v16, 0x3020100, v16
	v_perm_b32 v16, v19, v17, v16
	v_and_b32_e32 v17, 0x7070707, v18
	v_lshrrev_b32_e32 v18, 1, v18
	v_and_b32_e32 v18, 0x4040404, v18
	v_perm_b32 v19, s23, v29, v17
	v_perm_b32 v17, s24, v30, v17
	v_or_b32_e32 v18, 0x3020100, v18
	v_perm_b32 v17, v19, v17, v18
	v_dot4_i32_i8 v3, v17, v3, 0
	v_dot4_i32_i8 v3, v16, v5, v3
	;; [unrolled: 1-line block ×3, first 2 shown]
	v_ashrrev_i32_e32 v4, 4, v15
	v_and_b32_e32 v5, 0x7070707, v4
	v_lshrrev_b32_e32 v4, 1, v4
	v_and_b32_e32 v4, 0x4040404, v4
	v_perm_b32 v13, s23, v29, v5
	v_perm_b32 v5, s24, v30, v5
	v_or_b32_e32 v4, 0x3020100, v4
	v_perm_b32 v4, v13, v5, v4
	v_and_b32_e32 v5, 0x7070707, v15
	v_lshrrev_b32_e32 v15, 1, v15
	v_and_b32_e32 v15, 0x4040404, v15
	v_perm_b32 v13, s23, v29, v5
	v_perm_b32 v5, s24, v30, v5
	v_or_b32_e32 v15, 0x3020100, v15
	v_perm_b32 v5, v13, v5, v15
	v_ashrrev_i32_e32 v13, 4, v14
	v_and_b32_e32 v15, 0x7070707, v13
	v_lshrrev_b32_e32 v13, 1, v13
	v_and_b32_e32 v13, 0x4040404, v13
	v_perm_b32 v16, s23, v29, v15
	v_perm_b32 v15, s24, v30, v15
	v_or_b32_e32 v13, 0x3020100, v13
	v_perm_b32 v13, v16, v15, v13
	v_and_b32_e32 v15, 0x7070707, v14
	v_lshrrev_b32_e32 v14, 1, v14
	v_and_b32_e32 v14, 0x4040404, v14
	v_perm_b32 v16, s23, v29, v15
	v_perm_b32 v15, s24, v30, v15
	v_or_b32_e32 v14, 0x3020100, v14
	v_perm_b32 v14, v16, v15, v14
	v_dot4_i32_i8 v7, v14, v7, 0
	v_dot4_i32_i8 v7, v13, v9, v7
	;; [unrolled: 1-line block ×4, first 2 shown]
	v_cvt_f32_i32_e32 v2, v2
	v_dot4_i32_i8 v3, v12, v31, v3
	v_cvt_f32_i32_e32 v3, v3
	v_mul_f32_e32 v4, v33, v6
	v_fma_f32 v2, v4, v2, 0
	v_mul_f32_e32 v4, v20, v6
	v_add_u32_e32 v25, 64, v25
	v_fmac_f32_e32 v2, v4, v3
	v_add_co_u32_e32 v10, vcc, 0x1200, v10
	v_cmp_le_u32_e64 s[0:1], s11, v25
	v_add_f32_e32 v24, v24, v2
	s_or_b64 s[12:13], s[0:1], s[12:13]
	v_addc_co_u32_e32 v11, vcc, 0, v11, vcc
	s_andn2_b64 exec, exec, s[12:13]
	s_cbranch_execz .LBB86_34
.LBB86_10:                              ; =>This Inner Loop Header: Depth=1
	v_add_u32_e32 v2, s3, v25
	v_mad_i64_i32 v[16:17], s[0:1], v2, 36, s[16:17]
	global_load_dword v31, v[10:11], off offset:16
	s_mov_b64 s[0:1], 0
	v_add_co_u32_e32 v14, vcc, v16, v28
	v_addc_co_u32_e32 v15, vcc, 0, v17, vcc
	v_add_co_u32_e32 v19, vcc, v16, v26
	v_addc_co_u32_e32 v20, vcc, 0, v17, vcc
	global_load_dwordx2 v[12:13], v[14:15], off offset:4
	global_load_ubyte v18, v[19:20], off
	global_load_dwordx4 v[2:5], v[10:11], off
	global_load_dwordx4 v[6:9], v[10:11], off offset:-16
	s_waitcnt vmcnt(2)
	v_cmp_lt_i16_e32 vcc, s20, v18
	s_and_saveexec_b64 s[18:19], vcc
	s_xor_b64 s[18:19], exec, s[18:19]
	s_cbranch_execnz .LBB86_25
; %bb.11:                               ;   in Loop: Header=BB86_10 Depth=1
	s_andn2_saveexec_b64 s[18:19], s[18:19]
	s_cbranch_execnz .LBB86_26
.LBB86_12:                              ;   in Loop: Header=BB86_10 Depth=1
	s_or_b64 exec, exec, s[18:19]
	v_mov_b32_e32 v32, 0
	s_and_saveexec_b64 s[18:19], s[0:1]
	s_cbranch_execz .LBB86_14
.LBB86_13:                              ;   in Loop: Header=BB86_10 Depth=1
	v_and_b32_e32 v18, 0xffff, v18
	v_bfe_u32 v19, v18, 3, 4
	v_and_b32_e32 v18, 7, v18
	v_cvt_f32_ubyte0_e32 v18, v18
	v_fma_f32 v20, v18, s22, 1.0
	v_add_u32_e32 v21, -7, v19
	v_cmp_eq_u32_e32 vcc, 0, v19
	v_cndmask_b32_e32 v18, v20, v18, vcc
	v_cndmask_b32_e64 v19, v21, -9, vcc
	v_ldexp_f32 v18, v18, v19
	v_mul_f32_e32 v32, 0.5, v18
.LBB86_14:                              ;   in Loop: Header=BB86_10 Depth=1
	s_or_b64 exec, exec, s[18:19]
	v_add_co_u32_e32 v19, vcc, v16, v27
	v_addc_co_u32_e32 v20, vcc, 0, v17, vcc
	global_load_ubyte v18, v[19:20], off
	global_load_dwordx2 v[16:17], v[14:15], off offset:12
	s_mov_b64 s[0:1], 0
	s_waitcnt vmcnt(1)
	v_cmp_lt_i16_e32 vcc, s20, v18
	s_and_saveexec_b64 s[18:19], vcc
	s_xor_b64 s[18:19], exec, s[18:19]
	s_cbranch_execnz .LBB86_27
; %bb.15:                               ;   in Loop: Header=BB86_10 Depth=1
	s_andn2_saveexec_b64 s[18:19], s[18:19]
	s_cbranch_execnz .LBB86_28
.LBB86_16:                              ;   in Loop: Header=BB86_10 Depth=1
	s_or_b64 exec, exec, s[18:19]
	v_mov_b32_e32 v34, 0
	s_and_saveexec_b64 s[18:19], s[0:1]
	s_cbranch_execz .LBB86_18
.LBB86_17:                              ;   in Loop: Header=BB86_10 Depth=1
	v_and_b32_e32 v14, 0xffff, v18
	v_bfe_u32 v15, v14, 3, 4
	v_and_b32_e32 v14, 7, v14
	v_cvt_f32_ubyte0_e32 v14, v14
	v_fma_f32 v18, v14, s22, 1.0
	v_add_u32_e32 v19, -7, v15
	v_cmp_eq_u32_e32 vcc, 0, v15
	v_cndmask_b32_e32 v14, v18, v14, vcc
	v_cndmask_b32_e64 v15, v19, -9, vcc
	v_ldexp_f32 v14, v14, v15
	v_mul_f32_e32 v34, 0.5, v14
.LBB86_18:                              ;   in Loop: Header=BB86_10 Depth=1
	s_or_b64 exec, exec, s[18:19]
	v_add_u32_e32 v14, s15, v25
	v_mad_i64_i32 v[18:19], s[0:1], v14, 36, s[16:17]
	s_mov_b64 s[0:1], 0
	v_add_co_u32_e32 v14, vcc, v18, v26
	v_addc_co_u32_e32 v15, vcc, 0, v19, vcc
	v_add_co_u32_e32 v20, vcc, v18, v28
	global_load_ubyte v35, v[14:15], off
	v_addc_co_u32_e32 v21, vcc, 0, v19, vcc
	global_load_dwordx2 v[14:15], v[20:21], off offset:4
	s_waitcnt vmcnt(1)
	v_cmp_lt_i16_e32 vcc, s20, v35
	s_and_saveexec_b64 s[18:19], vcc
	s_xor_b64 s[18:19], exec, s[18:19]
	s_cbranch_execnz .LBB86_29
; %bb.19:                               ;   in Loop: Header=BB86_10 Depth=1
	s_andn2_saveexec_b64 s[18:19], s[18:19]
	s_cbranch_execnz .LBB86_30
.LBB86_20:                              ;   in Loop: Header=BB86_10 Depth=1
	s_or_b64 exec, exec, s[18:19]
	v_mov_b32_e32 v33, 0
	s_and_saveexec_b64 s[18:19], s[0:1]
	s_cbranch_execz .LBB86_22
.LBB86_21:                              ;   in Loop: Header=BB86_10 Depth=1
	v_and_b32_e32 v33, 0xffff, v35
	v_bfe_u32 v35, v33, 3, 4
	v_and_b32_e32 v33, 7, v33
	v_cvt_f32_ubyte0_e32 v33, v33
	v_fma_f32 v36, v33, s22, 1.0
	v_add_u32_e32 v37, -7, v35
	v_cmp_eq_u32_e32 vcc, 0, v35
	v_cndmask_b32_e32 v33, v36, v33, vcc
	v_cndmask_b32_e64 v35, v37, -9, vcc
	v_ldexp_f32 v33, v33, v35
	v_mul_f32_e32 v33, 0.5, v33
.LBB86_22:                              ;   in Loop: Header=BB86_10 Depth=1
	s_or_b64 exec, exec, s[18:19]
	v_add_co_u32_e32 v36, vcc, v18, v27
	v_addc_co_u32_e32 v37, vcc, 0, v19, vcc
	global_load_ubyte v35, v[36:37], off
	global_load_dwordx2 v[18:19], v[20:21], off offset:12
	s_mov_b64 s[0:1], 0
	s_waitcnt vmcnt(1)
	v_cmp_lt_i16_e32 vcc, s20, v35
	s_and_saveexec_b64 s[18:19], vcc
	s_xor_b64 s[18:19], exec, s[18:19]
	s_cbranch_execnz .LBB86_31
; %bb.23:                               ;   in Loop: Header=BB86_10 Depth=1
	s_andn2_saveexec_b64 s[18:19], s[18:19]
	s_cbranch_execnz .LBB86_32
.LBB86_24:                              ;   in Loop: Header=BB86_10 Depth=1
	s_or_b64 exec, exec, s[18:19]
	v_mov_b32_e32 v20, 0
	s_and_saveexec_b64 s[18:19], s[0:1]
	s_cbranch_execz .LBB86_9
	s_branch .LBB86_33
.LBB86_25:                              ;   in Loop: Header=BB86_10 Depth=1
	v_cmp_ne_u16_e32 vcc, s21, v18
	s_and_b64 s[0:1], vcc, exec
	s_andn2_saveexec_b64 s[18:19], s[18:19]
	s_cbranch_execz .LBB86_12
.LBB86_26:                              ;   in Loop: Header=BB86_10 Depth=1
	v_cmp_ne_u16_e32 vcc, 0, v18
	s_andn2_b64 s[0:1], s[0:1], exec
	s_and_b64 s[26:27], vcc, exec
	s_or_b64 s[0:1], s[0:1], s[26:27]
	s_or_b64 exec, exec, s[18:19]
	v_mov_b32_e32 v32, 0
	s_and_saveexec_b64 s[18:19], s[0:1]
	s_cbranch_execnz .LBB86_13
	s_branch .LBB86_14
.LBB86_27:                              ;   in Loop: Header=BB86_10 Depth=1
	v_cmp_ne_u16_e32 vcc, s21, v18
	s_and_b64 s[0:1], vcc, exec
	s_andn2_saveexec_b64 s[18:19], s[18:19]
	s_cbranch_execz .LBB86_16
.LBB86_28:                              ;   in Loop: Header=BB86_10 Depth=1
	v_cmp_ne_u16_e32 vcc, 0, v18
	s_andn2_b64 s[0:1], s[0:1], exec
	s_and_b64 s[26:27], vcc, exec
	s_or_b64 s[0:1], s[0:1], s[26:27]
	s_or_b64 exec, exec, s[18:19]
	v_mov_b32_e32 v34, 0
	s_and_saveexec_b64 s[18:19], s[0:1]
	s_cbranch_execnz .LBB86_17
	s_branch .LBB86_18
.LBB86_29:                              ;   in Loop: Header=BB86_10 Depth=1
	v_cmp_ne_u16_e32 vcc, s21, v35
	s_and_b64 s[0:1], vcc, exec
	s_andn2_saveexec_b64 s[18:19], s[18:19]
	s_cbranch_execz .LBB86_20
.LBB86_30:                              ;   in Loop: Header=BB86_10 Depth=1
	v_cmp_ne_u16_e32 vcc, 0, v35
	s_andn2_b64 s[0:1], s[0:1], exec
	s_and_b64 s[26:27], vcc, exec
	s_or_b64 s[0:1], s[0:1], s[26:27]
	s_or_b64 exec, exec, s[18:19]
	v_mov_b32_e32 v33, 0
	s_and_saveexec_b64 s[18:19], s[0:1]
	s_cbranch_execnz .LBB86_21
	s_branch .LBB86_22
.LBB86_31:                              ;   in Loop: Header=BB86_10 Depth=1
	v_cmp_ne_u16_e32 vcc, s21, v35
	s_and_b64 s[0:1], vcc, exec
	s_andn2_saveexec_b64 s[18:19], s[18:19]
	s_cbranch_execz .LBB86_24
.LBB86_32:                              ;   in Loop: Header=BB86_10 Depth=1
	v_cmp_ne_u16_e32 vcc, 0, v35
	s_andn2_b64 s[0:1], s[0:1], exec
	s_and_b64 s[26:27], vcc, exec
	s_or_b64 s[0:1], s[0:1], s[26:27]
	s_or_b64 exec, exec, s[18:19]
	v_mov_b32_e32 v20, 0
	s_and_saveexec_b64 s[18:19], s[0:1]
	s_cbranch_execz .LBB86_9
.LBB86_33:                              ;   in Loop: Header=BB86_10 Depth=1
	v_and_b32_e32 v20, 0xffff, v35
	v_bfe_u32 v21, v20, 3, 4
	v_and_b32_e32 v20, 7, v20
	v_cvt_f32_ubyte0_e32 v20, v20
	v_fma_f32 v35, v20, s22, 1.0
	v_add_u32_e32 v36, -7, v21
	v_cmp_eq_u32_e32 vcc, 0, v21
	v_cndmask_b32_e32 v20, v35, v20, vcc
	v_cndmask_b32_e64 v21, v36, -9, vcc
	v_ldexp_f32 v20, v20, v21
	v_mul_f32_e32 v20, 0.5, v20
	s_branch .LBB86_9
.LBB86_34:
	s_or_b64 exec, exec, s[12:13]
.LBB86_35:
	s_or_b64 exec, exec, s[6:7]
	v_cmp_eq_u32_e32 vcc, 0, v1
	s_waitcnt lgkmcnt(0)
	v_cmp_ne_u32_e64 s[0:1], 0, v1
	s_and_saveexec_b64 s[6:7], s[0:1]
; %bb.36:
	v_lshl_or_b32 v1, v1, 9, v22
	v_add_u32_e32 v1, 0xfffffe00, v1
	ds_write2st64_b32 v1, v23, v24 offset1:1
; %bb.37:
	s_or_b64 exec, exec, s[6:7]
	s_waitcnt lgkmcnt(0)
	s_barrier
	s_and_saveexec_b64 s[0:1], vcc
	s_cbranch_execz .LBB86_40
; %bb.38:
	v_mbcnt_lo_u32_b32 v1, -1, 0
	v_mbcnt_hi_u32_b32 v3, -1, v1
	v_and_b32_e32 v1, 64, v3
	v_add_u32_e32 v4, 64, v1
	v_xor_b32_e32 v1, 32, v3
	v_cmp_lt_i32_e32 vcc, v1, v4
	v_cndmask_b32_e32 v1, v3, v1, vcc
	v_lshlrev_b32_e32 v5, 2, v1
	v_xor_b32_e32 v1, 16, v3
	v_cmp_lt_i32_e32 vcc, v1, v4
	v_cndmask_b32_e32 v1, v3, v1, vcc
	v_lshlrev_b32_e32 v6, 2, v1
	ds_read2st64_b32 v[1:2], v22 offset1:1
	v_xor_b32_e32 v7, 8, v3
	v_cmp_lt_i32_e32 vcc, v7, v4
	v_cndmask_b32_e32 v7, v3, v7, vcc
	v_lshlrev_b32_e32 v7, 2, v7
	s_waitcnt lgkmcnt(0)
	v_add_f32_e32 v1, v23, v1
	v_add_f32_e32 v2, v24, v2
	ds_bpermute_b32 v9, v5, v1
	ds_bpermute_b32 v5, v5, v2
	v_xor_b32_e32 v8, 4, v3
	v_cmp_lt_i32_e32 vcc, v8, v4
	v_cndmask_b32_e32 v8, v3, v8, vcc
	s_waitcnt lgkmcnt(1)
	v_add_f32_e32 v1, v1, v9
	s_waitcnt lgkmcnt(0)
	v_add_f32_e32 v2, v2, v5
	ds_bpermute_b32 v9, v6, v1
	ds_bpermute_b32 v5, v6, v2
	v_lshlrev_b32_e32 v6, 2, v8
	v_xor_b32_e32 v8, 2, v3
	v_cmp_lt_i32_e32 vcc, v8, v4
	s_waitcnt lgkmcnt(1)
	v_add_f32_e32 v1, v1, v9
	s_waitcnt lgkmcnt(0)
	v_add_f32_e32 v2, v2, v5
	ds_bpermute_b32 v9, v7, v1
	ds_bpermute_b32 v5, v7, v2
	v_cndmask_b32_e32 v7, v3, v8, vcc
	s_load_dword s0, s[4:5], 0x58
	s_mov_b32 s3, 0
	s_waitcnt lgkmcnt(0)
	v_add_f32_e32 v1, v1, v9
	v_add_f32_e32 v2, v2, v5
	ds_bpermute_b32 v8, v6, v1
	ds_bpermute_b32 v5, v6, v2
	v_lshlrev_b32_e32 v6, 2, v7
	v_xor_b32_e32 v7, 1, v3
	v_cmp_lt_i32_e32 vcc, v7, v4
	s_waitcnt lgkmcnt(1)
	v_add_f32_e32 v1, v1, v8
	s_waitcnt lgkmcnt(0)
	v_add_f32_e32 v5, v2, v5
	ds_bpermute_b32 v8, v6, v1
	ds_bpermute_b32 v6, v6, v5
	v_cndmask_b32_e32 v2, v3, v7, vcc
	v_lshlrev_b32_e32 v4, 2, v2
	s_waitcnt lgkmcnt(1)
	v_add_f32_e32 v1, v1, v8
	s_waitcnt lgkmcnt(0)
	v_add_f32_e32 v3, v5, v6
	ds_bpermute_b32 v2, v4, v1
	ds_bpermute_b32 v4, v4, v3
	v_or_b32_e32 v5, s9, v0
	v_cmp_gt_u32_e32 vcc, s0, v5
	v_cmp_gt_u32_e64 s[0:1], 2, v0
	s_and_b64 s[0:1], s[0:1], vcc
	s_and_b64 exec, exec, s[0:1]
	s_cbranch_execz .LBB86_40
; %bb.39:
	s_load_dwordx2 s[0:1], s[4:5], 0x38
	s_mul_i32 s2, s2, s10
	s_add_i32 s2, s2, s9
	s_mul_i32 s4, s14, s8
	s_add_i32 s2, s2, s4
	s_lshl_b64 s[2:3], s[2:3], 2
	s_waitcnt lgkmcnt(0)
	s_add_u32 s0, s0, s2
	v_add_f32_e32 v3, v3, v4
	v_add_f32_e32 v1, v1, v2
	v_cmp_eq_u32_e32 vcc, 1, v0
	s_addc_u32 s1, s1, s3
	v_cndmask_b32_e32 v0, v1, v3, vcc
	global_store_dword v22, v0, s[0:1]
.LBB86_40:
	s_endpgm
	.section	.rodata,"a",@progbits
	.p2align	6, 0x0
	.amdhsa_kernel _ZL13mul_mat_vec_qIL9ggml_type40ELi1ELb0ELb1EEvPKvS2_PKi31ggml_cuda_mm_fusion_args_devicePfj15HIP_vector_typeIjLj3EEjjjS8_jjjS8_jjjj
		.amdhsa_group_segment_fixed_size 512
		.amdhsa_private_segment_fixed_size 0
		.amdhsa_kernarg_size 144
		.amdhsa_user_sgpr_count 6
		.amdhsa_user_sgpr_private_segment_buffer 1
		.amdhsa_user_sgpr_dispatch_ptr 0
		.amdhsa_user_sgpr_queue_ptr 0
		.amdhsa_user_sgpr_kernarg_segment_ptr 1
		.amdhsa_user_sgpr_dispatch_id 0
		.amdhsa_user_sgpr_flat_scratch_init 0
		.amdhsa_user_sgpr_private_segment_size 0
		.amdhsa_uses_dynamic_stack 0
		.amdhsa_system_sgpr_private_segment_wavefront_offset 0
		.amdhsa_system_sgpr_workgroup_id_x 1
		.amdhsa_system_sgpr_workgroup_id_y 1
		.amdhsa_system_sgpr_workgroup_id_z 1
		.amdhsa_system_sgpr_workgroup_info 0
		.amdhsa_system_vgpr_workitem_id 1
		.amdhsa_next_free_vgpr 38
		.amdhsa_next_free_sgpr 28
		.amdhsa_reserve_vcc 1
		.amdhsa_reserve_flat_scratch 0
		.amdhsa_float_round_mode_32 0
		.amdhsa_float_round_mode_16_64 0
		.amdhsa_float_denorm_mode_32 3
		.amdhsa_float_denorm_mode_16_64 3
		.amdhsa_dx10_clamp 1
		.amdhsa_ieee_mode 1
		.amdhsa_fp16_overflow 0
		.amdhsa_exception_fp_ieee_invalid_op 0
		.amdhsa_exception_fp_denorm_src 0
		.amdhsa_exception_fp_ieee_div_zero 0
		.amdhsa_exception_fp_ieee_overflow 0
		.amdhsa_exception_fp_ieee_underflow 0
		.amdhsa_exception_fp_ieee_inexact 0
		.amdhsa_exception_int_div_zero 0
	.end_amdhsa_kernel
	.section	.text._ZL13mul_mat_vec_qIL9ggml_type40ELi1ELb0ELb1EEvPKvS2_PKi31ggml_cuda_mm_fusion_args_devicePfj15HIP_vector_typeIjLj3EEjjjS8_jjjS8_jjjj,"axG",@progbits,_ZL13mul_mat_vec_qIL9ggml_type40ELi1ELb0ELb1EEvPKvS2_PKi31ggml_cuda_mm_fusion_args_devicePfj15HIP_vector_typeIjLj3EEjjjS8_jjjS8_jjjj,comdat
.Lfunc_end86:
	.size	_ZL13mul_mat_vec_qIL9ggml_type40ELi1ELb0ELb1EEvPKvS2_PKi31ggml_cuda_mm_fusion_args_devicePfj15HIP_vector_typeIjLj3EEjjjS8_jjjS8_jjjj, .Lfunc_end86-_ZL13mul_mat_vec_qIL9ggml_type40ELi1ELb0ELb1EEvPKvS2_PKi31ggml_cuda_mm_fusion_args_devicePfj15HIP_vector_typeIjLj3EEjjjS8_jjjS8_jjjj
                                        ; -- End function
	.set _ZL13mul_mat_vec_qIL9ggml_type40ELi1ELb0ELb1EEvPKvS2_PKi31ggml_cuda_mm_fusion_args_devicePfj15HIP_vector_typeIjLj3EEjjjS8_jjjS8_jjjj.num_vgpr, 38
	.set _ZL13mul_mat_vec_qIL9ggml_type40ELi1ELb0ELb1EEvPKvS2_PKi31ggml_cuda_mm_fusion_args_devicePfj15HIP_vector_typeIjLj3EEjjjS8_jjjS8_jjjj.num_agpr, 0
	.set _ZL13mul_mat_vec_qIL9ggml_type40ELi1ELb0ELb1EEvPKvS2_PKi31ggml_cuda_mm_fusion_args_devicePfj15HIP_vector_typeIjLj3EEjjjS8_jjjS8_jjjj.numbered_sgpr, 28
	.set _ZL13mul_mat_vec_qIL9ggml_type40ELi1ELb0ELb1EEvPKvS2_PKi31ggml_cuda_mm_fusion_args_devicePfj15HIP_vector_typeIjLj3EEjjjS8_jjjS8_jjjj.num_named_barrier, 0
	.set _ZL13mul_mat_vec_qIL9ggml_type40ELi1ELb0ELb1EEvPKvS2_PKi31ggml_cuda_mm_fusion_args_devicePfj15HIP_vector_typeIjLj3EEjjjS8_jjjS8_jjjj.private_seg_size, 0
	.set _ZL13mul_mat_vec_qIL9ggml_type40ELi1ELb0ELb1EEvPKvS2_PKi31ggml_cuda_mm_fusion_args_devicePfj15HIP_vector_typeIjLj3EEjjjS8_jjjS8_jjjj.uses_vcc, 1
	.set _ZL13mul_mat_vec_qIL9ggml_type40ELi1ELb0ELb1EEvPKvS2_PKi31ggml_cuda_mm_fusion_args_devicePfj15HIP_vector_typeIjLj3EEjjjS8_jjjS8_jjjj.uses_flat_scratch, 0
	.set _ZL13mul_mat_vec_qIL9ggml_type40ELi1ELb0ELb1EEvPKvS2_PKi31ggml_cuda_mm_fusion_args_devicePfj15HIP_vector_typeIjLj3EEjjjS8_jjjS8_jjjj.has_dyn_sized_stack, 0
	.set _ZL13mul_mat_vec_qIL9ggml_type40ELi1ELb0ELb1EEvPKvS2_PKi31ggml_cuda_mm_fusion_args_devicePfj15HIP_vector_typeIjLj3EEjjjS8_jjjS8_jjjj.has_recursion, 0
	.set _ZL13mul_mat_vec_qIL9ggml_type40ELi1ELb0ELb1EEvPKvS2_PKi31ggml_cuda_mm_fusion_args_devicePfj15HIP_vector_typeIjLj3EEjjjS8_jjjS8_jjjj.has_indirect_call, 0
	.section	.AMDGPU.csdata,"",@progbits
; Kernel info:
; codeLenInByte = 2892
; TotalNumSgprs: 32
; NumVgprs: 38
; ScratchSize: 0
; MemoryBound: 0
; FloatMode: 240
; IeeeMode: 1
; LDSByteSize: 512 bytes/workgroup (compile time only)
; SGPRBlocks: 3
; VGPRBlocks: 9
; NumSGPRsForWavesPerEU: 32
; NumVGPRsForWavesPerEU: 38
; Occupancy: 6
; WaveLimiterHint : 0
; COMPUTE_PGM_RSRC2:SCRATCH_EN: 0
; COMPUTE_PGM_RSRC2:USER_SGPR: 6
; COMPUTE_PGM_RSRC2:TRAP_HANDLER: 0
; COMPUTE_PGM_RSRC2:TGID_X_EN: 1
; COMPUTE_PGM_RSRC2:TGID_Y_EN: 1
; COMPUTE_PGM_RSRC2:TGID_Z_EN: 1
; COMPUTE_PGM_RSRC2:TIDIG_COMP_CNT: 1
	.section	.text._ZL13mul_mat_vec_qIL9ggml_type40ELi1ELb1ELb0EEvPKvS2_PKi31ggml_cuda_mm_fusion_args_devicePfj15HIP_vector_typeIjLj3EEjjjS8_jjjS8_jjjj,"axG",@progbits,_ZL13mul_mat_vec_qIL9ggml_type40ELi1ELb1ELb0EEvPKvS2_PKi31ggml_cuda_mm_fusion_args_devicePfj15HIP_vector_typeIjLj3EEjjjS8_jjjS8_jjjj,comdat
	.globl	_ZL13mul_mat_vec_qIL9ggml_type40ELi1ELb1ELb0EEvPKvS2_PKi31ggml_cuda_mm_fusion_args_devicePfj15HIP_vector_typeIjLj3EEjjjS8_jjjS8_jjjj ; -- Begin function _ZL13mul_mat_vec_qIL9ggml_type40ELi1ELb1ELb0EEvPKvS2_PKi31ggml_cuda_mm_fusion_args_devicePfj15HIP_vector_typeIjLj3EEjjjS8_jjjS8_jjjj
	.p2align	8
	.type	_ZL13mul_mat_vec_qIL9ggml_type40ELi1ELb1ELb0EEvPKvS2_PKi31ggml_cuda_mm_fusion_args_devicePfj15HIP_vector_typeIjLj3EEjjjS8_jjjS8_jjjj,@function
_ZL13mul_mat_vec_qIL9ggml_type40ELi1ELb1ELb0EEvPKvS2_PKi31ggml_cuda_mm_fusion_args_devicePfj15HIP_vector_typeIjLj3EEjjjS8_jjjS8_jjjj: ; @_ZL13mul_mat_vec_qIL9ggml_type40ELi1ELb1ELb0EEvPKvS2_PKi31ggml_cuda_mm_fusion_args_devicePfj15HIP_vector_typeIjLj3EEjjjS8_jjjS8_jjjj
; %bb.0:
	s_load_dwordx8 s[12:19], s[4:5], 0x0
	s_load_dwordx4 s[28:31], s[4:5], 0x20
	s_load_dwordx4 s[36:39], s[4:5], 0x40
	s_load_dwordx4 s[20:23], s[4:5], 0x68
	s_mov_b32 s34, s7
	s_waitcnt lgkmcnt(0)
	s_cmp_lg_u64 s[16:17], 0
	s_cselect_b64 s[0:1], -1, 0
	s_cmp_eq_u64 s[16:17], 0
	s_mov_b64 s[2:3], 0
	s_cbranch_scc1 .LBB87_5
; %bb.1:
	s_mov_b32 s35, 0
	s_lshl_b64 s[10:11], s[34:35], 2
	s_add_u32 s10, s16, s10
	s_addc_u32 s11, s17, s11
	s_load_dword s9, s[10:11], 0x0
	s_load_dword s33, s[4:5], 0x50
	;; [unrolled: 1-line block ×3, first 2 shown]
	s_andn2_b64 vcc, exec, s[2:3]
	s_cbranch_vccnz .LBB87_3
.LBB87_2:
	s_load_dwordx2 s[2:3], s[4:5], 0x5c
	s_waitcnt lgkmcnt(0)
	s_mul_hi_u32 s2, s2, s34
	s_add_i32 s2, s34, s2
	s_lshr_b32 s9, s2, s3
.LBB87_3:
	s_andn2_b64 vcc, exec, s[0:1]
	s_cbranch_vccnz .LBB87_6
; %bb.4:
	s_mul_hi_u32 s0, s37, s34
	s_add_i32 s0, s34, s0
	s_lshr_b32 s0, s0, s38
	s_mul_i32 s0, s0, s39
	s_sub_i32 s37, s34, s0
	s_waitcnt lgkmcnt(0)
	s_mov_b32 s2, s9
	s_branch .LBB87_7
.LBB87_5:
                                        ; implicit-def: $sgpr9
	s_load_dword s33, s[4:5], 0x50
	s_load_dword s35, s[4:5], 0x78
	s_branch .LBB87_2
.LBB87_6:
	s_mov_b32 s2, s34
	s_mov_b32 s37, s34
.LBB87_7:
	s_load_dwordx4 s[24:27], s[4:5], 0x80
	s_cmp_lg_u64 s[18:19], 0
	v_or_b32_e32 v2, v0, v1
	s_cselect_b64 s[0:1], -1, 0
	v_cmp_eq_u32_e32 vcc, 0, v2
	s_mov_b32 s17, 0
	s_and_b64 s[38:39], s[0:1], vcc
	v_mov_b32_e32 v23, 0
	s_mul_i32 s10, s2, s22
	v_lshlrev_b32_e32 v22, 2, v0
	v_mov_b32_e32 v24, 0
	s_and_saveexec_b64 s[2:3], s[38:39]
	s_cbranch_execz .LBB87_9
; %bb.8:
	s_waitcnt lgkmcnt(0)
	s_mul_i32 s16, s26, s8
	s_lshl_b64 s[38:39], s[16:17], 2
	s_add_u32 s7, s18, s38
	s_mov_b32 s11, s17
	s_addc_u32 s18, s19, s39
	s_lshl_b64 s[16:17], s[10:11], 2
	s_add_u32 s11, s7, s16
	s_addc_u32 s18, s18, s17
	s_ashr_i32 s7, s6, 31
	s_lshl_b64 s[16:17], s[6:7], 2
	s_add_u32 s16, s11, s16
	s_addc_u32 s17, s18, s17
	global_load_dword v24, v22, s[16:17]
.LBB87_9:
	s_or_b64 exec, exec, s[2:3]
	s_cmp_lg_u64 s[28:29], 0
	s_cselect_b64 s[16:17], -1, 0
	s_cmp_lg_u64 s[30:31], 0
	s_cselect_b64 s[2:3], -1, 0
	s_and_b64 s[18:19], s[2:3], s[16:17]
	s_and_b64 s[38:39], s[18:19], vcc
	s_and_saveexec_b64 s[18:19], s[38:39]
	s_cbranch_execz .LBB87_11
; %bb.10:
	s_waitcnt lgkmcnt(0)
	s_mul_i32 s38, s26, s8
	s_mov_b32 s39, 0
	s_lshl_b64 s[40:41], s[38:39], 2
	s_add_u32 s7, s30, s40
	s_mov_b32 s11, s39
	s_addc_u32 s27, s31, s41
	s_lshl_b64 s[10:11], s[10:11], 2
	s_add_u32 s30, s7, s10
	s_addc_u32 s27, s27, s11
	s_ashr_i32 s7, s6, 31
	s_lshl_b64 s[10:11], s[6:7], 2
	s_add_u32 s10, s30, s10
	s_addc_u32 s11, s27, s11
	global_load_dword v23, v22, s[10:11]
.LBB87_11:
	s_or_b64 exec, exec, s[18:19]
	v_lshlrev_b32_e32 v2, 6, v1
	v_add_u16_e32 v3, v2, v0
	s_lshr_b32 s7, s36, 6
	v_lshrrev_b16_e32 v27, 1, v3
	v_cmp_gt_u32_e32 vcc, s7, v27
	v_mov_b32_e32 v26, 0
	v_mov_b32_e32 v25, 0
	s_and_saveexec_b64 s[18:19], vcc
	s_cbranch_execz .LBB87_41
; %bb.12:
	s_mul_hi_u32 s10, s23, s8
	s_add_i32 s10, s8, s10
	s_waitcnt lgkmcnt(0)
	s_lshr_b32 s10, s10, s35
	s_mul_i32 s33, s33, s6
	s_mul_i32 s10, s10, s24
	;; [unrolled: 1-line block ×4, first 2 shown]
	s_add_i32 s10, s10, s33
	v_add_u32_e32 v2, v2, v0
	s_add_i32 s9, s9, s10
	s_mul_hi_u32 s10, s11, 36
	s_mul_i32 s11, s11, 36
	v_lshrrev_b32_e32 v5, 1, v2
	v_mov_b32_e32 v2, s11
	v_mov_b32_e32 v3, s10
	s_movk_i32 s10, 0x48
	v_mad_u64_u32 v[2:3], s[10:11], v5, s10, v[2:3]
	s_mul_i32 s23, s25, s8
	v_and_b32_e32 v5, 1, v0
	v_mad_u64_u32 v[2:3], s[10:11], s23, 36, v[2:3]
	v_and_b32_e32 v4, 4, v22
	v_or_b32_e32 v6, 2, v4
	v_mad_u64_u32 v[2:3], s[10:11], v5, 36, v[2:3]
	v_mov_b32_e32 v5, s15
	v_lshrrev_b32_e32 v28, 1, v4
	v_add_co_u32_e32 v2, vcc, s14, v2
	v_addc_co_u32_e32 v3, vcc, v5, v3, vcc
	v_add_co_u32_e32 v14, vcc, 16, v2
	v_mov_b32_e32 v29, 0
	v_lshrrev_b32_e32 v30, 1, v6
	v_addc_co_u32_e32 v15, vcc, 0, v3, vcc
	s_mov_b64 s[14:15], 0
	s_movk_i32 s23, 0x7e
	s_movk_i32 s24, 0x7f
	s_mov_b32 s25, 0x3e000000
	s_mov_b32 s27, 0xf4f8fafc
	;; [unrolled: 1-line block ×3, first 2 shown]
	v_lshlrev_b32_e32 v31, 2, v4
	v_mov_b32_e32 v32, 0xfdfeff00
	v_mov_b32_e32 v33, 0x3020100
	;; [unrolled: 1-line block ×4, first 2 shown]
	s_branch .LBB87_15
.LBB87_13:                              ;   in Loop: Header=BB87_15 Depth=1
	s_or_b64 exec, exec, s[20:21]
	s_waitcnt vmcnt(0)
	v_ashrrev_i32_e32 v21, 4, v19
	v_and_b32_e32 v38, 0x7070707, v21
	v_lshrrev_b32_e32 v21, 1, v21
	v_and_b32_e32 v21, 0x4040404, v21
	v_perm_b32 v39, s27, v32, v38
	v_perm_b32 v38, s30, v33, v38
	v_or_b32_e32 v21, 0x3020100, v21
	v_perm_b32 v21, v39, v38, v21
	v_and_b32_e32 v38, 0x7070707, v19
	v_lshrrev_b32_e32 v19, 1, v19
	v_and_b32_e32 v19, 0x4040404, v19
	v_perm_b32 v39, s27, v32, v38
	v_perm_b32 v38, s30, v33, v38
	v_or_b32_e32 v19, 0x3020100, v19
	v_perm_b32 v19, v39, v38, v19
	v_ashrrev_i32_e32 v38, 4, v18
	v_and_b32_e32 v39, 0x7070707, v38
	v_lshrrev_b32_e32 v38, 1, v38
	v_and_b32_e32 v38, 0x4040404, v38
	v_perm_b32 v40, s27, v32, v39
	v_perm_b32 v39, s30, v33, v39
	v_or_b32_e32 v38, 0x3020100, v38
	v_perm_b32 v38, v40, v39, v38
	v_and_b32_e32 v39, 0x7070707, v18
	v_lshrrev_b32_e32 v18, 1, v18
	v_and_b32_e32 v18, 0x4040404, v18
	v_perm_b32 v40, s27, v32, v39
	v_perm_b32 v39, s30, v33, v39
	v_or_b32_e32 v18, 0x3020100, v18
	v_perm_b32 v18, v40, v39, v18
	v_dot4_i32_i8 v18, v18, v3, 0
	v_dot4_i32_i8 v18, v38, v5, v18
	;; [unrolled: 1-line block ×3, first 2 shown]
	v_ashrrev_i32_e32 v19, 4, v17
	v_and_b32_e32 v38, 0x7070707, v19
	v_lshrrev_b32_e32 v19, 1, v19
	v_and_b32_e32 v19, 0x4040404, v19
	v_perm_b32 v39, s27, v32, v38
	v_perm_b32 v38, s30, v33, v38
	v_or_b32_e32 v19, 0x3020100, v19
	v_perm_b32 v19, v39, v38, v19
	v_and_b32_e32 v38, 0x7070707, v17
	v_lshrrev_b32_e32 v17, 1, v17
	v_and_b32_e32 v17, 0x4040404, v17
	v_perm_b32 v39, s27, v32, v38
	v_perm_b32 v38, s30, v33, v38
	v_or_b32_e32 v17, 0x3020100, v17
	v_perm_b32 v17, v39, v38, v17
	v_ashrrev_i32_e32 v38, 4, v16
	v_and_b32_e32 v39, 0x7070707, v38
	v_lshrrev_b32_e32 v38, 1, v38
	v_and_b32_e32 v38, 0x4040404, v38
	v_perm_b32 v40, s27, v32, v39
	v_perm_b32 v39, s30, v33, v39
	v_or_b32_e32 v38, 0x3020100, v38
	v_perm_b32 v38, v40, v39, v38
	v_and_b32_e32 v39, 0x7070707, v16
	v_lshrrev_b32_e32 v16, 1, v16
	v_and_b32_e32 v16, 0x4040404, v16
	v_perm_b32 v40, s27, v32, v39
	v_perm_b32 v39, s30, v33, v39
	v_or_b32_e32 v16, 0x3020100, v16
	v_perm_b32 v16, v40, v39, v16
	v_dot4_i32_i8 v16, v16, v7, 0
	v_dot4_i32_i8 v16, v38, v9, v16
	;; [unrolled: 1-line block ×4, first 2 shown]
	v_cvt_f32_i32_e32 v16, v16
	v_dot4_i32_i8 v17, v21, v34, v18
	v_cvt_f32_i32_e32 v17, v17
	v_mul_f32_e32 v18, v37, v6
	v_fma_f32 v16, v18, v16, 0
	v_mul_f32_e32 v18, v20, v6
	v_fmac_f32_e32 v16, v18, v17
	v_add_f32_e32 v25, v25, v16
.LBB87_14:                              ;   in Loop: Header=BB87_15 Depth=1
	v_ashrrev_i32_e32 v16, 4, v13
	v_and_b32_e32 v17, 0x7070707, v16
	v_lshrrev_b32_e32 v16, 1, v16
	v_and_b32_e32 v16, 0x4040404, v16
	v_perm_b32 v18, s27, v32, v17
	v_perm_b32 v17, s30, v33, v17
	v_or_b32_e32 v16, 0x3020100, v16
	v_perm_b32 v16, v18, v17, v16
	v_and_b32_e32 v17, 0x7070707, v13
	v_lshrrev_b32_e32 v13, 1, v13
	v_and_b32_e32 v13, 0x4040404, v13
	v_perm_b32 v18, s27, v32, v17
	v_perm_b32 v17, s30, v33, v17
	v_or_b32_e32 v13, 0x3020100, v13
	v_perm_b32 v13, v18, v17, v13
	v_ashrrev_i32_e32 v17, 4, v12
	v_and_b32_e32 v18, 0x7070707, v17
	v_lshrrev_b32_e32 v17, 1, v17
	v_and_b32_e32 v17, 0x4040404, v17
	v_perm_b32 v19, s27, v32, v18
	v_perm_b32 v18, s30, v33, v18
	v_or_b32_e32 v17, 0x3020100, v17
	v_perm_b32 v17, v19, v18, v17
	v_and_b32_e32 v18, 0x7070707, v12
	v_lshrrev_b32_e32 v12, 1, v12
	v_and_b32_e32 v12, 0x4040404, v12
	v_perm_b32 v19, s27, v32, v18
	v_perm_b32 v18, s30, v33, v18
	v_or_b32_e32 v12, 0x3020100, v12
	v_perm_b32 v12, v19, v18, v12
	v_dot4_i32_i8 v3, v12, v3, 0
	v_dot4_i32_i8 v3, v17, v5, v3
	;; [unrolled: 1-line block ×3, first 2 shown]
	v_ashrrev_i32_e32 v4, 4, v11
	v_and_b32_e32 v5, 0x7070707, v4
	v_lshrrev_b32_e32 v4, 1, v4
	v_and_b32_e32 v4, 0x4040404, v4
	v_perm_b32 v12, s27, v32, v5
	v_perm_b32 v5, s30, v33, v5
	v_or_b32_e32 v4, 0x3020100, v4
	v_perm_b32 v4, v12, v5, v4
	v_and_b32_e32 v5, 0x7070707, v11
	v_lshrrev_b32_e32 v11, 1, v11
	v_and_b32_e32 v11, 0x4040404, v11
	v_perm_b32 v12, s27, v32, v5
	v_perm_b32 v5, s30, v33, v5
	v_or_b32_e32 v11, 0x3020100, v11
	v_perm_b32 v5, v12, v5, v11
	v_ashrrev_i32_e32 v11, 4, v10
	v_and_b32_e32 v12, 0x7070707, v11
	v_lshrrev_b32_e32 v11, 1, v11
	v_and_b32_e32 v11, 0x4040404, v11
	v_perm_b32 v13, s27, v32, v12
	v_perm_b32 v12, s30, v33, v12
	v_or_b32_e32 v11, 0x3020100, v11
	v_perm_b32 v11, v13, v12, v11
	v_and_b32_e32 v12, 0x7070707, v10
	v_lshrrev_b32_e32 v10, 1, v10
	v_and_b32_e32 v10, 0x4040404, v10
	v_perm_b32 v13, s27, v32, v12
	v_perm_b32 v12, s30, v33, v12
	v_or_b32_e32 v10, 0x3020100, v10
	v_perm_b32 v10, v13, v12, v10
	v_dot4_i32_i8 v7, v10, v7, 0
	v_dot4_i32_i8 v7, v11, v9, v7
	;; [unrolled: 1-line block ×4, first 2 shown]
	v_cvt_f32_i32_e32 v2, v2
	v_dot4_i32_i8 v3, v16, v34, v3
	v_cvt_f32_i32_e32 v3, v3
	v_mul_f32_e32 v4, v35, v6
	v_fma_f32 v2, v4, v2, 0
	v_mul_f32_e32 v4, v36, v6
	v_add_u32_e32 v27, 64, v27
	v_fmac_f32_e32 v2, v4, v3
	v_add_co_u32_e32 v14, vcc, 0x1200, v14
	v_cmp_le_u32_e64 s[10:11], s7, v27
	v_add_f32_e32 v26, v26, v2
	s_or_b64 s[14:15], s[10:11], s[14:15]
	v_addc_co_u32_e32 v15, vcc, 0, v15, vcc
	s_andn2_b64 exec, exec, s[14:15]
	s_cbranch_execz .LBB87_40
.LBB87_15:                              ; =>This Inner Loop Header: Depth=1
	v_add_u32_e32 v16, s9, v27
	v_mad_i64_i32 v[2:3], s[10:11], v16, 36, s[12:13]
	global_load_dword v34, v[14:15], off offset:16
	s_mov_b64 s[10:11], 0
	v_add_co_u32_e32 v18, vcc, v2, v31
	v_addc_co_u32_e32 v19, vcc, 0, v3, vcc
	v_add_co_u32_e32 v20, vcc, v2, v28
	v_addc_co_u32_e32 v21, vcc, 0, v3, vcc
	global_load_dwordx4 v[10:13], v[18:19], off offset:4
	global_load_ushort v17, v[20:21], off
	global_load_dwordx4 v[2:5], v[14:15], off
	global_load_dwordx4 v[6:9], v[14:15], off offset:-16
	s_waitcnt vmcnt(2)
	v_cmp_gt_i16_sdwa s[20:21], v17, s23 src0_sel:BYTE_0 src1_sel:DWORD
	s_and_saveexec_b64 s[36:37], s[20:21]
	s_xor_b64 s[20:21], exec, s[36:37]
	s_cbranch_execnz .LBB87_23
; %bb.16:                               ;   in Loop: Header=BB87_15 Depth=1
	s_andn2_saveexec_b64 s[20:21], s[20:21]
	s_cbranch_execnz .LBB87_24
.LBB87_17:                              ;   in Loop: Header=BB87_15 Depth=1
	s_or_b64 exec, exec, s[20:21]
	v_mov_b32_e32 v35, 0
	s_and_saveexec_b64 s[20:21], s[10:11]
	s_cbranch_execz .LBB87_19
.LBB87_18:                              ;   in Loop: Header=BB87_15 Depth=1
	v_lshrrev_b16_e32 v18, 3, v17
	v_and_b32_e32 v19, 7, v17
	v_and_b32_e32 v18, 15, v18
	v_cvt_f32_ubyte0_e32 v19, v19
	v_fma_f32 v20, v19, s25, 1.0
	v_cmp_eq_u32_e32 vcc, 0, v18
	v_add_u32_e32 v18, -7, v18
	v_cndmask_b32_e32 v19, v20, v19, vcc
	v_cndmask_b32_e64 v18, v18, -9, vcc
	v_ldexp_f32 v18, v19, v18
	v_mul_f32_e32 v35, 0.5, v18
.LBB87_19:                              ;   in Loop: Header=BB87_15 Depth=1
	s_or_b64 exec, exec, s[20:21]
	v_lshrrev_b16_e32 v17, 8, v17
	v_cmp_lt_i16_e32 vcc, s23, v17
	s_mov_b64 s[10:11], 0
	s_and_saveexec_b64 s[20:21], vcc
	s_xor_b64 s[20:21], exec, s[20:21]
	s_cbranch_execnz .LBB87_25
; %bb.20:                               ;   in Loop: Header=BB87_15 Depth=1
	s_andn2_saveexec_b64 s[20:21], s[20:21]
	s_cbranch_execnz .LBB87_26
.LBB87_21:                              ;   in Loop: Header=BB87_15 Depth=1
	s_or_b64 exec, exec, s[20:21]
	v_mov_b32_e32 v36, 0
	s_and_saveexec_b64 s[20:21], s[10:11]
	s_cbranch_execnz .LBB87_27
.LBB87_22:                              ;   in Loop: Header=BB87_15 Depth=1
	s_or_b64 exec, exec, s[20:21]
	s_waitcnt vmcnt(0)
	v_cvt_f32_f16_e32 v6, v6
	s_andn2_b64 vcc, exec, s[16:17]
	s_cbranch_vccz .LBB87_28
	s_branch .LBB87_14
.LBB87_23:                              ;   in Loop: Header=BB87_15 Depth=1
	v_cmp_ne_u16_sdwa s[10:11], v17, s24 src0_sel:BYTE_0 src1_sel:DWORD
	s_and_b64 s[10:11], s[10:11], exec
	s_andn2_saveexec_b64 s[20:21], s[20:21]
	s_cbranch_execz .LBB87_17
.LBB87_24:                              ;   in Loop: Header=BB87_15 Depth=1
	v_cmp_ne_u16_sdwa s[36:37], v17, v29 src0_sel:BYTE_0 src1_sel:DWORD
	s_andn2_b64 s[10:11], s[10:11], exec
	s_and_b64 s[36:37], s[36:37], exec
	s_or_b64 s[10:11], s[10:11], s[36:37]
	s_or_b64 exec, exec, s[20:21]
	v_mov_b32_e32 v35, 0
	s_and_saveexec_b64 s[20:21], s[10:11]
	s_cbranch_execnz .LBB87_18
	s_branch .LBB87_19
.LBB87_25:                              ;   in Loop: Header=BB87_15 Depth=1
	v_cmp_ne_u16_e32 vcc, s24, v17
	s_and_b64 s[10:11], vcc, exec
	s_andn2_saveexec_b64 s[20:21], s[20:21]
	s_cbranch_execz .LBB87_21
.LBB87_26:                              ;   in Loop: Header=BB87_15 Depth=1
	v_cmp_ne_u16_e32 vcc, 0, v17
	s_andn2_b64 s[10:11], s[10:11], exec
	s_and_b64 s[36:37], vcc, exec
	s_or_b64 s[10:11], s[10:11], s[36:37]
	s_or_b64 exec, exec, s[20:21]
	v_mov_b32_e32 v36, 0
	s_and_saveexec_b64 s[20:21], s[10:11]
	s_cbranch_execz .LBB87_22
.LBB87_27:                              ;   in Loop: Header=BB87_15 Depth=1
	v_bfe_u32 v18, v17, 3, 4
	v_and_b32_e32 v17, 7, v17
	v_cvt_f32_ubyte0_e32 v17, v17
	v_fma_f32 v19, v17, s25, 1.0
	v_add_u32_e32 v20, -7, v18
	v_cmp_eq_u32_e32 vcc, 0, v18
	v_cndmask_b32_e32 v17, v19, v17, vcc
	v_cndmask_b32_e64 v18, v20, -9, vcc
	v_ldexp_f32 v17, v17, v18
	v_mul_f32_e32 v36, 0.5, v17
	s_or_b64 exec, exec, s[20:21]
	s_waitcnt vmcnt(0)
	v_cvt_f32_f16_e32 v6, v6
	s_andn2_b64 vcc, exec, s[16:17]
	s_cbranch_vccnz .LBB87_14
.LBB87_28:                              ;   in Loop: Header=BB87_15 Depth=1
	v_mad_i64_i32 v[18:19], s[10:11], v16, 36, s[28:29]
	s_mov_b64 s[10:11], 0
	v_add_co_u32_e32 v16, vcc, v18, v28
	v_addc_co_u32_e32 v17, vcc, 0, v19, vcc
	v_add_co_u32_e32 v20, vcc, v18, v31
	global_load_ubyte v38, v[16:17], off
	v_addc_co_u32_e32 v21, vcc, 0, v19, vcc
	global_load_dwordx2 v[16:17], v[20:21], off offset:4
	s_waitcnt vmcnt(1)
	v_cmp_lt_i16_e32 vcc, s23, v38
	s_and_saveexec_b64 s[20:21], vcc
	s_xor_b64 s[20:21], exec, s[20:21]
	s_cbranch_execnz .LBB87_35
; %bb.29:                               ;   in Loop: Header=BB87_15 Depth=1
	s_andn2_saveexec_b64 s[20:21], s[20:21]
	s_cbranch_execnz .LBB87_36
.LBB87_30:                              ;   in Loop: Header=BB87_15 Depth=1
	s_or_b64 exec, exec, s[20:21]
	v_mov_b32_e32 v37, 0
	s_and_saveexec_b64 s[20:21], s[10:11]
	s_cbranch_execz .LBB87_32
.LBB87_31:                              ;   in Loop: Header=BB87_15 Depth=1
	v_and_b32_e32 v37, 0xffff, v38
	v_bfe_u32 v38, v37, 3, 4
	v_and_b32_e32 v37, 7, v37
	v_cvt_f32_ubyte0_e32 v37, v37
	v_fma_f32 v39, v37, s25, 1.0
	v_add_u32_e32 v40, -7, v38
	v_cmp_eq_u32_e32 vcc, 0, v38
	v_cndmask_b32_e32 v37, v39, v37, vcc
	v_cndmask_b32_e64 v38, v40, -9, vcc
	v_ldexp_f32 v37, v37, v38
	v_mul_f32_e32 v37, 0.5, v37
.LBB87_32:                              ;   in Loop: Header=BB87_15 Depth=1
	s_or_b64 exec, exec, s[20:21]
	v_add_co_u32_e32 v39, vcc, v18, v30
	v_addc_co_u32_e32 v40, vcc, 0, v19, vcc
	global_load_ubyte v38, v[39:40], off
	global_load_dwordx2 v[18:19], v[20:21], off offset:12
	s_mov_b64 s[10:11], 0
	s_waitcnt vmcnt(1)
	v_cmp_lt_i16_e32 vcc, s23, v38
	s_and_saveexec_b64 s[20:21], vcc
	s_xor_b64 s[20:21], exec, s[20:21]
	s_cbranch_execnz .LBB87_37
; %bb.33:                               ;   in Loop: Header=BB87_15 Depth=1
	s_andn2_saveexec_b64 s[20:21], s[20:21]
	s_cbranch_execnz .LBB87_38
.LBB87_34:                              ;   in Loop: Header=BB87_15 Depth=1
	s_or_b64 exec, exec, s[20:21]
	v_mov_b32_e32 v20, 0
	s_and_saveexec_b64 s[20:21], s[10:11]
	s_cbranch_execz .LBB87_13
	s_branch .LBB87_39
.LBB87_35:                              ;   in Loop: Header=BB87_15 Depth=1
	v_cmp_ne_u16_e32 vcc, s24, v38
	s_and_b64 s[10:11], vcc, exec
	s_andn2_saveexec_b64 s[20:21], s[20:21]
	s_cbranch_execz .LBB87_30
.LBB87_36:                              ;   in Loop: Header=BB87_15 Depth=1
	v_cmp_ne_u16_e32 vcc, 0, v38
	s_andn2_b64 s[10:11], s[10:11], exec
	s_and_b64 s[36:37], vcc, exec
	s_or_b64 s[10:11], s[10:11], s[36:37]
	s_or_b64 exec, exec, s[20:21]
	v_mov_b32_e32 v37, 0
	s_and_saveexec_b64 s[20:21], s[10:11]
	s_cbranch_execnz .LBB87_31
	s_branch .LBB87_32
.LBB87_37:                              ;   in Loop: Header=BB87_15 Depth=1
	v_cmp_ne_u16_e32 vcc, s24, v38
	s_and_b64 s[10:11], vcc, exec
	s_andn2_saveexec_b64 s[20:21], s[20:21]
	s_cbranch_execz .LBB87_34
.LBB87_38:                              ;   in Loop: Header=BB87_15 Depth=1
	v_cmp_ne_u16_e32 vcc, 0, v38
	s_andn2_b64 s[10:11], s[10:11], exec
	s_and_b64 s[36:37], vcc, exec
	s_or_b64 s[10:11], s[10:11], s[36:37]
	s_or_b64 exec, exec, s[20:21]
	v_mov_b32_e32 v20, 0
	s_and_saveexec_b64 s[20:21], s[10:11]
	s_cbranch_execz .LBB87_13
.LBB87_39:                              ;   in Loop: Header=BB87_15 Depth=1
	v_and_b32_e32 v20, 0xffff, v38
	v_bfe_u32 v21, v20, 3, 4
	v_and_b32_e32 v20, 7, v20
	v_cvt_f32_ubyte0_e32 v20, v20
	v_fma_f32 v38, v20, s25, 1.0
	v_add_u32_e32 v39, -7, v21
	v_cmp_eq_u32_e32 vcc, 0, v21
	v_cndmask_b32_e32 v20, v38, v20, vcc
	v_cndmask_b32_e64 v21, v39, -9, vcc
	v_ldexp_f32 v20, v20, v21
	v_mul_f32_e32 v20, 0.5, v20
	s_branch .LBB87_13
.LBB87_40:
	s_or_b64 exec, exec, s[14:15]
.LBB87_41:
	s_or_b64 exec, exec, s[18:19]
	s_load_dword s7, s[4:5], 0x30
	v_cmp_eq_u32_e64 s[10:11], 0, v1
	v_cmp_ne_u32_e32 vcc, 0, v1
	s_and_saveexec_b64 s[12:13], vcc
	s_cbranch_execz .LBB87_45
; %bb.42:
	s_and_b64 vcc, exec, s[16:17]
	s_cbranch_vccz .LBB87_44
; %bb.43:
	v_lshl_add_u32 v2, v1, 8, v22
	ds_write_b32 v2, v25
.LBB87_44:
	v_lshlrev_b32_e32 v1, 8, v1
	s_waitcnt lgkmcnt(0)
	s_movk_i32 s9, 0xff00
	v_add3_u32 v1, v1, v22, s9
	ds_write_b32 v1, v26
.LBB87_45:
	s_or_b64 exec, exec, s[12:13]
	s_waitcnt vmcnt(0) lgkmcnt(0)
	s_barrier
	s_and_saveexec_b64 s[12:13], s[10:11]
	s_cbranch_execz .LBB87_74
; %bb.46:
	ds_read_b32 v2, v22
	v_cndmask_b32_e64 v1, 0, 1, s[16:17]
	v_cmp_ne_u32_e64 s[10:11], 1, v1
	s_andn2_b64 vcc, exec, s[16:17]
	s_cbranch_vccnz .LBB87_48
; %bb.47:
	ds_read_b32 v1, v22 offset:256
	s_waitcnt lgkmcnt(0)
	v_add_f32_e32 v25, v25, v1
.LBB87_48:
	v_mbcnt_lo_u32_b32 v1, -1, 0
	v_mbcnt_hi_u32_b32 v3, -1, v1
	v_and_b32_e32 v1, 64, v3
	v_add_u32_e32 v4, 64, v1
	v_xor_b32_e32 v1, 32, v3
	v_cmp_lt_i32_e32 vcc, v1, v4
	v_cndmask_b32_e32 v1, v3, v1, vcc
	v_lshlrev_b32_e32 v1, 2, v1
	s_waitcnt lgkmcnt(0)
	v_add_f32_e32 v5, v26, v2
	ds_bpermute_b32 v6, v1, v5
	v_xor_b32_e32 v2, 16, v3
	v_cmp_lt_i32_e32 vcc, v2, v4
	v_cndmask_b32_e32 v2, v3, v2, vcc
	v_lshlrev_b32_e32 v2, 2, v2
	s_waitcnt lgkmcnt(0)
	v_add_f32_e32 v6, v5, v6
	ds_bpermute_b32 v7, v2, v6
	;; [unrolled: 7-line block ×6, first 2 shown]
	s_and_b64 vcc, exec, s[10:11]
	s_cbranch_vccnz .LBB87_50
; %bb.49:
	ds_bpermute_b32 v1, v1, v25
	s_waitcnt lgkmcnt(0)
	v_add_f32_e32 v1, v25, v1
	ds_bpermute_b32 v2, v2, v1
	s_waitcnt lgkmcnt(0)
	v_add_f32_e32 v1, v1, v2
	;; [unrolled: 3-line block ×6, first 2 shown]
.LBB87_50:
	v_cmp_eq_u32_e32 vcc, 0, v0
	s_and_b64 exec, exec, vcc
	s_cbranch_execz .LBB87_74
; %bb.51:
	s_waitcnt lgkmcnt(0)
	v_add_f32_e32 v0, v3, v4
	v_add_f32_e32 v1, v24, v0
	s_and_b64 vcc, exec, s[10:11]
	v_cndmask_b32_e64 v0, v0, v1, s[0:1]
	s_cbranch_vccnz .LBB87_73
; %bb.52:
	v_add_f32_e32 v1, v23, v25
	v_cndmask_b32_e64 v1, v25, v1, s[2:3]
	s_cmp_lt_i32 s7, 2
	s_mov_b64 s[0:1], 0
	s_cbranch_scc1 .LBB87_56
; %bb.53:
	s_cmp_gt_i32 s7, 2
	s_cbranch_scc0 .LBB87_57
; %bb.54:
	s_cmp_eq_u32 s7, 3
	s_cbranch_scc0 .LBB87_58
; %bb.55:
	v_max_f32_e32 v2, v1, v1
	v_min_f32_e32 v2, 0x40e00000, v2
	v_mul_f32_e32 v3, 0xbfd9db23, v2
	s_mov_b32 s2, 0x3fb8aa3b
	v_mul_f32_e32 v4, 0x3fb8aa3b, v3
	v_fma_f32 v5, v3, s2, -v4
	v_rndne_f32_e32 v6, v4
	v_fmac_f32_e32 v5, 0x32a5705f, v3
	v_sub_f32_e32 v4, v4, v6
	v_add_f32_e32 v4, v4, v5
	v_exp_f32_e32 v4, v4
	v_cvt_i32_f32_e32 v5, v6
	s_mov_b32 s2, 0xc2ce8ed0
	v_cmp_ngt_f32_e32 vcc, s2, v3
	s_mov_b32 s2, 0x42b17218
	v_ldexp_f32 v4, v4, v5
	v_cndmask_b32_e32 v4, 0, v4, vcc
	v_mov_b32_e32 v5, 0x7f800000
	v_cmp_nlt_f32_e32 vcc, s2, v3
	v_cndmask_b32_e32 v3, v5, v4, vcc
	v_add_f32_e32 v3, 1.0, v3
	v_div_scale_f32 v4, s[2:3], v3, v3, v2
	v_div_scale_f32 v5, vcc, v2, v3, v2
	s_mov_b64 s[2:3], 0
	v_rcp_f32_e32 v6, v4
	v_fma_f32 v7, -v4, v6, 1.0
	v_fmac_f32_e32 v6, v7, v6
	v_mul_f32_e32 v7, v5, v6
	v_fma_f32 v8, -v4, v7, v5
	v_fmac_f32_e32 v7, v8, v6
	v_fma_f32 v4, -v4, v7, v5
	v_div_fmas_f32 v4, v4, v6, v7
	v_max_f32_e32 v5, v0, v0
	v_min_f32_e32 v5, 0x40e00000, v5
	v_max_f32_e32 v5, 0xc0e00000, v5
	v_add_f32_e32 v5, 1.0, v5
	v_div_fixup_f32 v2, v4, v3, v2
	v_mul_f32_e32 v2, v5, v2
	s_branch .LBB87_59
.LBB87_56:
                                        ; implicit-def: $vgpr2
	s_mov_b64 s[2:3], 0
	s_cbranch_execnz .LBB87_63
	s_branch .LBB87_64
.LBB87_57:
	s_mov_b64 s[10:11], -1
	s_mov_b64 s[2:3], 0
                                        ; implicit-def: $vgpr2
	s_branch .LBB87_60
.LBB87_58:
	s_mov_b64 s[2:3], -1
                                        ; implicit-def: $vgpr2
.LBB87_59:
	s_mov_b64 s[10:11], 0
.LBB87_60:
	s_and_b64 vcc, exec, s[10:11]
	s_cbranch_vccz .LBB87_62
; %bb.61:
	v_mul_f32_e32 v2, 0xbfb8aa3b, v1
	s_mov_b32 s9, 0xbfb8aa3b
	v_rndne_f32_e32 v3, v2
	v_sub_f32_e32 v4, v2, v3
	v_fma_f32 v2, v1, s9, -v2
	v_fmac_f32_e32 v2, 0xb2a5705f, v1
	v_add_f32_e32 v2, v4, v2
	v_exp_f32_e32 v2, v2
	v_cvt_i32_f32_e32 v3, v3
	s_mov_b32 s9, 0x42ce8ed0
	v_cmp_nlt_f32_e32 vcc, s9, v1
	s_mov_b32 s9, 0xc2b17218
	v_ldexp_f32 v2, v2, v3
	v_cndmask_b32_e32 v2, 0, v2, vcc
	v_mov_b32_e32 v3, 0x7f800000
	v_cmp_ngt_f32_e32 vcc, s9, v1
	v_cndmask_b32_e32 v2, v3, v2, vcc
	v_add_f32_e32 v2, 1.0, v2
	v_div_scale_f32 v3, s[10:11], v2, v2, v1
	v_div_scale_f32 v4, vcc, v1, v2, v1
	v_rcp_f32_e32 v5, v3
	v_fma_f32 v6, -v3, v5, 1.0
	v_fmac_f32_e32 v5, v6, v5
	v_mul_f32_e32 v6, v4, v5
	v_fma_f32 v7, -v3, v6, v4
	v_fmac_f32_e32 v6, v7, v5
	v_fma_f32 v3, -v3, v6, v4
	v_div_fmas_f32 v3, v3, v5, v6
	v_div_fixup_f32 v2, v3, v2, v1
	v_mul_f32_e32 v2, v0, v2
.LBB87_62:
	s_branch .LBB87_64
.LBB87_63:
	s_cmp_lg_u32 s7, 1
	s_mov_b64 s[0:1], -1
	s_cselect_b64 s[2:3], -1, 0
.LBB87_64:
	s_andn2_b64 vcc, exec, s[2:3]
	s_cbranch_vccz .LBB87_66
; %bb.65:
	s_andn2_b64 vcc, exec, s[0:1]
	s_cbranch_vccz .LBB87_67
	s_branch .LBB87_72
.LBB87_66:
	v_mul_f32_e32 v2, v1, v0
	s_cbranch_execnz .LBB87_72
.LBB87_67:
	v_mul_f32_e32 v3, 0x3d372713, v1
	v_mul_f32_e32 v2, 0x3f4c422a, v1
	v_fma_f32 v3, v1, v3, 1.0
	v_mul_f32_e32 v2, v2, v3
	s_mov_b32 s0, 0x3f200000
	v_cmp_nlt_f32_e64 s[0:1], |v2|, s0
                                        ; implicit-def: $vgpr3
	s_and_saveexec_b64 s[2:3], s[0:1]
	s_xor_b64 s[0:1], exec, s[2:3]
	s_cbranch_execz .LBB87_69
; %bb.68:
	v_add_f32_e64 v3, |v2|, |v2|
	v_mul_f32_e32 v4, 0x3fb8aa3b, v3
	s_mov_b32 s2, 0x3fb8aa3b
	v_rndne_f32_e32 v5, v4
	v_sub_f32_e32 v6, v4, v5
	v_fma_f32 v4, v3, s2, -v4
	v_fmac_f32_e32 v4, 0x32a5705f, v3
	v_add_f32_e32 v4, v6, v4
	v_exp_f32_e32 v4, v4
	v_cvt_i32_f32_e32 v5, v5
	s_mov_b32 s2, 0xc2ce8ed0
	v_cmp_ngt_f32_e32 vcc, s2, v3
	s_mov_b32 s2, 0x42b17218
	v_ldexp_f32 v4, v4, v5
	v_cndmask_b32_e32 v4, 0, v4, vcc
	v_mov_b32_e32 v5, 0x7f800000
	v_cmp_nlt_f32_e32 vcc, s2, v3
	v_cndmask_b32_e32 v3, v5, v4, vcc
	v_add_f32_e32 v3, 1.0, v3
	v_rcp_f32_e32 v3, v3
	v_fma_f32 v3, v3, -2.0, 1.0
.LBB87_69:
	s_andn2_saveexec_b64 s[0:1], s[0:1]
	s_cbranch_execz .LBB87_71
; %bb.70:
	v_mul_f32_e32 v3, v2, v2
	v_mov_b32_e32 v4, 0x3ca908c9
	v_fmac_f32_e32 v4, 0xbbbac73d, v3
	v_mov_b32_e32 v5, 0xbd5c1c4e
	v_fmac_f32_e32 v5, v3, v4
	;; [unrolled: 2-line block ×4, first 2 shown]
	v_mul_f32_e64 v4, |v2|, v5
	v_fma_f32 v3, v3, v4, |v2|
.LBB87_71:
	s_or_b64 exec, exec, s[0:1]
	s_brev_b32 s0, -2
	v_bfi_b32 v2, s0, v3, v2
	v_mul_f32_e32 v1, 0.5, v1
	v_add_f32_e32 v2, 1.0, v2
	v_mul_f32_e32 v1, v1, v2
	v_mul_f32_e32 v2, v0, v1
.LBB87_72:
	v_mov_b32_e32 v0, v2
.LBB87_73:
	s_load_dwordx2 s[0:1], s[4:5], 0x38
	s_mul_i32 s3, s22, s34
	s_mul_i32 s2, s26, s8
	s_add_i32 s3, s3, s6
	s_add_i32 s2, s3, s2
	s_mov_b32 s3, 0
	s_lshl_b64 s[2:3], s[2:3], 2
	s_waitcnt lgkmcnt(0)
	s_add_u32 s0, s0, s2
	s_addc_u32 s1, s1, s3
	global_store_dword v22, v0, s[0:1]
.LBB87_74:
	s_endpgm
	.section	.rodata,"a",@progbits
	.p2align	6, 0x0
	.amdhsa_kernel _ZL13mul_mat_vec_qIL9ggml_type40ELi1ELb1ELb0EEvPKvS2_PKi31ggml_cuda_mm_fusion_args_devicePfj15HIP_vector_typeIjLj3EEjjjS8_jjjS8_jjjj
		.amdhsa_group_segment_fixed_size 512
		.amdhsa_private_segment_fixed_size 0
		.amdhsa_kernarg_size 144
		.amdhsa_user_sgpr_count 6
		.amdhsa_user_sgpr_private_segment_buffer 1
		.amdhsa_user_sgpr_dispatch_ptr 0
		.amdhsa_user_sgpr_queue_ptr 0
		.amdhsa_user_sgpr_kernarg_segment_ptr 1
		.amdhsa_user_sgpr_dispatch_id 0
		.amdhsa_user_sgpr_flat_scratch_init 0
		.amdhsa_user_sgpr_private_segment_size 0
		.amdhsa_uses_dynamic_stack 0
		.amdhsa_system_sgpr_private_segment_wavefront_offset 0
		.amdhsa_system_sgpr_workgroup_id_x 1
		.amdhsa_system_sgpr_workgroup_id_y 1
		.amdhsa_system_sgpr_workgroup_id_z 1
		.amdhsa_system_sgpr_workgroup_info 0
		.amdhsa_system_vgpr_workitem_id 1
		.amdhsa_next_free_vgpr 41
		.amdhsa_next_free_sgpr 42
		.amdhsa_reserve_vcc 1
		.amdhsa_reserve_flat_scratch 0
		.amdhsa_float_round_mode_32 0
		.amdhsa_float_round_mode_16_64 0
		.amdhsa_float_denorm_mode_32 3
		.amdhsa_float_denorm_mode_16_64 3
		.amdhsa_dx10_clamp 1
		.amdhsa_ieee_mode 1
		.amdhsa_fp16_overflow 0
		.amdhsa_exception_fp_ieee_invalid_op 0
		.amdhsa_exception_fp_denorm_src 0
		.amdhsa_exception_fp_ieee_div_zero 0
		.amdhsa_exception_fp_ieee_overflow 0
		.amdhsa_exception_fp_ieee_underflow 0
		.amdhsa_exception_fp_ieee_inexact 0
		.amdhsa_exception_int_div_zero 0
	.end_amdhsa_kernel
	.section	.text._ZL13mul_mat_vec_qIL9ggml_type40ELi1ELb1ELb0EEvPKvS2_PKi31ggml_cuda_mm_fusion_args_devicePfj15HIP_vector_typeIjLj3EEjjjS8_jjjS8_jjjj,"axG",@progbits,_ZL13mul_mat_vec_qIL9ggml_type40ELi1ELb1ELb0EEvPKvS2_PKi31ggml_cuda_mm_fusion_args_devicePfj15HIP_vector_typeIjLj3EEjjjS8_jjjS8_jjjj,comdat
.Lfunc_end87:
	.size	_ZL13mul_mat_vec_qIL9ggml_type40ELi1ELb1ELb0EEvPKvS2_PKi31ggml_cuda_mm_fusion_args_devicePfj15HIP_vector_typeIjLj3EEjjjS8_jjjS8_jjjj, .Lfunc_end87-_ZL13mul_mat_vec_qIL9ggml_type40ELi1ELb1ELb0EEvPKvS2_PKi31ggml_cuda_mm_fusion_args_devicePfj15HIP_vector_typeIjLj3EEjjjS8_jjjS8_jjjj
                                        ; -- End function
	.set _ZL13mul_mat_vec_qIL9ggml_type40ELi1ELb1ELb0EEvPKvS2_PKi31ggml_cuda_mm_fusion_args_devicePfj15HIP_vector_typeIjLj3EEjjjS8_jjjS8_jjjj.num_vgpr, 41
	.set _ZL13mul_mat_vec_qIL9ggml_type40ELi1ELb1ELb0EEvPKvS2_PKi31ggml_cuda_mm_fusion_args_devicePfj15HIP_vector_typeIjLj3EEjjjS8_jjjS8_jjjj.num_agpr, 0
	.set _ZL13mul_mat_vec_qIL9ggml_type40ELi1ELb1ELb0EEvPKvS2_PKi31ggml_cuda_mm_fusion_args_devicePfj15HIP_vector_typeIjLj3EEjjjS8_jjjS8_jjjj.numbered_sgpr, 42
	.set _ZL13mul_mat_vec_qIL9ggml_type40ELi1ELb1ELb0EEvPKvS2_PKi31ggml_cuda_mm_fusion_args_devicePfj15HIP_vector_typeIjLj3EEjjjS8_jjjS8_jjjj.num_named_barrier, 0
	.set _ZL13mul_mat_vec_qIL9ggml_type40ELi1ELb1ELb0EEvPKvS2_PKi31ggml_cuda_mm_fusion_args_devicePfj15HIP_vector_typeIjLj3EEjjjS8_jjjS8_jjjj.private_seg_size, 0
	.set _ZL13mul_mat_vec_qIL9ggml_type40ELi1ELb1ELb0EEvPKvS2_PKi31ggml_cuda_mm_fusion_args_devicePfj15HIP_vector_typeIjLj3EEjjjS8_jjjS8_jjjj.uses_vcc, 1
	.set _ZL13mul_mat_vec_qIL9ggml_type40ELi1ELb1ELb0EEvPKvS2_PKi31ggml_cuda_mm_fusion_args_devicePfj15HIP_vector_typeIjLj3EEjjjS8_jjjS8_jjjj.uses_flat_scratch, 0
	.set _ZL13mul_mat_vec_qIL9ggml_type40ELi1ELb1ELb0EEvPKvS2_PKi31ggml_cuda_mm_fusion_args_devicePfj15HIP_vector_typeIjLj3EEjjjS8_jjjS8_jjjj.has_dyn_sized_stack, 0
	.set _ZL13mul_mat_vec_qIL9ggml_type40ELi1ELb1ELb0EEvPKvS2_PKi31ggml_cuda_mm_fusion_args_devicePfj15HIP_vector_typeIjLj3EEjjjS8_jjjS8_jjjj.has_recursion, 0
	.set _ZL13mul_mat_vec_qIL9ggml_type40ELi1ELb1ELb0EEvPKvS2_PKi31ggml_cuda_mm_fusion_args_devicePfj15HIP_vector_typeIjLj3EEjjjS8_jjjS8_jjjj.has_indirect_call, 0
	.section	.AMDGPU.csdata,"",@progbits
; Kernel info:
; codeLenInByte = 4004
; TotalNumSgprs: 46
; NumVgprs: 41
; ScratchSize: 0
; MemoryBound: 0
; FloatMode: 240
; IeeeMode: 1
; LDSByteSize: 512 bytes/workgroup (compile time only)
; SGPRBlocks: 5
; VGPRBlocks: 10
; NumSGPRsForWavesPerEU: 46
; NumVGPRsForWavesPerEU: 41
; Occupancy: 5
; WaveLimiterHint : 0
; COMPUTE_PGM_RSRC2:SCRATCH_EN: 0
; COMPUTE_PGM_RSRC2:USER_SGPR: 6
; COMPUTE_PGM_RSRC2:TRAP_HANDLER: 0
; COMPUTE_PGM_RSRC2:TGID_X_EN: 1
; COMPUTE_PGM_RSRC2:TGID_Y_EN: 1
; COMPUTE_PGM_RSRC2:TGID_Z_EN: 1
; COMPUTE_PGM_RSRC2:TIDIG_COMP_CNT: 1
	.section	.text._ZL13mul_mat_vec_qIL9ggml_type40ELi1ELb0ELb0EEvPKvS2_PKi31ggml_cuda_mm_fusion_args_devicePfj15HIP_vector_typeIjLj3EEjjjS8_jjjS8_jjjj,"axG",@progbits,_ZL13mul_mat_vec_qIL9ggml_type40ELi1ELb0ELb0EEvPKvS2_PKi31ggml_cuda_mm_fusion_args_devicePfj15HIP_vector_typeIjLj3EEjjjS8_jjjS8_jjjj,comdat
	.globl	_ZL13mul_mat_vec_qIL9ggml_type40ELi1ELb0ELb0EEvPKvS2_PKi31ggml_cuda_mm_fusion_args_devicePfj15HIP_vector_typeIjLj3EEjjjS8_jjjS8_jjjj ; -- Begin function _ZL13mul_mat_vec_qIL9ggml_type40ELi1ELb0ELb0EEvPKvS2_PKi31ggml_cuda_mm_fusion_args_devicePfj15HIP_vector_typeIjLj3EEjjjS8_jjjS8_jjjj
	.p2align	8
	.type	_ZL13mul_mat_vec_qIL9ggml_type40ELi1ELb0ELb0EEvPKvS2_PKi31ggml_cuda_mm_fusion_args_devicePfj15HIP_vector_typeIjLj3EEjjjS8_jjjS8_jjjj,@function
_ZL13mul_mat_vec_qIL9ggml_type40ELi1ELb0ELb0EEvPKvS2_PKi31ggml_cuda_mm_fusion_args_devicePfj15HIP_vector_typeIjLj3EEjjjS8_jjjS8_jjjj: ; @_ZL13mul_mat_vec_qIL9ggml_type40ELi1ELb0ELb0EEvPKvS2_PKi31ggml_cuda_mm_fusion_args_devicePfj15HIP_vector_typeIjLj3EEjjjS8_jjjS8_jjjj
; %bb.0:
	s_load_dwordx2 s[0:1], s[4:5], 0x10
	s_load_dwordx4 s[16:19], s[4:5], 0x40
	s_mov_b32 s10, s7
	s_mov_b64 s[14:15], 0
	s_waitcnt lgkmcnt(0)
	s_cmp_lg_u64 s[0:1], 0
	s_cselect_b64 s[12:13], -1, 0
	s_cmp_eq_u64 s[0:1], 0
	s_cbranch_scc1 .LBB88_5
; %bb.1:
	s_mov_b32 s11, 0
	s_lshl_b64 s[2:3], s[10:11], 2
	s_add_u32 s0, s0, s2
	s_addc_u32 s1, s1, s3
	s_load_dword s9, s[0:1], 0x0
	s_nop 0
	s_load_dwordx4 s[0:3], s[4:5], 0x68
	s_load_dword s11, s[4:5], 0x50
	s_andn2_b64 vcc, exec, s[14:15]
	s_cbranch_vccnz .LBB88_3
.LBB88_2:
	s_load_dwordx2 s[14:15], s[4:5], 0x5c
	s_waitcnt lgkmcnt(0)
	s_mul_hi_u32 s7, s14, s10
	s_add_i32 s7, s10, s7
	s_lshr_b32 s9, s7, s15
.LBB88_3:
	s_load_dword s22, s[4:5], 0x78
	s_andn2_b64 vcc, exec, s[12:13]
	s_cbranch_vccnz .LBB88_6
; %bb.4:
	s_mul_hi_u32 s7, s17, s10
	s_add_i32 s7, s10, s7
	s_lshr_b32 s7, s7, s18
	s_mul_i32 s7, s7, s19
	s_sub_i32 s23, s10, s7
	s_branch .LBB88_7
.LBB88_5:
                                        ; implicit-def: $sgpr9
	s_load_dwordx4 s[0:3], s[4:5], 0x68
	s_load_dword s11, s[4:5], 0x50
	s_branch .LBB88_2
.LBB88_6:
	s_mov_b32 s23, s10
.LBB88_7:
	s_load_dwordx4 s[12:15], s[4:5], 0x80
	v_lshlrev_b32_e32 v2, 6, v1
	v_add_u16_e32 v3, v2, v0
	s_lshr_b32 s7, s16, 6
	v_lshrrev_b16_e32 v18, 1, v3
	v_cmp_gt_u32_e32 vcc, s7, v18
	v_mov_b32_e32 v17, 0
	v_lshlrev_b32_e32 v16, 2, v0
	s_and_saveexec_b64 s[20:21], vcc
	s_cbranch_execz .LBB88_23
; %bb.8:
	s_waitcnt lgkmcnt(0)
	s_mul_i32 s9, s9, s0
	s_mul_hi_u32 s0, s3, s8
	s_add_i32 s0, s8, s0
	s_mul_i32 s1, s23, s1
	s_lshr_b32 s0, s0, s22
	v_add_u32_e32 v2, v2, v0
	s_mul_i32 s3, s0, s12
	s_mul_hi_u32 s0, s1, 36
	s_mul_i32 s1, s1, 36
	v_lshrrev_b32_e32 v5, 1, v2
	v_mov_b32_e32 v2, s1
	v_mov_b32_e32 v3, s0
	s_movk_i32 s0, 0x48
	v_mad_u64_u32 v[2:3], s[0:1], v5, s0, v[2:3]
	s_mul_i32 s13, s13, s8
	s_load_dwordx4 s[16:19], s[4:5], 0x0
	v_mad_u64_u32 v[2:3], s[0:1], s13, 36, v[2:3]
	v_and_b32_e32 v5, 1, v0
	s_mul_i32 s11, s11, s6
	v_mad_u64_u32 v[2:3], s[0:1], v5, 36, v[2:3]
	s_waitcnt lgkmcnt(0)
	v_mov_b32_e32 v5, s19
	v_and_b32_e32 v4, 4, v16
	v_add_co_u32_e32 v2, vcc, s18, v2
	v_addc_co_u32_e32 v3, vcc, v5, v3, vcc
	s_add_i32 s3, s3, s11
	v_add_co_u32_e32 v14, vcc, 16, v2
	s_add_i32 s3, s9, s3
	v_lshrrev_b32_e32 v19, 1, v4
	v_mov_b32_e32 v20, 0
	v_addc_co_u32_e32 v15, vcc, 0, v3, vcc
	s_mov_b64 s[12:13], 0
	v_lshlrev_b32_e32 v21, 2, v4
	s_movk_i32 s9, 0x7e
	s_movk_i32 s11, 0x7f
	s_mov_b32 s15, 0x3e000000
	s_mov_b32 s22, 0xf4f8fafc
	;; [unrolled: 1-line block ×3, first 2 shown]
	v_mov_b32_e32 v22, 0xfdfeff00
	v_mov_b32_e32 v23, 0x3020100
	;; [unrolled: 1-line block ×3, first 2 shown]
	s_branch .LBB88_10
.LBB88_9:                               ;   in Loop: Header=BB88_10 Depth=1
	s_or_b64 exec, exec, s[18:19]
	v_ashrrev_i32_e32 v27, 4, v13
	v_and_b32_e32 v28, 0x7070707, v27
	v_lshrrev_b32_e32 v27, 1, v27
	v_and_b32_e32 v27, 0x4040404, v27
	v_perm_b32 v29, s22, v22, v28
	v_perm_b32 v28, s23, v23, v28
	v_or_b32_e32 v27, 0x3020100, v27
	v_perm_b32 v27, v29, v28, v27
	v_and_b32_e32 v28, 0x7070707, v13
	v_lshrrev_b32_e32 v13, 1, v13
	v_and_b32_e32 v13, 0x4040404, v13
	v_perm_b32 v29, s22, v22, v28
	v_perm_b32 v28, s23, v23, v28
	v_or_b32_e32 v13, 0x3020100, v13
	v_perm_b32 v13, v29, v28, v13
	v_ashrrev_i32_e32 v28, 4, v12
	v_and_b32_e32 v29, 0x7070707, v28
	v_lshrrev_b32_e32 v28, 1, v28
	v_and_b32_e32 v28, 0x4040404, v28
	v_perm_b32 v30, s22, v22, v29
	v_perm_b32 v29, s23, v23, v29
	v_or_b32_e32 v28, 0x3020100, v28
	v_perm_b32 v28, v30, v29, v28
	v_and_b32_e32 v29, 0x7070707, v12
	v_lshrrev_b32_e32 v12, 1, v12
	v_and_b32_e32 v12, 0x4040404, v12
	v_perm_b32 v30, s22, v22, v29
	v_perm_b32 v29, s23, v23, v29
	v_or_b32_e32 v12, 0x3020100, v12
	v_perm_b32 v12, v30, v29, v12
	s_waitcnt vmcnt(1)
	v_dot4_i32_i8 v3, v12, v3, 0
	v_dot4_i32_i8 v3, v28, v5, v3
	;; [unrolled: 1-line block ×3, first 2 shown]
	v_ashrrev_i32_e32 v4, 4, v11
	v_and_b32_e32 v5, 0x7070707, v4
	v_lshrrev_b32_e32 v4, 1, v4
	v_and_b32_e32 v4, 0x4040404, v4
	v_perm_b32 v12, s22, v22, v5
	v_perm_b32 v5, s23, v23, v5
	v_or_b32_e32 v4, 0x3020100, v4
	v_perm_b32 v4, v12, v5, v4
	v_and_b32_e32 v5, 0x7070707, v11
	v_lshrrev_b32_e32 v11, 1, v11
	v_and_b32_e32 v11, 0x4040404, v11
	v_perm_b32 v12, s22, v22, v5
	v_perm_b32 v5, s23, v23, v5
	v_or_b32_e32 v11, 0x3020100, v11
	v_perm_b32 v5, v12, v5, v11
	v_ashrrev_i32_e32 v11, 4, v10
	v_and_b32_e32 v12, 0x7070707, v11
	v_lshrrev_b32_e32 v11, 1, v11
	v_and_b32_e32 v11, 0x4040404, v11
	v_perm_b32 v13, s22, v22, v12
	v_perm_b32 v12, s23, v23, v12
	v_or_b32_e32 v11, 0x3020100, v11
	v_perm_b32 v11, v13, v12, v11
	v_and_b32_e32 v12, 0x7070707, v10
	v_lshrrev_b32_e32 v10, 1, v10
	v_and_b32_e32 v10, 0x4040404, v10
	v_perm_b32 v13, s22, v22, v12
	v_perm_b32 v12, s23, v23, v12
	v_or_b32_e32 v10, 0x3020100, v10
	v_perm_b32 v10, v13, v12, v10
	s_waitcnt vmcnt(0)
	v_dot4_i32_i8 v7, v10, v7, 0
	v_dot4_i32_i8 v7, v11, v9, v7
	;; [unrolled: 1-line block ×3, first 2 shown]
	v_cvt_f32_f16_e32 v6, v6
	v_dot4_i32_i8 v2, v4, v2, v5
	v_cvt_f32_i32_e32 v2, v2
	v_dot4_i32_i8 v3, v27, v24, v3
	v_cvt_f32_i32_e32 v3, v3
	v_mul_f32_e32 v4, v25, v6
	v_fma_f32 v2, v4, v2, 0
	v_mul_f32_e32 v4, v26, v6
	v_add_u32_e32 v18, 64, v18
	v_fmac_f32_e32 v2, v4, v3
	v_add_co_u32_e32 v14, vcc, 0x1200, v14
	v_cmp_le_u32_e64 s[0:1], s7, v18
	v_add_f32_e32 v17, v17, v2
	s_or_b64 s[12:13], s[0:1], s[12:13]
	v_addc_co_u32_e32 v15, vcc, 0, v15, vcc
	s_andn2_b64 exec, exec, s[12:13]
	s_cbranch_execz .LBB88_22
.LBB88_10:                              ; =>This Inner Loop Header: Depth=1
	v_add_u32_e32 v2, s3, v18
	v_mad_i64_i32 v[2:3], s[0:1], v2, 36, s[16:17]
	global_load_dword v24, v[14:15], off offset:16
	s_mov_b64 s[0:1], 0
	v_add_co_u32_e32 v27, vcc, v2, v21
	v_addc_co_u32_e32 v28, vcc, 0, v3, vcc
	v_add_co_u32_e32 v29, vcc, v2, v19
	v_addc_co_u32_e32 v30, vcc, 0, v3, vcc
	global_load_dwordx4 v[10:13], v[27:28], off offset:4
	global_load_ushort v26, v[29:30], off
	global_load_dwordx4 v[2:5], v[14:15], off
	global_load_dwordx4 v[6:9], v[14:15], off offset:-16
	s_waitcnt vmcnt(2)
	v_cmp_gt_i16_sdwa s[18:19], v26, s9 src0_sel:BYTE_0 src1_sel:DWORD
	s_and_saveexec_b64 s[24:25], s[18:19]
	s_xor_b64 s[18:19], exec, s[24:25]
	s_cbranch_execnz .LBB88_17
; %bb.11:                               ;   in Loop: Header=BB88_10 Depth=1
	s_andn2_saveexec_b64 s[18:19], s[18:19]
	s_cbranch_execnz .LBB88_18
.LBB88_12:                              ;   in Loop: Header=BB88_10 Depth=1
	s_or_b64 exec, exec, s[18:19]
	v_mov_b32_e32 v25, 0
	s_and_saveexec_b64 s[18:19], s[0:1]
	s_cbranch_execz .LBB88_14
.LBB88_13:                              ;   in Loop: Header=BB88_10 Depth=1
	v_lshrrev_b16_e32 v25, 3, v26
	v_and_b32_e32 v27, 7, v26
	v_and_b32_e32 v25, 15, v25
	v_cvt_f32_ubyte0_e32 v27, v27
	v_fma_f32 v28, v27, s15, 1.0
	v_cmp_eq_u32_e32 vcc, 0, v25
	v_add_u32_e32 v25, -7, v25
	v_cndmask_b32_e32 v27, v28, v27, vcc
	v_cndmask_b32_e64 v25, v25, -9, vcc
	v_ldexp_f32 v25, v27, v25
	v_mul_f32_e32 v25, 0.5, v25
.LBB88_14:                              ;   in Loop: Header=BB88_10 Depth=1
	s_or_b64 exec, exec, s[18:19]
	v_lshrrev_b16_e32 v27, 8, v26
	v_cmp_lt_i16_e32 vcc, s9, v27
	s_mov_b64 s[0:1], 0
	s_and_saveexec_b64 s[18:19], vcc
	s_xor_b64 s[18:19], exec, s[18:19]
	s_cbranch_execnz .LBB88_19
; %bb.15:                               ;   in Loop: Header=BB88_10 Depth=1
	s_andn2_saveexec_b64 s[18:19], s[18:19]
	s_cbranch_execnz .LBB88_20
.LBB88_16:                              ;   in Loop: Header=BB88_10 Depth=1
	s_or_b64 exec, exec, s[18:19]
	v_mov_b32_e32 v26, 0
	s_and_saveexec_b64 s[18:19], s[0:1]
	s_cbranch_execz .LBB88_9
	s_branch .LBB88_21
.LBB88_17:                              ;   in Loop: Header=BB88_10 Depth=1
	v_cmp_ne_u16_sdwa s[0:1], v26, s11 src0_sel:BYTE_0 src1_sel:DWORD
	s_and_b64 s[0:1], s[0:1], exec
	s_andn2_saveexec_b64 s[18:19], s[18:19]
	s_cbranch_execz .LBB88_12
.LBB88_18:                              ;   in Loop: Header=BB88_10 Depth=1
	v_cmp_ne_u16_sdwa s[24:25], v26, v20 src0_sel:BYTE_0 src1_sel:DWORD
	s_andn2_b64 s[0:1], s[0:1], exec
	s_and_b64 s[24:25], s[24:25], exec
	s_or_b64 s[0:1], s[0:1], s[24:25]
	s_or_b64 exec, exec, s[18:19]
	v_mov_b32_e32 v25, 0
	s_and_saveexec_b64 s[18:19], s[0:1]
	s_cbranch_execnz .LBB88_13
	s_branch .LBB88_14
.LBB88_19:                              ;   in Loop: Header=BB88_10 Depth=1
	v_cmp_ne_u16_e32 vcc, s11, v27
	s_and_b64 s[0:1], vcc, exec
	s_andn2_saveexec_b64 s[18:19], s[18:19]
	s_cbranch_execz .LBB88_16
.LBB88_20:                              ;   in Loop: Header=BB88_10 Depth=1
	v_cmp_ne_u16_e32 vcc, 0, v27
	s_andn2_b64 s[0:1], s[0:1], exec
	s_and_b64 s[24:25], vcc, exec
	s_or_b64 s[0:1], s[0:1], s[24:25]
	s_or_b64 exec, exec, s[18:19]
	v_mov_b32_e32 v26, 0
	s_and_saveexec_b64 s[18:19], s[0:1]
	s_cbranch_execz .LBB88_9
.LBB88_21:                              ;   in Loop: Header=BB88_10 Depth=1
	v_bfe_u32 v26, v27, 3, 4
	v_and_b32_e32 v27, 7, v27
	v_cvt_f32_ubyte0_e32 v27, v27
	v_fma_f32 v28, v27, s15, 1.0
	v_add_u32_e32 v29, -7, v26
	v_cmp_eq_u32_e32 vcc, 0, v26
	v_cndmask_b32_e32 v26, v28, v27, vcc
	v_cndmask_b32_e64 v27, v29, -9, vcc
	v_ldexp_f32 v26, v26, v27
	v_mul_f32_e32 v26, 0.5, v26
	s_branch .LBB88_9
.LBB88_22:
	s_or_b64 exec, exec, s[12:13]
.LBB88_23:
	s_or_b64 exec, exec, s[20:21]
	v_cmp_eq_u32_e32 vcc, 0, v1
	s_waitcnt lgkmcnt(0)
	v_cmp_ne_u32_e64 s[0:1], 0, v1
	s_and_saveexec_b64 s[12:13], s[0:1]
; %bb.24:
	v_lshlrev_b32_e32 v1, 8, v1
	s_movk_i32 s0, 0xff00
	v_add3_u32 v1, v1, v16, s0
	ds_write_b32 v1, v17
; %bb.25:
	s_or_b64 exec, exec, s[12:13]
	s_waitcnt lgkmcnt(0)
	s_barrier
	s_and_saveexec_b64 s[0:1], vcc
	s_cbranch_execz .LBB88_28
; %bb.26:
	v_mbcnt_lo_u32_b32 v2, -1, 0
	ds_read_b32 v1, v16
	v_mbcnt_hi_u32_b32 v2, -1, v2
	v_and_b32_e32 v3, 64, v2
	v_add_u32_e32 v3, 64, v3
	v_xor_b32_e32 v4, 32, v2
	v_cmp_lt_i32_e32 vcc, v4, v3
	v_cndmask_b32_e32 v4, v2, v4, vcc
	v_lshlrev_b32_e32 v4, 2, v4
	s_waitcnt lgkmcnt(0)
	v_add_f32_e32 v1, v17, v1
	ds_bpermute_b32 v4, v4, v1
	v_xor_b32_e32 v5, 16, v2
	v_cmp_lt_i32_e32 vcc, v5, v3
	v_cndmask_b32_e32 v5, v2, v5, vcc
	v_lshlrev_b32_e32 v5, 2, v5
	s_waitcnt lgkmcnt(0)
	v_add_f32_e32 v1, v1, v4
	ds_bpermute_b32 v4, v5, v1
	;; [unrolled: 7-line block ×6, first 2 shown]
	s_mov_b32 s1, 0
	v_cmp_eq_u32_e32 vcc, 0, v0
	s_and_b64 exec, exec, vcc
	s_cbranch_execz .LBB88_28
; %bb.27:
	s_load_dwordx2 s[4:5], s[4:5], 0x38
	s_mul_i32 s0, s2, s10
	s_add_i32 s0, s0, s6
	s_mul_i32 s2, s14, s8
	s_add_i32 s0, s0, s2
	s_lshl_b64 s[0:1], s[0:1], 2
	s_waitcnt lgkmcnt(0)
	s_add_u32 s0, s4, s0
	v_add_f32_e32 v0, v1, v2
	s_addc_u32 s1, s5, s1
	v_mov_b32_e32 v1, 0
	global_store_dword v1, v0, s[0:1]
.LBB88_28:
	s_endpgm
	.section	.rodata,"a",@progbits
	.p2align	6, 0x0
	.amdhsa_kernel _ZL13mul_mat_vec_qIL9ggml_type40ELi1ELb0ELb0EEvPKvS2_PKi31ggml_cuda_mm_fusion_args_devicePfj15HIP_vector_typeIjLj3EEjjjS8_jjjS8_jjjj
		.amdhsa_group_segment_fixed_size 256
		.amdhsa_private_segment_fixed_size 0
		.amdhsa_kernarg_size 144
		.amdhsa_user_sgpr_count 6
		.amdhsa_user_sgpr_private_segment_buffer 1
		.amdhsa_user_sgpr_dispatch_ptr 0
		.amdhsa_user_sgpr_queue_ptr 0
		.amdhsa_user_sgpr_kernarg_segment_ptr 1
		.amdhsa_user_sgpr_dispatch_id 0
		.amdhsa_user_sgpr_flat_scratch_init 0
		.amdhsa_user_sgpr_private_segment_size 0
		.amdhsa_uses_dynamic_stack 0
		.amdhsa_system_sgpr_private_segment_wavefront_offset 0
		.amdhsa_system_sgpr_workgroup_id_x 1
		.amdhsa_system_sgpr_workgroup_id_y 1
		.amdhsa_system_sgpr_workgroup_id_z 1
		.amdhsa_system_sgpr_workgroup_info 0
		.amdhsa_system_vgpr_workitem_id 1
		.amdhsa_next_free_vgpr 31
		.amdhsa_next_free_sgpr 26
		.amdhsa_reserve_vcc 1
		.amdhsa_reserve_flat_scratch 0
		.amdhsa_float_round_mode_32 0
		.amdhsa_float_round_mode_16_64 0
		.amdhsa_float_denorm_mode_32 3
		.amdhsa_float_denorm_mode_16_64 3
		.amdhsa_dx10_clamp 1
		.amdhsa_ieee_mode 1
		.amdhsa_fp16_overflow 0
		.amdhsa_exception_fp_ieee_invalid_op 0
		.amdhsa_exception_fp_denorm_src 0
		.amdhsa_exception_fp_ieee_div_zero 0
		.amdhsa_exception_fp_ieee_overflow 0
		.amdhsa_exception_fp_ieee_underflow 0
		.amdhsa_exception_fp_ieee_inexact 0
		.amdhsa_exception_int_div_zero 0
	.end_amdhsa_kernel
	.section	.text._ZL13mul_mat_vec_qIL9ggml_type40ELi1ELb0ELb0EEvPKvS2_PKi31ggml_cuda_mm_fusion_args_devicePfj15HIP_vector_typeIjLj3EEjjjS8_jjjS8_jjjj,"axG",@progbits,_ZL13mul_mat_vec_qIL9ggml_type40ELi1ELb0ELb0EEvPKvS2_PKi31ggml_cuda_mm_fusion_args_devicePfj15HIP_vector_typeIjLj3EEjjjS8_jjjS8_jjjj,comdat
.Lfunc_end88:
	.size	_ZL13mul_mat_vec_qIL9ggml_type40ELi1ELb0ELb0EEvPKvS2_PKi31ggml_cuda_mm_fusion_args_devicePfj15HIP_vector_typeIjLj3EEjjjS8_jjjS8_jjjj, .Lfunc_end88-_ZL13mul_mat_vec_qIL9ggml_type40ELi1ELb0ELb0EEvPKvS2_PKi31ggml_cuda_mm_fusion_args_devicePfj15HIP_vector_typeIjLj3EEjjjS8_jjjS8_jjjj
                                        ; -- End function
	.set _ZL13mul_mat_vec_qIL9ggml_type40ELi1ELb0ELb0EEvPKvS2_PKi31ggml_cuda_mm_fusion_args_devicePfj15HIP_vector_typeIjLj3EEjjjS8_jjjS8_jjjj.num_vgpr, 31
	.set _ZL13mul_mat_vec_qIL9ggml_type40ELi1ELb0ELb0EEvPKvS2_PKi31ggml_cuda_mm_fusion_args_devicePfj15HIP_vector_typeIjLj3EEjjjS8_jjjS8_jjjj.num_agpr, 0
	.set _ZL13mul_mat_vec_qIL9ggml_type40ELi1ELb0ELb0EEvPKvS2_PKi31ggml_cuda_mm_fusion_args_devicePfj15HIP_vector_typeIjLj3EEjjjS8_jjjS8_jjjj.numbered_sgpr, 26
	.set _ZL13mul_mat_vec_qIL9ggml_type40ELi1ELb0ELb0EEvPKvS2_PKi31ggml_cuda_mm_fusion_args_devicePfj15HIP_vector_typeIjLj3EEjjjS8_jjjS8_jjjj.num_named_barrier, 0
	.set _ZL13mul_mat_vec_qIL9ggml_type40ELi1ELb0ELb0EEvPKvS2_PKi31ggml_cuda_mm_fusion_args_devicePfj15HIP_vector_typeIjLj3EEjjjS8_jjjS8_jjjj.private_seg_size, 0
	.set _ZL13mul_mat_vec_qIL9ggml_type40ELi1ELb0ELb0EEvPKvS2_PKi31ggml_cuda_mm_fusion_args_devicePfj15HIP_vector_typeIjLj3EEjjjS8_jjjS8_jjjj.uses_vcc, 1
	.set _ZL13mul_mat_vec_qIL9ggml_type40ELi1ELb0ELb0EEvPKvS2_PKi31ggml_cuda_mm_fusion_args_devicePfj15HIP_vector_typeIjLj3EEjjjS8_jjjS8_jjjj.uses_flat_scratch, 0
	.set _ZL13mul_mat_vec_qIL9ggml_type40ELi1ELb0ELb0EEvPKvS2_PKi31ggml_cuda_mm_fusion_args_devicePfj15HIP_vector_typeIjLj3EEjjjS8_jjjS8_jjjj.has_dyn_sized_stack, 0
	.set _ZL13mul_mat_vec_qIL9ggml_type40ELi1ELb0ELb0EEvPKvS2_PKi31ggml_cuda_mm_fusion_args_devicePfj15HIP_vector_typeIjLj3EEjjjS8_jjjS8_jjjj.has_recursion, 0
	.set _ZL13mul_mat_vec_qIL9ggml_type40ELi1ELb0ELb0EEvPKvS2_PKi31ggml_cuda_mm_fusion_args_devicePfj15HIP_vector_typeIjLj3EEjjjS8_jjjS8_jjjj.has_indirect_call, 0
	.section	.AMDGPU.csdata,"",@progbits
; Kernel info:
; codeLenInByte = 1788
; TotalNumSgprs: 30
; NumVgprs: 31
; ScratchSize: 0
; MemoryBound: 0
; FloatMode: 240
; IeeeMode: 1
; LDSByteSize: 256 bytes/workgroup (compile time only)
; SGPRBlocks: 3
; VGPRBlocks: 7
; NumSGPRsForWavesPerEU: 30
; NumVGPRsForWavesPerEU: 31
; Occupancy: 8
; WaveLimiterHint : 0
; COMPUTE_PGM_RSRC2:SCRATCH_EN: 0
; COMPUTE_PGM_RSRC2:USER_SGPR: 6
; COMPUTE_PGM_RSRC2:TRAP_HANDLER: 0
; COMPUTE_PGM_RSRC2:TGID_X_EN: 1
; COMPUTE_PGM_RSRC2:TGID_Y_EN: 1
; COMPUTE_PGM_RSRC2:TGID_Z_EN: 1
; COMPUTE_PGM_RSRC2:TIDIG_COMP_CNT: 1
	.section	.text._ZL13mul_mat_vec_qIL9ggml_type40ELi2ELb0ELb0EEvPKvS2_PKi31ggml_cuda_mm_fusion_args_devicePfj15HIP_vector_typeIjLj3EEjjjS8_jjjS8_jjjj,"axG",@progbits,_ZL13mul_mat_vec_qIL9ggml_type40ELi2ELb0ELb0EEvPKvS2_PKi31ggml_cuda_mm_fusion_args_devicePfj15HIP_vector_typeIjLj3EEjjjS8_jjjS8_jjjj,comdat
	.globl	_ZL13mul_mat_vec_qIL9ggml_type40ELi2ELb0ELb0EEvPKvS2_PKi31ggml_cuda_mm_fusion_args_devicePfj15HIP_vector_typeIjLj3EEjjjS8_jjjS8_jjjj ; -- Begin function _ZL13mul_mat_vec_qIL9ggml_type40ELi2ELb0ELb0EEvPKvS2_PKi31ggml_cuda_mm_fusion_args_devicePfj15HIP_vector_typeIjLj3EEjjjS8_jjjS8_jjjj
	.p2align	8
	.type	_ZL13mul_mat_vec_qIL9ggml_type40ELi2ELb0ELb0EEvPKvS2_PKi31ggml_cuda_mm_fusion_args_devicePfj15HIP_vector_typeIjLj3EEjjjS8_jjjS8_jjjj,@function
_ZL13mul_mat_vec_qIL9ggml_type40ELi2ELb0ELb0EEvPKvS2_PKi31ggml_cuda_mm_fusion_args_devicePfj15HIP_vector_typeIjLj3EEjjjS8_jjjS8_jjjj: ; @_ZL13mul_mat_vec_qIL9ggml_type40ELi2ELb0ELb0EEvPKvS2_PKi31ggml_cuda_mm_fusion_args_devicePfj15HIP_vector_typeIjLj3EEjjjS8_jjjS8_jjjj
; %bb.0:
	v_lshlrev_b32_e32 v2, 6, v1
	s_load_dword s9, s[4:5], 0x40
	s_load_dwordx4 s[0:3], s[4:5], 0x50
	s_load_dword s25, s[4:5], 0x60
	s_load_dwordx4 s[12:15], s[4:5], 0x68
	;; [unrolled: 2-line block ×3, first 2 shown]
	v_add_u16_e32 v2, v2, v0
	s_waitcnt lgkmcnt(0)
	s_lshr_b32 s9, s9, 6
	v_lshrrev_b16_e32 v51, 1, v2
	s_lshl_b32 s6, s6, 1
	v_cmp_gt_u32_e32 vcc, s9, v51
	v_mov_b32_e32 v50, 0
	v_lshlrev_b32_e32 v46, 2, v0
	v_mov_b32_e32 v49, 0
	v_mov_b32_e32 v48, 0
	;; [unrolled: 1-line block ×3, first 2 shown]
	s_and_saveexec_b64 s[10:11], vcc
	s_cbranch_execz .LBB89_52
; %bb.1:
	s_load_dwordx4 s[20:23], s[4:5], 0x0
	s_mul_i32 s17, s17, s8
	s_mul_i32 s26, s17, 36
	;; [unrolled: 1-line block ×3, first 2 shown]
	s_mul_hi_u32 s19, s17, 36
	s_waitcnt lgkmcnt(0)
	s_add_u32 s28, s22, s26
	s_addc_u32 s19, s23, s19
	s_mul_i32 s26, s13, 36
	s_mul_hi_u32 s27, s13, 36
	s_add_u32 s28, s28, s26
	s_mul_hi_u32 s3, s3, s7
	s_addc_u32 s29, s19, s27
	s_add_i32 s3, s7, s3
	s_lshr_b32 s3, s3, s25
	s_mul_i32 s3, s3, s12
	s_mul_hi_u32 s12, s15, s8
	s_add_i32 s12, s8, s12
	s_lshr_b32 s12, s12, s24
	v_and_b32_e32 v4, 4, v46
	s_mul_i32 s12, s12, s16
	v_and_b32_e32 v5, 1, v0
	v_or_b32_e32 v2, 2, v4
	s_add_i32 s15, s12, s3
	v_lshrrev_b32_e32 v53, 1, v2
	v_mad_u64_u32 v[18:19], s[12:13], v5, 36, s[28:29]
	v_mov_b32_e32 v2, s26
	s_movk_i32 s12, 0x48
	v_mov_b32_e32 v3, s27
	v_mad_u64_u32 v[2:3], s[12:13], v51, s12, v[2:3]
	s_add_i32 s16, s6, 1
	s_mul_i32 s3, s6, s0
	v_mad_u64_u32 v[2:3], s[12:13], s17, 36, v[2:3]
	s_mul_i32 s0, s0, s16
	v_lshrrev_b32_e32 v52, 1, v4
	v_mad_u64_u32 v[2:3], s[12:13], v5, 36, v[2:3]
	v_mov_b32_e32 v5, s23
	v_mov_b32_e32 v47, 0
	v_add_co_u32_e32 v20, vcc, s22, v2
	s_add_i32 s3, s15, s3
	s_add_i32 s15, s15, s0
	v_lshl_add_u32 v54, v51, 1, s1
	v_addc_co_u32_e32 v21, vcc, v5, v3, vcc
	s_mov_b64 s[12:13], 0
	s_movk_i32 s19, 0x7e
	s_movk_i32 s22, 0x7f
	s_mov_b32 s23, 0x3e000000
	s_mov_b32 s24, 0xf4f8fafc
	;; [unrolled: 1-line block ×3, first 2 shown]
	v_lshlrev_b32_e32 v55, 2, v4
	v_mov_b32_e32 v56, 0xfdfeff00
	v_mov_b32_e32 v57, 0x3020100
	;; [unrolled: 1-line block ×5, first 2 shown]
	s_branch .LBB89_3
.LBB89_2:                               ;   in Loop: Header=BB89_3 Depth=1
	s_or_b64 exec, exec, s[16:17]
	v_ashrrev_i32_e32 v35, 4, v45
	v_and_b32_e32 v40, 0x7070707, v35
	v_lshrrev_b32_e32 v35, 1, v35
	v_and_b32_e32 v35, 0x4040404, v35
	v_perm_b32 v41, s24, v56, v40
	v_perm_b32 v40, s25, v57, v40
	v_or_b32_e32 v35, 0x3020100, v35
	v_lshrrev_b32_e32 v42, 1, v45
	v_perm_b32 v35, v41, v40, v35
	v_and_b32_e32 v40, 0x7070707, v45
	v_and_b32_e32 v42, 0x4040404, v42
	v_perm_b32 v41, s24, v56, v40
	v_perm_b32 v40, s25, v57, v40
	v_or_b32_e32 v42, 0x3020100, v42
	v_perm_b32 v40, v41, v40, v42
	v_ashrrev_i32_e32 v41, 4, v44
	v_and_b32_e32 v42, 0x7070707, v41
	v_lshrrev_b32_e32 v41, 1, v41
	v_and_b32_e32 v41, 0x4040404, v41
	v_perm_b32 v43, s24, v56, v42
	v_perm_b32 v42, s25, v57, v42
	v_or_b32_e32 v41, 0x3020100, v41
	v_perm_b32 v41, v43, v42, v41
	v_and_b32_e32 v42, 0x7070707, v44
	v_lshrrev_b32_e32 v44, 1, v44
	v_and_b32_e32 v44, 0x4040404, v44
	v_perm_b32 v43, s24, v56, v42
	v_perm_b32 v42, s25, v57, v42
	v_or_b32_e32 v44, 0x3020100, v44
	v_perm_b32 v42, v43, v42, v44
	v_dot4_i32_i8 v42, v42, v11, 0
	v_dot4_i32_i8 v41, v41, v13, v42
	;; [unrolled: 1-line block ×3, first 2 shown]
	v_ashrrev_i32_e32 v41, 4, v37
	v_and_b32_e32 v42, 0x7070707, v41
	v_lshrrev_b32_e32 v41, 1, v41
	v_and_b32_e32 v41, 0x4040404, v41
	v_perm_b32 v43, s24, v56, v42
	v_perm_b32 v42, s25, v57, v42
	v_or_b32_e32 v41, 0x3020100, v41
	v_perm_b32 v41, v43, v42, v41
	v_and_b32_e32 v42, 0x7070707, v37
	v_lshrrev_b32_e32 v37, 1, v37
	v_and_b32_e32 v37, 0x4040404, v37
	v_perm_b32 v43, s24, v56, v42
	v_perm_b32 v42, s25, v57, v42
	v_or_b32_e32 v37, 0x3020100, v37
	v_perm_b32 v37, v43, v42, v37
	v_ashrrev_i32_e32 v42, 4, v36
	v_and_b32_e32 v43, 0x7070707, v42
	v_lshrrev_b32_e32 v42, 1, v42
	v_and_b32_e32 v42, 0x4040404, v42
	v_perm_b32 v44, s24, v56, v43
	v_perm_b32 v43, s25, v57, v43
	v_or_b32_e32 v42, 0x3020100, v42
	v_perm_b32 v42, v44, v43, v42
	v_and_b32_e32 v43, 0x7070707, v36
	v_lshrrev_b32_e32 v36, 1, v36
	v_and_b32_e32 v36, 0x4040404, v36
	v_perm_b32 v44, s24, v56, v43
	v_perm_b32 v43, s25, v57, v43
	v_or_b32_e32 v36, 0x3020100, v36
	v_perm_b32 v36, v44, v43, v36
	v_dot4_i32_i8 v36, v36, v15, 0
	v_dot4_i32_i8 v36, v42, v17, v36
	;; [unrolled: 1-line block ×3, first 2 shown]
	v_cvt_f32_f16_e32 v14, v14
	v_dot4_i32_i8 v36, v41, v10, v36
	v_cvt_f32_i32_e32 v36, v36
	v_dot4_i32_i8 v35, v35, v61, v40
	v_cvt_f32_i32_e32 v35, v35
	v_mul_f32_e32 v37, v64, v14
	v_fma_f32 v36, v37, v36, 0
	v_mul_f32_e32 v37, v39, v14
	v_fmac_f32_e32 v36, v37, v35
	v_ashrrev_i32_e32 v35, 4, v31
	v_add_f32_e32 v48, v48, v36
	v_and_b32_e32 v36, 0x7070707, v35
	v_lshrrev_b32_e32 v35, 1, v35
	v_and_b32_e32 v35, 0x4040404, v35
	v_perm_b32 v37, s24, v56, v36
	v_perm_b32 v36, s25, v57, v36
	v_or_b32_e32 v35, 0x3020100, v35
	v_perm_b32 v35, v37, v36, v35
	v_and_b32_e32 v36, 0x7070707, v31
	v_lshrrev_b32_e32 v31, 1, v31
	v_and_b32_e32 v31, 0x4040404, v31
	v_perm_b32 v37, s24, v56, v36
	v_perm_b32 v36, s25, v57, v36
	v_or_b32_e32 v31, 0x3020100, v31
	v_perm_b32 v31, v37, v36, v31
	v_ashrrev_i32_e32 v36, 4, v30
	v_and_b32_e32 v37, 0x7070707, v36
	v_lshrrev_b32_e32 v36, 1, v36
	v_and_b32_e32 v36, 0x4040404, v36
	v_perm_b32 v39, s24, v56, v37
	v_perm_b32 v37, s25, v57, v37
	v_or_b32_e32 v36, 0x3020100, v36
	v_perm_b32 v36, v39, v37, v36
	v_and_b32_e32 v37, 0x7070707, v30
	v_lshrrev_b32_e32 v30, 1, v30
	v_and_b32_e32 v30, 0x4040404, v30
	v_perm_b32 v39, s24, v56, v37
	v_perm_b32 v37, s25, v57, v37
	v_or_b32_e32 v30, 0x3020100, v30
	v_perm_b32 v30, v39, v37, v30
	v_dot4_i32_i8 v30, v30, v3, 0
	v_dot4_i32_i8 v30, v36, v5, v30
	;; [unrolled: 1-line block ×3, first 2 shown]
	v_ashrrev_i32_e32 v31, 4, v27
	v_and_b32_e32 v36, 0x7070707, v31
	v_lshrrev_b32_e32 v31, 1, v31
	v_and_b32_e32 v31, 0x4040404, v31
	v_perm_b32 v37, s24, v56, v36
	v_perm_b32 v36, s25, v57, v36
	v_or_b32_e32 v31, 0x3020100, v31
	v_perm_b32 v31, v37, v36, v31
	v_and_b32_e32 v36, 0x7070707, v27
	v_lshrrev_b32_e32 v27, 1, v27
	v_and_b32_e32 v27, 0x4040404, v27
	v_perm_b32 v37, s24, v56, v36
	v_perm_b32 v36, s25, v57, v36
	v_or_b32_e32 v27, 0x3020100, v27
	v_perm_b32 v27, v37, v36, v27
	v_ashrrev_i32_e32 v36, 4, v26
	v_and_b32_e32 v37, 0x7070707, v36
	v_lshrrev_b32_e32 v36, 1, v36
	v_and_b32_e32 v36, 0x4040404, v36
	v_perm_b32 v39, s24, v56, v37
	v_perm_b32 v37, s25, v57, v37
	v_or_b32_e32 v36, 0x3020100, v36
	v_perm_b32 v36, v39, v37, v36
	v_and_b32_e32 v37, 0x7070707, v26
	v_lshrrev_b32_e32 v26, 1, v26
	v_and_b32_e32 v26, 0x4040404, v26
	v_perm_b32 v39, s24, v56, v37
	v_perm_b32 v37, s25, v57, v37
	v_or_b32_e32 v26, 0x3020100, v26
	v_perm_b32 v26, v39, v37, v26
	v_dot4_i32_i8 v26, v26, v7, 0
	v_dot4_i32_i8 v26, v36, v9, v26
	;; [unrolled: 1-line block ×3, first 2 shown]
	v_cvt_f32_f16_e32 v6, v6
	v_dot4_i32_i8 v26, v31, v2, v26
	v_cvt_f32_i32_e32 v26, v26
	v_dot4_i32_i8 v27, v35, v58, v30
	v_cvt_f32_i32_e32 v27, v27
	v_mul_f32_e32 v30, v62, v6
	v_fma_f32 v26, v30, v26, 0
	v_mul_f32_e32 v30, v63, v6
	v_fmac_f32_e32 v26, v30, v27
	v_add_f32_e32 v49, v49, v26
	v_ashrrev_i32_e32 v26, 4, v25
	v_and_b32_e32 v27, 0x7070707, v26
	v_lshrrev_b32_e32 v26, 1, v26
	v_and_b32_e32 v26, 0x4040404, v26
	v_perm_b32 v30, s24, v56, v27
	v_perm_b32 v27, s25, v57, v27
	v_or_b32_e32 v26, 0x3020100, v26
	v_perm_b32 v26, v30, v27, v26
	v_and_b32_e32 v27, 0x7070707, v25
	v_lshrrev_b32_e32 v25, 1, v25
	v_and_b32_e32 v25, 0x4040404, v25
	v_perm_b32 v30, s24, v56, v27
	v_perm_b32 v27, s25, v57, v27
	v_or_b32_e32 v25, 0x3020100, v25
	v_perm_b32 v25, v30, v27, v25
	v_ashrrev_i32_e32 v27, 4, v24
	v_and_b32_e32 v30, 0x7070707, v27
	v_lshrrev_b32_e32 v27, 1, v27
	v_and_b32_e32 v27, 0x4040404, v27
	v_perm_b32 v31, s24, v56, v30
	v_perm_b32 v30, s25, v57, v30
	v_or_b32_e32 v27, 0x3020100, v27
	v_perm_b32 v27, v31, v30, v27
	v_and_b32_e32 v30, 0x7070707, v24
	v_lshrrev_b32_e32 v24, 1, v24
	v_and_b32_e32 v24, 0x4040404, v24
	v_perm_b32 v31, s24, v56, v30
	v_perm_b32 v30, s25, v57, v30
	v_or_b32_e32 v24, 0x3020100, v24
	v_perm_b32 v24, v31, v30, v24
	v_dot4_i32_i8 v3, v24, v3, 0
	v_dot4_i32_i8 v3, v27, v5, v3
	;; [unrolled: 1-line block ×3, first 2 shown]
	v_ashrrev_i32_e32 v4, 4, v23
	v_and_b32_e32 v5, 0x7070707, v4
	v_lshrrev_b32_e32 v4, 1, v4
	v_and_b32_e32 v4, 0x4040404, v4
	v_perm_b32 v24, s24, v56, v5
	v_perm_b32 v5, s25, v57, v5
	v_or_b32_e32 v4, 0x3020100, v4
	v_perm_b32 v4, v24, v5, v4
	v_and_b32_e32 v5, 0x7070707, v23
	v_lshrrev_b32_e32 v23, 1, v23
	v_and_b32_e32 v23, 0x4040404, v23
	v_perm_b32 v24, s24, v56, v5
	v_perm_b32 v5, s25, v57, v5
	v_or_b32_e32 v23, 0x3020100, v23
	v_perm_b32 v5, v24, v5, v23
	v_ashrrev_i32_e32 v23, 4, v22
	v_and_b32_e32 v24, 0x7070707, v23
	v_lshrrev_b32_e32 v23, 1, v23
	v_and_b32_e32 v23, 0x4040404, v23
	v_perm_b32 v25, s24, v56, v24
	v_perm_b32 v24, s25, v57, v24
	v_or_b32_e32 v23, 0x3020100, v23
	v_perm_b32 v23, v25, v24, v23
	v_and_b32_e32 v24, 0x7070707, v22
	v_lshrrev_b32_e32 v22, 1, v22
	v_and_b32_e32 v22, 0x4040404, v22
	v_perm_b32 v25, s24, v56, v24
	v_perm_b32 v24, s25, v57, v24
	v_or_b32_e32 v22, 0x3020100, v22
	v_perm_b32 v22, v25, v24, v22
	v_dot4_i32_i8 v7, v22, v7, 0
	v_dot4_i32_i8 v7, v23, v9, v7
	;; [unrolled: 1-line block ×4, first 2 shown]
	v_cvt_f32_i32_e32 v2, v2
	v_dot4_i32_i8 v3, v26, v58, v3
	v_cvt_f32_i32_e32 v3, v3
	v_mul_f32_e32 v4, v59, v6
	v_fma_f32 v2, v4, v2, 0
	v_mul_f32_e32 v4, v60, v6
	v_fmac_f32_e32 v2, v4, v3
	v_add_f32_e32 v50, v50, v2
	s_waitcnt vmcnt(0)
	v_ashrrev_i32_e32 v2, 4, v33
	v_and_b32_e32 v3, 0x7070707, v2
	v_lshrrev_b32_e32 v2, 1, v2
	v_and_b32_e32 v2, 0x4040404, v2
	v_perm_b32 v4, s24, v56, v3
	v_perm_b32 v3, s25, v57, v3
	v_or_b32_e32 v2, 0x3020100, v2
	v_lshrrev_b32_e32 v5, 1, v33
	v_perm_b32 v2, v4, v3, v2
	v_and_b32_e32 v3, 0x7070707, v33
	v_and_b32_e32 v5, 0x4040404, v5
	v_perm_b32 v4, s24, v56, v3
	v_perm_b32 v3, s25, v57, v3
	v_or_b32_e32 v5, 0x3020100, v5
	v_perm_b32 v3, v4, v3, v5
	v_ashrrev_i32_e32 v4, 4, v32
	v_and_b32_e32 v5, 0x7070707, v4
	v_lshrrev_b32_e32 v4, 1, v4
	v_and_b32_e32 v4, 0x4040404, v4
	v_perm_b32 v6, s24, v56, v5
	v_perm_b32 v5, s25, v57, v5
	v_or_b32_e32 v4, 0x3020100, v4
	v_lshrrev_b32_e32 v7, 1, v32
	v_perm_b32 v4, v6, v5, v4
	v_and_b32_e32 v5, 0x7070707, v32
	v_and_b32_e32 v7, 0x4040404, v7
	v_perm_b32 v6, s24, v56, v5
	v_perm_b32 v5, s25, v57, v5
	v_or_b32_e32 v7, 0x3020100, v7
	v_perm_b32 v5, v6, v5, v7
	v_dot4_i32_i8 v5, v5, v11, 0
	v_dot4_i32_i8 v4, v4, v13, v5
	;; [unrolled: 1-line block ×3, first 2 shown]
	v_ashrrev_i32_e32 v4, 4, v29
	v_and_b32_e32 v5, 0x7070707, v4
	v_lshrrev_b32_e32 v4, 1, v4
	v_and_b32_e32 v4, 0x4040404, v4
	v_perm_b32 v6, s24, v56, v5
	v_perm_b32 v5, s25, v57, v5
	v_or_b32_e32 v4, 0x3020100, v4
	v_lshrrev_b32_e32 v7, 1, v29
	v_perm_b32 v4, v6, v5, v4
	v_and_b32_e32 v5, 0x7070707, v29
	v_and_b32_e32 v7, 0x4040404, v7
	v_perm_b32 v6, s24, v56, v5
	v_perm_b32 v5, s25, v57, v5
	v_or_b32_e32 v7, 0x3020100, v7
	v_perm_b32 v5, v6, v5, v7
	v_ashrrev_i32_e32 v6, 4, v28
	v_and_b32_e32 v7, 0x7070707, v6
	v_lshrrev_b32_e32 v6, 1, v6
	v_and_b32_e32 v6, 0x4040404, v6
	v_perm_b32 v8, s24, v56, v7
	v_perm_b32 v7, s25, v57, v7
	v_or_b32_e32 v6, 0x3020100, v6
	v_lshrrev_b32_e32 v9, 1, v28
	v_perm_b32 v6, v8, v7, v6
	v_and_b32_e32 v7, 0x7070707, v28
	v_and_b32_e32 v9, 0x4040404, v9
	v_perm_b32 v8, s24, v56, v7
	v_perm_b32 v7, s25, v57, v7
	v_or_b32_e32 v9, 0x3020100, v9
	v_perm_b32 v7, v8, v7, v9
	v_dot4_i32_i8 v7, v7, v15, 0
	v_dot4_i32_i8 v6, v6, v17, v7
	v_dot4_i32_i8 v5, v5, v16, v6
	v_dot4_i32_i8 v4, v4, v10, v5
	v_cvt_f32_i32_e32 v4, v4
	v_dot4_i32_i8 v2, v2, v61, v3
	v_cvt_f32_i32_e32 v2, v2
	v_mul_f32_e32 v3, v38, v14
	v_fma_f32 v3, v3, v4, 0
	v_mul_f32_e32 v4, v34, v14
	v_add_u32_e32 v51, 64, v51
	v_fmac_f32_e32 v3, v4, v2
	v_add_co_u32_e32 v20, vcc, 0x1200, v20
	v_cmp_le_u32_e64 s[0:1], s9, v51
	v_add_f32_e32 v47, v47, v3
	v_add_u32_e32 v54, 0x80, v54
	s_or_b64 s[12:13], s[0:1], s[12:13]
	v_addc_co_u32_e32 v21, vcc, 0, v21, vcc
	s_andn2_b64 exec, exec, s[12:13]
	s_cbranch_execz .LBB89_51
.LBB89_3:                               ; =>This Inner Loop Header: Depth=1
	v_add_u32_e32 v2, s3, v51
	v_mad_i64_i32 v[10:11], s[0:1], v2, 36, s[20:21]
	global_load_dword v58, v[20:21], off offset:32
	s_mov_b64 s[0:1], 0
	v_add_co_u32_e32 v28, vcc, v10, v55
	v_addc_co_u32_e32 v29, vcc, 0, v11, vcc
	v_add_co_u32_e32 v32, vcc, v10, v52
	v_addc_co_u32_e32 v33, vcc, 0, v11, vcc
	global_load_dwordx2 v[22:23], v[28:29], off offset:4
	global_load_ubyte v12, v[32:33], off
	global_load_dwordx4 v[2:5], v[20:21], off offset:16
	global_load_dwordx4 v[6:9], v[20:21], off
	s_waitcnt vmcnt(2)
	v_cmp_lt_i16_e32 vcc, s19, v12
	s_and_saveexec_b64 s[16:17], vcc
	s_xor_b64 s[16:17], exec, s[16:17]
	s_cbranch_execnz .LBB89_34
; %bb.4:                                ;   in Loop: Header=BB89_3 Depth=1
	s_andn2_saveexec_b64 s[16:17], s[16:17]
	s_cbranch_execnz .LBB89_35
.LBB89_5:                               ;   in Loop: Header=BB89_3 Depth=1
	s_or_b64 exec, exec, s[16:17]
	v_mov_b32_e32 v59, 0
	s_and_saveexec_b64 s[16:17], s[0:1]
	s_cbranch_execz .LBB89_7
.LBB89_6:                               ;   in Loop: Header=BB89_3 Depth=1
	v_and_b32_e32 v12, 0xffff, v12
	v_bfe_u32 v13, v12, 3, 4
	v_and_b32_e32 v12, 7, v12
	v_cvt_f32_ubyte0_e32 v12, v12
	v_fma_f32 v14, v12, s23, 1.0
	v_add_u32_e32 v15, -7, v13
	v_cmp_eq_u32_e32 vcc, 0, v13
	v_cndmask_b32_e32 v12, v14, v12, vcc
	v_cndmask_b32_e64 v13, v15, -9, vcc
	v_ldexp_f32 v12, v12, v13
	v_mul_f32_e32 v59, 0.5, v12
.LBB89_7:                               ;   in Loop: Header=BB89_3 Depth=1
	s_or_b64 exec, exec, s[16:17]
	v_add_co_u32_e32 v38, vcc, v10, v53
	v_addc_co_u32_e32 v39, vcc, 0, v11, vcc
	global_load_ubyte v10, v[38:39], off
	global_load_dwordx2 v[24:25], v[28:29], off offset:12
	s_mov_b64 s[0:1], 0
	s_waitcnt vmcnt(1)
	v_cmp_lt_i16_e32 vcc, s19, v10
	s_and_saveexec_b64 s[16:17], vcc
	s_xor_b64 s[16:17], exec, s[16:17]
	s_cbranch_execnz .LBB89_36
; %bb.8:                                ;   in Loop: Header=BB89_3 Depth=1
	s_andn2_saveexec_b64 s[16:17], s[16:17]
	s_cbranch_execnz .LBB89_37
.LBB89_9:                               ;   in Loop: Header=BB89_3 Depth=1
	s_or_b64 exec, exec, s[16:17]
	v_mov_b32_e32 v60, 0
	s_and_saveexec_b64 s[16:17], s[0:1]
	s_cbranch_execz .LBB89_11
.LBB89_10:                              ;   in Loop: Header=BB89_3 Depth=1
	v_and_b32_e32 v10, 0xffff, v10
	v_bfe_u32 v11, v10, 3, 4
	v_and_b32_e32 v10, 7, v10
	v_cvt_f32_ubyte0_e32 v10, v10
	v_fma_f32 v12, v10, s23, 1.0
	v_add_u32_e32 v13, -7, v11
	v_cmp_eq_u32_e32 vcc, 0, v11
	v_cndmask_b32_e32 v10, v12, v10, vcc
	v_cndmask_b32_e64 v11, v13, -9, vcc
	v_ldexp_f32 v10, v10, v11
	v_mul_f32_e32 v60, 0.5, v10
.LBB89_11:                              ;   in Loop: Header=BB89_3 Depth=1
	s_or_b64 exec, exec, s[16:17]
	v_add_u32_e32 v10, s15, v51
	v_mad_i64_i32 v[10:11], s[0:1], v10, 36, s[20:21]
	s_mov_b64 s[0:1], 0
	v_add_co_u32_e32 v40, vcc, v10, v52
	v_addc_co_u32_e32 v41, vcc, 0, v11, vcc
	v_add_co_u32_e32 v34, vcc, v10, v55
	global_load_ubyte v12, v[40:41], off
	v_addc_co_u32_e32 v35, vcc, 0, v11, vcc
	global_load_dwordx2 v[26:27], v[34:35], off offset:4
	s_waitcnt vmcnt(1)
	v_cmp_lt_i16_e32 vcc, s19, v12
	s_and_saveexec_b64 s[16:17], vcc
	s_xor_b64 s[16:17], exec, s[16:17]
	s_cbranch_execnz .LBB89_38
; %bb.12:                               ;   in Loop: Header=BB89_3 Depth=1
	s_andn2_saveexec_b64 s[16:17], s[16:17]
	s_cbranch_execnz .LBB89_39
.LBB89_13:                              ;   in Loop: Header=BB89_3 Depth=1
	s_or_b64 exec, exec, s[16:17]
	v_mov_b32_e32 v62, 0
	s_and_saveexec_b64 s[16:17], s[0:1]
	s_cbranch_execz .LBB89_15
.LBB89_14:                              ;   in Loop: Header=BB89_3 Depth=1
	v_and_b32_e32 v12, 0xffff, v12
	v_bfe_u32 v13, v12, 3, 4
	v_and_b32_e32 v12, 7, v12
	v_cvt_f32_ubyte0_e32 v12, v12
	v_fma_f32 v14, v12, s23, 1.0
	v_add_u32_e32 v15, -7, v13
	v_cmp_eq_u32_e32 vcc, 0, v13
	v_cndmask_b32_e32 v12, v14, v12, vcc
	v_cndmask_b32_e64 v13, v15, -9, vcc
	v_ldexp_f32 v12, v12, v13
	v_mul_f32_e32 v62, 0.5, v12
.LBB89_15:                              ;   in Loop: Header=BB89_3 Depth=1
	s_or_b64 exec, exec, s[16:17]
	v_add_co_u32_e32 v42, vcc, v10, v53
	v_addc_co_u32_e32 v43, vcc, 0, v11, vcc
	global_load_ubyte v10, v[42:43], off
	global_load_dwordx2 v[30:31], v[34:35], off offset:12
	s_mov_b64 s[0:1], 0
	s_waitcnt vmcnt(1)
	v_cmp_lt_i16_e32 vcc, s19, v10
	s_and_saveexec_b64 s[16:17], vcc
	s_xor_b64 s[16:17], exec, s[16:17]
	s_cbranch_execnz .LBB89_40
; %bb.16:                               ;   in Loop: Header=BB89_3 Depth=1
	s_andn2_saveexec_b64 s[16:17], s[16:17]
	s_cbranch_execnz .LBB89_41
.LBB89_17:                              ;   in Loop: Header=BB89_3 Depth=1
	s_or_b64 exec, exec, s[16:17]
	v_mov_b32_e32 v63, 0
	s_and_saveexec_b64 s[16:17], s[0:1]
	s_cbranch_execz .LBB89_19
.LBB89_18:                              ;   in Loop: Header=BB89_3 Depth=1
	v_and_b32_e32 v10, 0xffff, v10
	v_bfe_u32 v11, v10, 3, 4
	v_and_b32_e32 v10, 7, v10
	v_cvt_f32_ubyte0_e32 v10, v10
	v_fma_f32 v12, v10, s23, 1.0
	v_add_u32_e32 v13, -7, v11
	v_cmp_eq_u32_e32 vcc, 0, v11
	v_cndmask_b32_e32 v10, v12, v10, vcc
	v_cndmask_b32_e64 v11, v13, -9, vcc
	v_ldexp_f32 v10, v10, v11
	v_mul_f32_e32 v63, 0.5, v10
.LBB89_19:                              ;   in Loop: Header=BB89_3 Depth=1
	s_or_b64 exec, exec, s[16:17]
	v_mad_u64_u32 v[64:65], s[0:1], v54, 36, v[18:19]
	global_load_dwordx2 v[36:37], v[28:29], off offset:4
	global_load_ubyte v44, v[32:33], off
	global_load_dword v61, v[64:65], off offset:32
	global_load_dwordx4 v[10:13], v[64:65], off offset:16
	global_load_dwordx4 v[14:17], v[64:65], off
	s_mov_b64 s[0:1], 0
	s_waitcnt vmcnt(3)
	v_cmp_lt_i16_e32 vcc, s19, v44
	s_and_saveexec_b64 s[16:17], vcc
	s_xor_b64 s[16:17], exec, s[16:17]
	s_cbranch_execnz .LBB89_42
; %bb.20:                               ;   in Loop: Header=BB89_3 Depth=1
	s_andn2_saveexec_b64 s[16:17], s[16:17]
	s_cbranch_execnz .LBB89_43
.LBB89_21:                              ;   in Loop: Header=BB89_3 Depth=1
	s_or_b64 exec, exec, s[16:17]
	v_mov_b32_e32 v64, 0
	s_and_saveexec_b64 s[16:17], s[0:1]
	s_cbranch_execz .LBB89_23
.LBB89_22:                              ;   in Loop: Header=BB89_3 Depth=1
	v_and_b32_e32 v32, 0xffff, v44
	v_bfe_u32 v33, v32, 3, 4
	v_and_b32_e32 v32, 7, v32
	v_cvt_f32_ubyte0_e32 v32, v32
	v_fma_f32 v44, v32, s23, 1.0
	v_add_u32_e32 v45, -7, v33
	v_cmp_eq_u32_e32 vcc, 0, v33
	v_cndmask_b32_e32 v32, v44, v32, vcc
	v_cndmask_b32_e64 v33, v45, -9, vcc
	v_ldexp_f32 v32, v32, v33
	v_mul_f32_e32 v64, 0.5, v32
.LBB89_23:                              ;   in Loop: Header=BB89_3 Depth=1
	s_or_b64 exec, exec, s[16:17]
	global_load_ubyte v32, v[38:39], off
	global_load_dwordx2 v[44:45], v[28:29], off offset:12
	s_mov_b64 s[0:1], 0
	s_waitcnt vmcnt(1)
	v_cmp_lt_i16_e32 vcc, s19, v32
	s_and_saveexec_b64 s[16:17], vcc
	s_xor_b64 s[16:17], exec, s[16:17]
	s_cbranch_execnz .LBB89_44
; %bb.24:                               ;   in Loop: Header=BB89_3 Depth=1
	s_andn2_saveexec_b64 s[16:17], s[16:17]
	s_cbranch_execnz .LBB89_45
.LBB89_25:                              ;   in Loop: Header=BB89_3 Depth=1
	s_or_b64 exec, exec, s[16:17]
	v_mov_b32_e32 v39, 0
	s_and_saveexec_b64 s[16:17], s[0:1]
	s_cbranch_execz .LBB89_27
.LBB89_26:                              ;   in Loop: Header=BB89_3 Depth=1
	v_and_b32_e32 v28, 0xffff, v32
	v_bfe_u32 v29, v28, 3, 4
	v_and_b32_e32 v28, 7, v28
	v_cvt_f32_ubyte0_e32 v28, v28
	v_fma_f32 v32, v28, s23, 1.0
	v_add_u32_e32 v33, -7, v29
	v_cmp_eq_u32_e32 vcc, 0, v29
	v_cndmask_b32_e32 v28, v32, v28, vcc
	v_cndmask_b32_e64 v29, v33, -9, vcc
	v_ldexp_f32 v28, v28, v29
	v_mul_f32_e32 v39, 0.5, v28
.LBB89_27:                              ;   in Loop: Header=BB89_3 Depth=1
	s_or_b64 exec, exec, s[16:17]
	global_load_ubyte v32, v[40:41], off
	global_load_dwordx2 v[28:29], v[34:35], off offset:4
	s_mov_b64 s[0:1], 0
	s_waitcnt vmcnt(1)
	v_cmp_lt_i16_e32 vcc, s19, v32
	s_and_saveexec_b64 s[16:17], vcc
	s_xor_b64 s[16:17], exec, s[16:17]
	s_cbranch_execnz .LBB89_46
; %bb.28:                               ;   in Loop: Header=BB89_3 Depth=1
	s_andn2_saveexec_b64 s[16:17], s[16:17]
	s_cbranch_execnz .LBB89_47
.LBB89_29:                              ;   in Loop: Header=BB89_3 Depth=1
	s_or_b64 exec, exec, s[16:17]
	v_mov_b32_e32 v38, 0
	s_and_saveexec_b64 s[16:17], s[0:1]
	s_cbranch_execz .LBB89_31
.LBB89_30:                              ;   in Loop: Header=BB89_3 Depth=1
	v_and_b32_e32 v32, 0xffff, v32
	v_bfe_u32 v33, v32, 3, 4
	v_and_b32_e32 v32, 7, v32
	v_cvt_f32_ubyte0_e32 v32, v32
	v_fma_f32 v38, v32, s23, 1.0
	v_add_u32_e32 v40, -7, v33
	v_cmp_eq_u32_e32 vcc, 0, v33
	v_cndmask_b32_e32 v32, v38, v32, vcc
	v_cndmask_b32_e64 v33, v40, -9, vcc
	v_ldexp_f32 v32, v32, v33
	v_mul_f32_e32 v38, 0.5, v32
.LBB89_31:                              ;   in Loop: Header=BB89_3 Depth=1
	s_or_b64 exec, exec, s[16:17]
	global_load_ubyte v40, v[42:43], off
	global_load_dwordx2 v[32:33], v[34:35], off offset:12
	s_mov_b64 s[0:1], 0
	s_waitcnt vmcnt(1)
	v_cmp_lt_i16_e32 vcc, s19, v40
	s_and_saveexec_b64 s[16:17], vcc
	s_xor_b64 s[16:17], exec, s[16:17]
	s_cbranch_execnz .LBB89_48
; %bb.32:                               ;   in Loop: Header=BB89_3 Depth=1
	s_andn2_saveexec_b64 s[16:17], s[16:17]
	s_cbranch_execnz .LBB89_49
.LBB89_33:                              ;   in Loop: Header=BB89_3 Depth=1
	s_or_b64 exec, exec, s[16:17]
	v_mov_b32_e32 v34, 0
	s_and_saveexec_b64 s[16:17], s[0:1]
	s_cbranch_execz .LBB89_2
	s_branch .LBB89_50
.LBB89_34:                              ;   in Loop: Header=BB89_3 Depth=1
	v_cmp_ne_u16_e32 vcc, s22, v12
	s_and_b64 s[0:1], vcc, exec
	s_andn2_saveexec_b64 s[16:17], s[16:17]
	s_cbranch_execz .LBB89_5
.LBB89_35:                              ;   in Loop: Header=BB89_3 Depth=1
	v_cmp_ne_u16_e32 vcc, 0, v12
	s_andn2_b64 s[0:1], s[0:1], exec
	s_and_b64 s[26:27], vcc, exec
	s_or_b64 s[0:1], s[0:1], s[26:27]
	s_or_b64 exec, exec, s[16:17]
	v_mov_b32_e32 v59, 0
	s_and_saveexec_b64 s[16:17], s[0:1]
	s_cbranch_execnz .LBB89_6
	s_branch .LBB89_7
.LBB89_36:                              ;   in Loop: Header=BB89_3 Depth=1
	v_cmp_ne_u16_e32 vcc, s22, v10
	s_and_b64 s[0:1], vcc, exec
	s_andn2_saveexec_b64 s[16:17], s[16:17]
	s_cbranch_execz .LBB89_9
.LBB89_37:                              ;   in Loop: Header=BB89_3 Depth=1
	v_cmp_ne_u16_e32 vcc, 0, v10
	s_andn2_b64 s[0:1], s[0:1], exec
	s_and_b64 s[26:27], vcc, exec
	s_or_b64 s[0:1], s[0:1], s[26:27]
	s_or_b64 exec, exec, s[16:17]
	v_mov_b32_e32 v60, 0
	s_and_saveexec_b64 s[16:17], s[0:1]
	s_cbranch_execnz .LBB89_10
	s_branch .LBB89_11
.LBB89_38:                              ;   in Loop: Header=BB89_3 Depth=1
	v_cmp_ne_u16_e32 vcc, s22, v12
	s_and_b64 s[0:1], vcc, exec
	s_andn2_saveexec_b64 s[16:17], s[16:17]
	s_cbranch_execz .LBB89_13
.LBB89_39:                              ;   in Loop: Header=BB89_3 Depth=1
	v_cmp_ne_u16_e32 vcc, 0, v12
	s_andn2_b64 s[0:1], s[0:1], exec
	s_and_b64 s[26:27], vcc, exec
	s_or_b64 s[0:1], s[0:1], s[26:27]
	s_or_b64 exec, exec, s[16:17]
	v_mov_b32_e32 v62, 0
	s_and_saveexec_b64 s[16:17], s[0:1]
	s_cbranch_execnz .LBB89_14
	s_branch .LBB89_15
.LBB89_40:                              ;   in Loop: Header=BB89_3 Depth=1
	v_cmp_ne_u16_e32 vcc, s22, v10
	s_and_b64 s[0:1], vcc, exec
	s_andn2_saveexec_b64 s[16:17], s[16:17]
	s_cbranch_execz .LBB89_17
.LBB89_41:                              ;   in Loop: Header=BB89_3 Depth=1
	v_cmp_ne_u16_e32 vcc, 0, v10
	s_andn2_b64 s[0:1], s[0:1], exec
	s_and_b64 s[26:27], vcc, exec
	s_or_b64 s[0:1], s[0:1], s[26:27]
	s_or_b64 exec, exec, s[16:17]
	v_mov_b32_e32 v63, 0
	s_and_saveexec_b64 s[16:17], s[0:1]
	s_cbranch_execnz .LBB89_18
	s_branch .LBB89_19
.LBB89_42:                              ;   in Loop: Header=BB89_3 Depth=1
	v_cmp_ne_u16_e32 vcc, s22, v44
	s_and_b64 s[0:1], vcc, exec
	s_andn2_saveexec_b64 s[16:17], s[16:17]
	s_cbranch_execz .LBB89_21
.LBB89_43:                              ;   in Loop: Header=BB89_3 Depth=1
	v_cmp_ne_u16_e32 vcc, 0, v44
	s_andn2_b64 s[0:1], s[0:1], exec
	s_and_b64 s[26:27], vcc, exec
	s_or_b64 s[0:1], s[0:1], s[26:27]
	s_or_b64 exec, exec, s[16:17]
	v_mov_b32_e32 v64, 0
	s_and_saveexec_b64 s[16:17], s[0:1]
	s_cbranch_execnz .LBB89_22
	s_branch .LBB89_23
.LBB89_44:                              ;   in Loop: Header=BB89_3 Depth=1
	v_cmp_ne_u16_e32 vcc, s22, v32
	s_and_b64 s[0:1], vcc, exec
	s_andn2_saveexec_b64 s[16:17], s[16:17]
	s_cbranch_execz .LBB89_25
.LBB89_45:                              ;   in Loop: Header=BB89_3 Depth=1
	v_cmp_ne_u16_e32 vcc, 0, v32
	s_andn2_b64 s[0:1], s[0:1], exec
	s_and_b64 s[26:27], vcc, exec
	s_or_b64 s[0:1], s[0:1], s[26:27]
	s_or_b64 exec, exec, s[16:17]
	v_mov_b32_e32 v39, 0
	s_and_saveexec_b64 s[16:17], s[0:1]
	s_cbranch_execnz .LBB89_26
	s_branch .LBB89_27
.LBB89_46:                              ;   in Loop: Header=BB89_3 Depth=1
	v_cmp_ne_u16_e32 vcc, s22, v32
	s_and_b64 s[0:1], vcc, exec
	s_andn2_saveexec_b64 s[16:17], s[16:17]
	s_cbranch_execz .LBB89_29
.LBB89_47:                              ;   in Loop: Header=BB89_3 Depth=1
	v_cmp_ne_u16_e32 vcc, 0, v32
	s_andn2_b64 s[0:1], s[0:1], exec
	s_and_b64 s[26:27], vcc, exec
	s_or_b64 s[0:1], s[0:1], s[26:27]
	s_or_b64 exec, exec, s[16:17]
	v_mov_b32_e32 v38, 0
	s_and_saveexec_b64 s[16:17], s[0:1]
	s_cbranch_execnz .LBB89_30
	s_branch .LBB89_31
.LBB89_48:                              ;   in Loop: Header=BB89_3 Depth=1
	v_cmp_ne_u16_e32 vcc, s22, v40
	s_and_b64 s[0:1], vcc, exec
	s_andn2_saveexec_b64 s[16:17], s[16:17]
	s_cbranch_execz .LBB89_33
.LBB89_49:                              ;   in Loop: Header=BB89_3 Depth=1
	v_cmp_ne_u16_e32 vcc, 0, v40
	s_andn2_b64 s[0:1], s[0:1], exec
	s_and_b64 s[26:27], vcc, exec
	s_or_b64 s[0:1], s[0:1], s[26:27]
	s_or_b64 exec, exec, s[16:17]
	v_mov_b32_e32 v34, 0
	s_and_saveexec_b64 s[16:17], s[0:1]
	s_cbranch_execz .LBB89_2
.LBB89_50:                              ;   in Loop: Header=BB89_3 Depth=1
	v_and_b32_e32 v34, 0xffff, v40
	v_bfe_u32 v35, v34, 3, 4
	v_and_b32_e32 v34, 7, v34
	v_cvt_f32_ubyte0_e32 v34, v34
	v_fma_f32 v40, v34, s23, 1.0
	v_add_u32_e32 v41, -7, v35
	v_cmp_eq_u32_e32 vcc, 0, v35
	v_cndmask_b32_e32 v34, v40, v34, vcc
	v_cndmask_b32_e64 v35, v41, -9, vcc
	v_ldexp_f32 v34, v34, v35
	v_mul_f32_e32 v34, 0.5, v34
	s_branch .LBB89_2
.LBB89_51:
	s_or_b64 exec, exec, s[12:13]
.LBB89_52:
	s_or_b64 exec, exec, s[10:11]
	v_cmp_eq_u32_e32 vcc, 0, v1
	v_cmp_ne_u32_e64 s[0:1], 0, v1
	s_and_saveexec_b64 s[10:11], s[0:1]
	s_cbranch_execz .LBB89_54
; %bb.53:
	v_lshl_or_b32 v1, v1, 10, v46
	v_add_u32_e32 v1, 0xfffffc00, v1
	ds_write2st64_b32 v1, v50, v49 offset1:1
	ds_write2st64_b32 v1, v48, v47 offset0:2 offset1:3
.LBB89_54:
	s_or_b64 exec, exec, s[10:11]
	s_waitcnt lgkmcnt(0)
	s_barrier
	s_and_saveexec_b64 s[0:1], vcc
	s_cbranch_execz .LBB89_59
; %bb.55:
	v_mbcnt_lo_u32_b32 v1, -1, 0
	v_mbcnt_hi_u32_b32 v6, -1, v1
	ds_read2st64_b32 v[4:5], v46 offset1:1
	v_and_b32_e32 v1, 64, v6
	v_add_u32_e32 v7, 64, v1
	v_xor_b32_e32 v1, 32, v6
	v_cmp_lt_i32_e32 vcc, v1, v7
	v_cndmask_b32_e32 v1, v6, v1, vcc
	v_lshlrev_b32_e32 v1, 2, v1
	s_waitcnt lgkmcnt(0)
	v_add_f32_e32 v9, v4, v50
	v_add_f32_e32 v5, v5, v49
	ds_bpermute_b32 v10, v1, v9
	ds_bpermute_b32 v11, v1, v5
	v_xor_b32_e32 v2, 16, v6
	v_cmp_lt_i32_e32 vcc, v2, v7
	v_cndmask_b32_e32 v2, v6, v2, vcc
	v_lshlrev_b32_e32 v2, 2, v2
	s_waitcnt lgkmcnt(1)
	v_add_f32_e32 v9, v9, v10
	s_waitcnt lgkmcnt(0)
	v_add_f32_e32 v5, v5, v11
	ds_bpermute_b32 v10, v2, v9
	ds_bpermute_b32 v11, v2, v5
	v_xor_b32_e32 v3, 8, v6
	v_cmp_lt_i32_e32 vcc, v3, v7
	v_cndmask_b32_e32 v3, v6, v3, vcc
	v_lshlrev_b32_e32 v3, 2, v3
	s_waitcnt lgkmcnt(1)
	v_add_f32_e32 v9, v9, v10
	s_waitcnt lgkmcnt(0)
	;; [unrolled: 10-line block ×3, first 2 shown]
	v_add_f32_e32 v11, v11, v12
	ds_bpermute_b32 v10, v4, v9
	ds_bpermute_b32 v12, v4, v11
	v_xor_b32_e32 v8, 2, v6
	v_cmp_lt_i32_e32 vcc, v8, v7
	v_cndmask_b32_e32 v8, v6, v8, vcc
	v_lshlrev_b32_e32 v5, 2, v8
	v_xor_b32_e32 v8, 1, v6
	v_cmp_lt_i32_e32 vcc, v8, v7
	s_waitcnt lgkmcnt(1)
	v_add_f32_e32 v7, v9, v10
	s_waitcnt lgkmcnt(0)
	v_add_f32_e32 v10, v11, v12
	ds_bpermute_b32 v9, v5, v7
	ds_bpermute_b32 v11, v5, v10
	s_load_dwordx2 s[0:1], s[4:5], 0x38
	v_cndmask_b32_e32 v6, v6, v8, vcc
	s_mul_i32 s4, s14, s7
	v_lshlrev_b32_e32 v8, 2, v6
	s_waitcnt lgkmcnt(0)
	v_add_f32_e32 v6, v7, v9
	v_add_f32_e32 v9, v10, v11
	s_mul_i32 s3, s18, s8
	s_add_i32 s4, s4, s6
	ds_bpermute_b32 v7, v8, v6
	ds_bpermute_b32 v10, v8, v9
	s_add_i32 s4, s4, s3
	s_mov_b32 s5, 0
	s_lshl_b64 s[4:5], s[4:5], 2
	s_add_u32 s4, s0, s4
	v_add_u32_e32 v11, s6, v0
	s_addc_u32 s5, s1, s5
	v_cmp_gt_u32_e32 vcc, 2, v0
	v_cmp_gt_u32_e64 s[0:1], s2, v11
	s_and_b64 s[0:1], vcc, s[0:1]
	s_waitcnt lgkmcnt(1)
	v_add_f32_e32 v6, v6, v7
	s_waitcnt lgkmcnt(0)
	v_add_f32_e32 v7, v9, v10
	s_and_saveexec_b64 s[6:7], s[0:1]
	s_cbranch_execz .LBB89_57
; %bb.56:
	v_cmp_eq_u32_e32 vcc, 1, v0
	v_cndmask_b32_e32 v9, v6, v7, vcc
	v_cmp_eq_u32_e32 vcc, 2, v0
	v_cndmask_b32_e32 v9, v9, v48, vcc
	;; [unrolled: 2-line block ×3, first 2 shown]
	global_store_dword v46, v9, s[4:5]
.LBB89_57:
	s_or_b64 exec, exec, s[6:7]
	ds_read2st64_b32 v[9:10], v46 offset0:2 offset1:3
	s_waitcnt lgkmcnt(0)
	v_add_f32_e32 v9, v9, v48
	v_add_f32_e32 v10, v10, v47
	ds_bpermute_b32 v11, v1, v9
	ds_bpermute_b32 v1, v1, v10
	s_waitcnt lgkmcnt(1)
	v_add_f32_e32 v9, v9, v11
	s_waitcnt lgkmcnt(0)
	v_add_f32_e32 v1, v10, v1
	ds_bpermute_b32 v10, v2, v9
	ds_bpermute_b32 v2, v2, v1
	s_waitcnt lgkmcnt(1)
	v_add_f32_e32 v9, v9, v10
	s_waitcnt lgkmcnt(0)
	;; [unrolled: 6-line block ×5, first 2 shown]
	v_add_f32_e32 v2, v3, v4
	ds_bpermute_b32 v3, v8, v1
	ds_bpermute_b32 v4, v8, v2
	s_and_b64 exec, exec, s[0:1]
	s_cbranch_execz .LBB89_59
; %bb.58:
	s_waitcnt lgkmcnt(1)
	v_add_f32_e32 v1, v1, v3
	v_add_u32_e32 v3, 2, v0
	v_cmp_eq_u32_e32 vcc, 1, v3
	s_waitcnt lgkmcnt(0)
	v_add_f32_e32 v2, v2, v4
	v_cndmask_b32_e32 v4, v6, v7, vcc
	v_cmp_eq_u32_e32 vcc, 2, v3
	v_cndmask_b32_e32 v1, v4, v1, vcc
	v_cmp_eq_u32_e32 vcc, 3, v3
	v_cndmask_b32_e32 v2, v1, v2, vcc
	v_add_u32_e32 v0, s2, v0
	v_mov_b32_e32 v1, 0
	v_lshlrev_b64 v[0:1], 2, v[0:1]
	v_mov_b32_e32 v3, s5
	v_add_co_u32_e32 v0, vcc, s4, v0
	v_addc_co_u32_e32 v1, vcc, v3, v1, vcc
	global_store_dword v[0:1], v2, off
.LBB89_59:
	s_endpgm
	.section	.rodata,"a",@progbits
	.p2align	6, 0x0
	.amdhsa_kernel _ZL13mul_mat_vec_qIL9ggml_type40ELi2ELb0ELb0EEvPKvS2_PKi31ggml_cuda_mm_fusion_args_devicePfj15HIP_vector_typeIjLj3EEjjjS8_jjjS8_jjjj
		.amdhsa_group_segment_fixed_size 1024
		.amdhsa_private_segment_fixed_size 0
		.amdhsa_kernarg_size 144
		.amdhsa_user_sgpr_count 6
		.amdhsa_user_sgpr_private_segment_buffer 1
		.amdhsa_user_sgpr_dispatch_ptr 0
		.amdhsa_user_sgpr_queue_ptr 0
		.amdhsa_user_sgpr_kernarg_segment_ptr 1
		.amdhsa_user_sgpr_dispatch_id 0
		.amdhsa_user_sgpr_flat_scratch_init 0
		.amdhsa_user_sgpr_private_segment_size 0
		.amdhsa_uses_dynamic_stack 0
		.amdhsa_system_sgpr_private_segment_wavefront_offset 0
		.amdhsa_system_sgpr_workgroup_id_x 1
		.amdhsa_system_sgpr_workgroup_id_y 1
		.amdhsa_system_sgpr_workgroup_id_z 1
		.amdhsa_system_sgpr_workgroup_info 0
		.amdhsa_system_vgpr_workitem_id 1
		.amdhsa_next_free_vgpr 66
		.amdhsa_next_free_sgpr 30
		.amdhsa_reserve_vcc 1
		.amdhsa_reserve_flat_scratch 0
		.amdhsa_float_round_mode_32 0
		.amdhsa_float_round_mode_16_64 0
		.amdhsa_float_denorm_mode_32 3
		.amdhsa_float_denorm_mode_16_64 3
		.amdhsa_dx10_clamp 1
		.amdhsa_ieee_mode 1
		.amdhsa_fp16_overflow 0
		.amdhsa_exception_fp_ieee_invalid_op 0
		.amdhsa_exception_fp_denorm_src 0
		.amdhsa_exception_fp_ieee_div_zero 0
		.amdhsa_exception_fp_ieee_overflow 0
		.amdhsa_exception_fp_ieee_underflow 0
		.amdhsa_exception_fp_ieee_inexact 0
		.amdhsa_exception_int_div_zero 0
	.end_amdhsa_kernel
	.section	.text._ZL13mul_mat_vec_qIL9ggml_type40ELi2ELb0ELb0EEvPKvS2_PKi31ggml_cuda_mm_fusion_args_devicePfj15HIP_vector_typeIjLj3EEjjjS8_jjjS8_jjjj,"axG",@progbits,_ZL13mul_mat_vec_qIL9ggml_type40ELi2ELb0ELb0EEvPKvS2_PKi31ggml_cuda_mm_fusion_args_devicePfj15HIP_vector_typeIjLj3EEjjjS8_jjjS8_jjjj,comdat
.Lfunc_end89:
	.size	_ZL13mul_mat_vec_qIL9ggml_type40ELi2ELb0ELb0EEvPKvS2_PKi31ggml_cuda_mm_fusion_args_devicePfj15HIP_vector_typeIjLj3EEjjjS8_jjjS8_jjjj, .Lfunc_end89-_ZL13mul_mat_vec_qIL9ggml_type40ELi2ELb0ELb0EEvPKvS2_PKi31ggml_cuda_mm_fusion_args_devicePfj15HIP_vector_typeIjLj3EEjjjS8_jjjS8_jjjj
                                        ; -- End function
	.set _ZL13mul_mat_vec_qIL9ggml_type40ELi2ELb0ELb0EEvPKvS2_PKi31ggml_cuda_mm_fusion_args_devicePfj15HIP_vector_typeIjLj3EEjjjS8_jjjS8_jjjj.num_vgpr, 66
	.set _ZL13mul_mat_vec_qIL9ggml_type40ELi2ELb0ELb0EEvPKvS2_PKi31ggml_cuda_mm_fusion_args_devicePfj15HIP_vector_typeIjLj3EEjjjS8_jjjS8_jjjj.num_agpr, 0
	.set _ZL13mul_mat_vec_qIL9ggml_type40ELi2ELb0ELb0EEvPKvS2_PKi31ggml_cuda_mm_fusion_args_devicePfj15HIP_vector_typeIjLj3EEjjjS8_jjjS8_jjjj.numbered_sgpr, 30
	.set _ZL13mul_mat_vec_qIL9ggml_type40ELi2ELb0ELb0EEvPKvS2_PKi31ggml_cuda_mm_fusion_args_devicePfj15HIP_vector_typeIjLj3EEjjjS8_jjjS8_jjjj.num_named_barrier, 0
	.set _ZL13mul_mat_vec_qIL9ggml_type40ELi2ELb0ELb0EEvPKvS2_PKi31ggml_cuda_mm_fusion_args_devicePfj15HIP_vector_typeIjLj3EEjjjS8_jjjS8_jjjj.private_seg_size, 0
	.set _ZL13mul_mat_vec_qIL9ggml_type40ELi2ELb0ELb0EEvPKvS2_PKi31ggml_cuda_mm_fusion_args_devicePfj15HIP_vector_typeIjLj3EEjjjS8_jjjS8_jjjj.uses_vcc, 1
	.set _ZL13mul_mat_vec_qIL9ggml_type40ELi2ELb0ELb0EEvPKvS2_PKi31ggml_cuda_mm_fusion_args_devicePfj15HIP_vector_typeIjLj3EEjjjS8_jjjS8_jjjj.uses_flat_scratch, 0
	.set _ZL13mul_mat_vec_qIL9ggml_type40ELi2ELb0ELb0EEvPKvS2_PKi31ggml_cuda_mm_fusion_args_devicePfj15HIP_vector_typeIjLj3EEjjjS8_jjjS8_jjjj.has_dyn_sized_stack, 0
	.set _ZL13mul_mat_vec_qIL9ggml_type40ELi2ELb0ELb0EEvPKvS2_PKi31ggml_cuda_mm_fusion_args_devicePfj15HIP_vector_typeIjLj3EEjjjS8_jjjS8_jjjj.has_recursion, 0
	.set _ZL13mul_mat_vec_qIL9ggml_type40ELi2ELb0ELb0EEvPKvS2_PKi31ggml_cuda_mm_fusion_args_devicePfj15HIP_vector_typeIjLj3EEjjjS8_jjjS8_jjjj.has_indirect_call, 0
	.section	.AMDGPU.csdata,"",@progbits
; Kernel info:
; codeLenInByte = 4944
; TotalNumSgprs: 34
; NumVgprs: 66
; ScratchSize: 0
; MemoryBound: 0
; FloatMode: 240
; IeeeMode: 1
; LDSByteSize: 1024 bytes/workgroup (compile time only)
; SGPRBlocks: 4
; VGPRBlocks: 16
; NumSGPRsForWavesPerEU: 34
; NumVGPRsForWavesPerEU: 66
; Occupancy: 3
; WaveLimiterHint : 0
; COMPUTE_PGM_RSRC2:SCRATCH_EN: 0
; COMPUTE_PGM_RSRC2:USER_SGPR: 6
; COMPUTE_PGM_RSRC2:TRAP_HANDLER: 0
; COMPUTE_PGM_RSRC2:TGID_X_EN: 1
; COMPUTE_PGM_RSRC2:TGID_Y_EN: 1
; COMPUTE_PGM_RSRC2:TGID_Z_EN: 1
; COMPUTE_PGM_RSRC2:TIDIG_COMP_CNT: 1
	.section	.text._ZL13mul_mat_vec_qIL9ggml_type40ELi3ELb0ELb0EEvPKvS2_PKi31ggml_cuda_mm_fusion_args_devicePfj15HIP_vector_typeIjLj3EEjjjS8_jjjS8_jjjj,"axG",@progbits,_ZL13mul_mat_vec_qIL9ggml_type40ELi3ELb0ELb0EEvPKvS2_PKi31ggml_cuda_mm_fusion_args_devicePfj15HIP_vector_typeIjLj3EEjjjS8_jjjS8_jjjj,comdat
	.globl	_ZL13mul_mat_vec_qIL9ggml_type40ELi3ELb0ELb0EEvPKvS2_PKi31ggml_cuda_mm_fusion_args_devicePfj15HIP_vector_typeIjLj3EEjjjS8_jjjS8_jjjj ; -- Begin function _ZL13mul_mat_vec_qIL9ggml_type40ELi3ELb0ELb0EEvPKvS2_PKi31ggml_cuda_mm_fusion_args_devicePfj15HIP_vector_typeIjLj3EEjjjS8_jjjS8_jjjj
	.p2align	8
	.type	_ZL13mul_mat_vec_qIL9ggml_type40ELi3ELb0ELb0EEvPKvS2_PKi31ggml_cuda_mm_fusion_args_devicePfj15HIP_vector_typeIjLj3EEjjjS8_jjjS8_jjjj,@function
_ZL13mul_mat_vec_qIL9ggml_type40ELi3ELb0ELb0EEvPKvS2_PKi31ggml_cuda_mm_fusion_args_devicePfj15HIP_vector_typeIjLj3EEjjjS8_jjjS8_jjjj: ; @_ZL13mul_mat_vec_qIL9ggml_type40ELi3ELb0ELb0EEvPKvS2_PKi31ggml_cuda_mm_fusion_args_devicePfj15HIP_vector_typeIjLj3EEjjjS8_jjjS8_jjjj
; %bb.0:
	v_lshlrev_b32_e32 v2, 6, v1
	s_load_dword s9, s[4:5], 0x40
	s_load_dwordx4 s[0:3], s[4:5], 0x50
	s_load_dword s25, s[4:5], 0x60
	s_load_dwordx4 s[12:15], s[4:5], 0x68
	s_load_dword s24, s[4:5], 0x78
	s_load_dwordx4 s[16:19], s[4:5], 0x80
	v_add_u16_e32 v2, v2, v0
	s_waitcnt lgkmcnt(0)
	s_lshr_b32 s9, s9, 6
	v_lshrrev_b16_e32 v69, 1, v2
	v_mov_b32_e32 v66, 0
	s_lshl_b32 s6, s6, 1
	v_cmp_gt_u32_e32 vcc, s9, v69
	v_lshlrev_b32_e32 v62, 2, v0
	v_mov_b32_e32 v67, 0
	v_mov_b32_e32 v68, 0
	;; [unrolled: 1-line block ×5, first 2 shown]
	s_and_saveexec_b64 s[10:11], vcc
	s_cbranch_execz .LBB90_76
; %bb.1:
	s_load_dwordx4 s[20:23], s[4:5], 0x0
	s_mul_i32 s17, s17, s8
	s_mul_i32 s26, s17, 36
	;; [unrolled: 1-line block ×3, first 2 shown]
	s_mul_hi_u32 s19, s17, 36
	s_waitcnt lgkmcnt(0)
	s_add_u32 s28, s22, s26
	s_addc_u32 s19, s23, s19
	s_mul_i32 s26, s13, 36
	s_mul_hi_u32 s27, s13, 36
	s_add_u32 s28, s28, s26
	s_mul_hi_u32 s3, s3, s7
	s_addc_u32 s29, s19, s27
	s_add_i32 s3, s7, s3
	s_lshr_b32 s3, s3, s25
	s_mul_i32 s3, s3, s12
	s_mul_hi_u32 s12, s15, s8
	s_add_i32 s12, s8, s12
	s_lshr_b32 s12, s12, s24
	v_and_b32_e32 v70, 4, v62
	s_mul_i32 s12, s12, s16
	v_and_b32_e32 v4, 1, v0
	v_or_b32_e32 v2, 2, v70
	s_add_i32 s15, s12, s3
	v_lshrrev_b32_e32 v72, 1, v2
	v_mad_u64_u32 v[26:27], s[12:13], v4, 36, s[28:29]
	v_mov_b32_e32 v2, s26
	s_movk_i32 s12, 0x48
	v_mov_b32_e32 v3, s27
	v_mad_u64_u32 v[2:3], s[12:13], v69, s12, v[2:3]
	s_add_i32 s12, s6, 1
	s_mul_i32 s3, s6, s0
	s_mul_i32 s0, s0, s12
	v_mad_u64_u32 v[2:3], s[12:13], s17, 36, v[2:3]
	v_mov_b32_e32 v63, 0
	v_lshrrev_b32_e32 v71, 1, v70
	v_mad_u64_u32 v[2:3], s[12:13], v4, 36, v[2:3]
	v_mov_b32_e32 v4, s23
	s_add_i32 s3, s15, s3
	v_add_co_u32_e32 v28, vcc, s22, v2
	s_add_i32 s15, s15, s0
	v_add_lshl_u32 v73, s1, v69, 1
	v_lshl_add_u32 v74, v69, 1, s1
	v_addc_co_u32_e32 v29, vcc, v4, v3, vcc
	s_mov_b64 s[12:13], 0
	s_movk_i32 s19, 0x7e
	s_movk_i32 s22, 0x7f
	s_mov_b32 s23, 0x3e000000
	s_mov_b32 s24, 0xf4f8fafc
	;; [unrolled: 1-line block ×3, first 2 shown]
	v_mov_b32_e32 v75, 0xfdfeff00
	v_mov_b32_e32 v76, 0x3020100
	;; [unrolled: 1-line block ×7, first 2 shown]
	s_branch .LBB90_3
.LBB90_2:                               ;   in Loop: Header=BB90_3 Depth=1
	s_or_b64 exec, exec, s[16:17]
	v_ashrrev_i32_e32 v45, 4, v61
	v_and_b32_e32 v52, 0x7070707, v45
	v_lshrrev_b32_e32 v45, 1, v45
	v_and_b32_e32 v45, 0x4040404, v45
	v_perm_b32 v53, s24, v75, v52
	v_perm_b32 v52, s25, v76, v52
	v_or_b32_e32 v45, 0x3020100, v45
	v_lshrrev_b32_e32 v54, 1, v61
	v_perm_b32 v45, v53, v52, v45
	v_and_b32_e32 v52, 0x7070707, v61
	v_and_b32_e32 v54, 0x4040404, v54
	v_perm_b32 v53, s24, v75, v52
	v_perm_b32 v52, s25, v76, v52
	v_or_b32_e32 v54, 0x3020100, v54
	v_perm_b32 v52, v53, v52, v54
	v_ashrrev_i32_e32 v53, 4, v60
	v_and_b32_e32 v54, 0x7070707, v53
	v_lshrrev_b32_e32 v53, 1, v53
	v_and_b32_e32 v53, 0x4040404, v53
	v_perm_b32 v55, s24, v75, v54
	v_perm_b32 v54, s25, v76, v54
	v_or_b32_e32 v53, 0x3020100, v53
	v_perm_b32 v53, v55, v54, v53
	v_and_b32_e32 v54, 0x7070707, v60
	v_lshrrev_b32_e32 v60, 1, v60
	v_and_b32_e32 v60, 0x4040404, v60
	v_perm_b32 v55, s24, v75, v54
	v_perm_b32 v54, s25, v76, v54
	v_or_b32_e32 v60, 0x3020100, v60
	v_perm_b32 v54, v55, v54, v60
	v_dot4_i32_i8 v54, v54, v19, 0
	v_dot4_i32_i8 v53, v53, v21, v54
	;; [unrolled: 1-line block ×3, first 2 shown]
	v_ashrrev_i32_e32 v53, 4, v59
	v_and_b32_e32 v54, 0x7070707, v53
	v_lshrrev_b32_e32 v53, 1, v53
	v_and_b32_e32 v53, 0x4040404, v53
	v_perm_b32 v55, s24, v75, v54
	v_perm_b32 v54, s25, v76, v54
	v_or_b32_e32 v53, 0x3020100, v53
	v_perm_b32 v53, v55, v54, v53
	v_and_b32_e32 v54, 0x7070707, v59
	v_lshrrev_b32_e32 v59, 1, v59
	v_and_b32_e32 v59, 0x4040404, v59
	v_perm_b32 v55, s24, v75, v54
	v_perm_b32 v54, s25, v76, v54
	v_or_b32_e32 v59, 0x3020100, v59
	v_perm_b32 v54, v55, v54, v59
	v_ashrrev_i32_e32 v55, 4, v58
	v_and_b32_e32 v59, 0x7070707, v55
	v_lshrrev_b32_e32 v55, 1, v55
	v_and_b32_e32 v55, 0x4040404, v55
	v_perm_b32 v60, s24, v75, v59
	v_perm_b32 v59, s25, v76, v59
	v_or_b32_e32 v55, 0x3020100, v55
	v_perm_b32 v55, v60, v59, v55
	v_and_b32_e32 v59, 0x7070707, v58
	v_lshrrev_b32_e32 v58, 1, v58
	v_and_b32_e32 v58, 0x4040404, v58
	v_perm_b32 v60, s24, v75, v59
	v_perm_b32 v59, s25, v76, v59
	v_or_b32_e32 v58, 0x3020100, v58
	v_perm_b32 v58, v60, v59, v58
	v_dot4_i32_i8 v58, v58, v23, 0
	v_dot4_i32_i8 v55, v55, v25, v58
	;; [unrolled: 1-line block ×3, first 2 shown]
	v_cvt_f32_f16_e32 v22, v22
	v_dot4_i32_i8 v53, v53, v18, v54
	v_cvt_f32_i32_e32 v53, v53
	v_dot4_i32_i8 v45, v45, v83, v52
	v_cvt_f32_i32_e32 v45, v45
	v_mul_f32_e32 v52, v88, v22
	v_fma_f32 v52, v52, v53, 0
	v_mul_f32_e32 v49, v49, v22
	v_fmac_f32_e32 v52, v49, v45
	v_ashrrev_i32_e32 v45, 4, v57
	v_and_b32_e32 v49, 0x7070707, v45
	v_lshrrev_b32_e32 v45, 1, v45
	v_and_b32_e32 v45, 0x4040404, v45
	v_add_f32_e32 v64, v64, v52
	v_perm_b32 v52, s24, v75, v49
	v_perm_b32 v49, s25, v76, v49
	v_or_b32_e32 v45, 0x3020100, v45
	v_lshrrev_b32_e32 v53, 1, v57
	v_perm_b32 v45, v52, v49, v45
	v_and_b32_e32 v49, 0x7070707, v57
	v_and_b32_e32 v53, 0x4040404, v53
	v_perm_b32 v52, s24, v75, v49
	v_perm_b32 v49, s25, v76, v49
	v_or_b32_e32 v53, 0x3020100, v53
	v_perm_b32 v49, v52, v49, v53
	v_ashrrev_i32_e32 v52, 4, v56
	v_and_b32_e32 v53, 0x7070707, v52
	v_lshrrev_b32_e32 v52, 1, v52
	v_and_b32_e32 v52, 0x4040404, v52
	v_perm_b32 v54, s24, v75, v53
	v_perm_b32 v53, s25, v76, v53
	v_or_b32_e32 v52, 0x3020100, v52
	v_lshrrev_b32_e32 v55, 1, v56
	v_perm_b32 v52, v54, v53, v52
	v_and_b32_e32 v53, 0x7070707, v56
	v_and_b32_e32 v55, 0x4040404, v55
	v_perm_b32 v54, s24, v75, v53
	v_perm_b32 v53, s25, v76, v53
	v_or_b32_e32 v55, 0x3020100, v55
	v_perm_b32 v53, v54, v53, v55
	v_dot4_i32_i8 v53, v53, v11, 0
	v_dot4_i32_i8 v52, v52, v13, v53
	;; [unrolled: 1-line block ×3, first 2 shown]
	v_ashrrev_i32_e32 v52, 4, v51
	v_and_b32_e32 v53, 0x7070707, v52
	v_lshrrev_b32_e32 v52, 1, v52
	v_and_b32_e32 v52, 0x4040404, v52
	v_perm_b32 v54, s24, v75, v53
	v_perm_b32 v53, s25, v76, v53
	v_or_b32_e32 v52, 0x3020100, v52
	v_perm_b32 v52, v54, v53, v52
	v_and_b32_e32 v53, 0x7070707, v51
	v_lshrrev_b32_e32 v51, 1, v51
	v_and_b32_e32 v51, 0x4040404, v51
	v_perm_b32 v54, s24, v75, v53
	v_perm_b32 v53, s25, v76, v53
	v_or_b32_e32 v51, 0x3020100, v51
	v_perm_b32 v51, v54, v53, v51
	v_ashrrev_i32_e32 v53, 4, v50
	v_and_b32_e32 v54, 0x7070707, v53
	v_lshrrev_b32_e32 v53, 1, v53
	v_and_b32_e32 v53, 0x4040404, v53
	v_perm_b32 v55, s24, v75, v54
	v_perm_b32 v54, s25, v76, v54
	v_or_b32_e32 v53, 0x3020100, v53
	v_perm_b32 v53, v55, v54, v53
	v_and_b32_e32 v54, 0x7070707, v50
	v_lshrrev_b32_e32 v50, 1, v50
	v_and_b32_e32 v50, 0x4040404, v50
	v_perm_b32 v55, s24, v75, v54
	v_perm_b32 v54, s25, v76, v54
	v_or_b32_e32 v50, 0x3020100, v50
	v_perm_b32 v50, v55, v54, v50
	v_dot4_i32_i8 v50, v50, v15, 0
	v_dot4_i32_i8 v50, v53, v17, v50
	;; [unrolled: 1-line block ×3, first 2 shown]
	v_cvt_f32_f16_e32 v14, v14
	v_dot4_i32_i8 v50, v52, v10, v50
	v_cvt_f32_i32_e32 v50, v50
	v_dot4_i32_i8 v45, v45, v82, v49
	v_cvt_f32_i32_e32 v45, v45
	v_mul_f32_e32 v49, v86, v14
	v_fma_f32 v49, v49, v50, 0
	v_mul_f32_e32 v50, v87, v14
	v_fmac_f32_e32 v49, v50, v45
	v_ashrrev_i32_e32 v45, 4, v41
	v_add_f32_e32 v65, v65, v49
	v_and_b32_e32 v49, 0x7070707, v45
	v_lshrrev_b32_e32 v45, 1, v45
	v_and_b32_e32 v45, 0x4040404, v45
	v_perm_b32 v50, s24, v75, v49
	v_perm_b32 v49, s25, v76, v49
	v_or_b32_e32 v45, 0x3020100, v45
	v_perm_b32 v45, v50, v49, v45
	v_and_b32_e32 v49, 0x7070707, v41
	v_lshrrev_b32_e32 v41, 1, v41
	v_and_b32_e32 v41, 0x4040404, v41
	v_perm_b32 v50, s24, v75, v49
	v_perm_b32 v49, s25, v76, v49
	v_or_b32_e32 v41, 0x3020100, v41
	v_perm_b32 v41, v50, v49, v41
	v_ashrrev_i32_e32 v49, 4, v40
	v_and_b32_e32 v50, 0x7070707, v49
	v_lshrrev_b32_e32 v49, 1, v49
	v_and_b32_e32 v49, 0x4040404, v49
	v_perm_b32 v51, s24, v75, v50
	v_perm_b32 v50, s25, v76, v50
	v_or_b32_e32 v49, 0x3020100, v49
	v_perm_b32 v49, v51, v50, v49
	v_and_b32_e32 v50, 0x7070707, v40
	v_lshrrev_b32_e32 v40, 1, v40
	v_and_b32_e32 v40, 0x4040404, v40
	v_perm_b32 v51, s24, v75, v50
	v_perm_b32 v50, s25, v76, v50
	v_or_b32_e32 v40, 0x3020100, v40
	v_perm_b32 v40, v51, v50, v40
	v_dot4_i32_i8 v11, v40, v11, 0
	v_dot4_i32_i8 v11, v49, v13, v11
	;; [unrolled: 1-line block ×3, first 2 shown]
	v_ashrrev_i32_e32 v12, 4, v39
	v_and_b32_e32 v13, 0x7070707, v12
	v_lshrrev_b32_e32 v12, 1, v12
	v_and_b32_e32 v12, 0x4040404, v12
	v_perm_b32 v40, s24, v75, v13
	v_perm_b32 v13, s25, v76, v13
	v_or_b32_e32 v12, 0x3020100, v12
	v_perm_b32 v12, v40, v13, v12
	v_and_b32_e32 v13, 0x7070707, v39
	v_lshrrev_b32_e32 v39, 1, v39
	v_and_b32_e32 v39, 0x4040404, v39
	v_perm_b32 v40, s24, v75, v13
	v_perm_b32 v13, s25, v76, v13
	v_or_b32_e32 v39, 0x3020100, v39
	v_perm_b32 v13, v40, v13, v39
	v_ashrrev_i32_e32 v39, 4, v38
	v_and_b32_e32 v40, 0x7070707, v39
	v_lshrrev_b32_e32 v39, 1, v39
	v_and_b32_e32 v39, 0x4040404, v39
	v_perm_b32 v41, s24, v75, v40
	v_perm_b32 v40, s25, v76, v40
	v_or_b32_e32 v39, 0x3020100, v39
	v_perm_b32 v39, v41, v40, v39
	v_and_b32_e32 v40, 0x7070707, v38
	v_lshrrev_b32_e32 v38, 1, v38
	v_and_b32_e32 v38, 0x4040404, v38
	v_perm_b32 v41, s24, v75, v40
	v_perm_b32 v40, s25, v76, v40
	v_or_b32_e32 v38, 0x3020100, v38
	v_perm_b32 v38, v41, v40, v38
	v_dot4_i32_i8 v15, v38, v15, 0
	v_dot4_i32_i8 v15, v39, v17, v15
	;; [unrolled: 1-line block ×4, first 2 shown]
	v_cvt_f32_i32_e32 v10, v10
	v_dot4_i32_i8 v11, v45, v82, v11
	v_cvt_f32_i32_e32 v11, v11
	v_mul_f32_e32 v12, v84, v14
	v_fma_f32 v10, v12, v10, 0
	v_mul_f32_e32 v12, v85, v14
	v_fmac_f32_e32 v10, v12, v11
	v_add_f32_e32 v66, v66, v10
	v_ashrrev_i32_e32 v10, 4, v37
	v_and_b32_e32 v11, 0x7070707, v10
	v_lshrrev_b32_e32 v10, 1, v10
	v_and_b32_e32 v10, 0x4040404, v10
	v_perm_b32 v12, s24, v75, v11
	v_perm_b32 v11, s25, v76, v11
	v_or_b32_e32 v10, 0x3020100, v10
	v_lshrrev_b32_e32 v13, 1, v37
	v_perm_b32 v10, v12, v11, v10
	v_and_b32_e32 v11, 0x7070707, v37
	v_and_b32_e32 v13, 0x4040404, v13
	v_perm_b32 v12, s24, v75, v11
	v_perm_b32 v11, s25, v76, v11
	v_or_b32_e32 v13, 0x3020100, v13
	v_perm_b32 v11, v12, v11, v13
	v_ashrrev_i32_e32 v12, 4, v36
	v_and_b32_e32 v13, 0x7070707, v12
	v_lshrrev_b32_e32 v12, 1, v12
	v_and_b32_e32 v12, 0x4040404, v12
	v_perm_b32 v14, s24, v75, v13
	v_perm_b32 v13, s25, v76, v13
	v_or_b32_e32 v12, 0x3020100, v12
	v_lshrrev_b32_e32 v15, 1, v36
	v_perm_b32 v12, v14, v13, v12
	v_and_b32_e32 v13, 0x7070707, v36
	v_and_b32_e32 v15, 0x4040404, v15
	v_perm_b32 v14, s24, v75, v13
	v_perm_b32 v13, s25, v76, v13
	v_or_b32_e32 v15, 0x3020100, v15
	v_perm_b32 v13, v14, v13, v15
	v_dot4_i32_i8 v13, v13, v3, 0
	v_dot4_i32_i8 v12, v12, v5, v13
	;; [unrolled: 1-line block ×3, first 2 shown]
	v_ashrrev_i32_e32 v12, 4, v35
	v_and_b32_e32 v13, 0x7070707, v12
	v_lshrrev_b32_e32 v12, 1, v12
	v_and_b32_e32 v12, 0x4040404, v12
	v_perm_b32 v14, s24, v75, v13
	v_perm_b32 v13, s25, v76, v13
	v_or_b32_e32 v12, 0x3020100, v12
	v_lshrrev_b32_e32 v15, 1, v35
	v_perm_b32 v12, v14, v13, v12
	v_and_b32_e32 v13, 0x7070707, v35
	v_and_b32_e32 v15, 0x4040404, v15
	v_perm_b32 v14, s24, v75, v13
	v_perm_b32 v13, s25, v76, v13
	v_or_b32_e32 v15, 0x3020100, v15
	v_perm_b32 v13, v14, v13, v15
	v_ashrrev_i32_e32 v14, 4, v34
	v_and_b32_e32 v15, 0x7070707, v14
	v_lshrrev_b32_e32 v14, 1, v14
	v_and_b32_e32 v14, 0x4040404, v14
	v_perm_b32 v16, s24, v75, v15
	v_perm_b32 v15, s25, v76, v15
	v_or_b32_e32 v14, 0x3020100, v14
	v_lshrrev_b32_e32 v17, 1, v34
	v_perm_b32 v14, v16, v15, v14
	v_and_b32_e32 v15, 0x7070707, v34
	v_and_b32_e32 v17, 0x4040404, v17
	v_perm_b32 v16, s24, v75, v15
	v_perm_b32 v15, s25, v76, v15
	v_or_b32_e32 v17, 0x3020100, v17
	v_perm_b32 v15, v16, v15, v17
	v_dot4_i32_i8 v15, v15, v7, 0
	v_dot4_i32_i8 v14, v14, v9, v15
	;; [unrolled: 1-line block ×3, first 2 shown]
	v_cvt_f32_f16_e32 v6, v6
	v_dot4_i32_i8 v12, v12, v2, v13
	v_cvt_f32_i32_e32 v12, v12
	v_dot4_i32_i8 v10, v10, v77, v11
	v_cvt_f32_i32_e32 v10, v10
	v_mul_f32_e32 v11, v80, v6
	v_fma_f32 v11, v11, v12, 0
	v_mul_f32_e32 v12, v81, v6
	v_fmac_f32_e32 v11, v12, v10
	v_ashrrev_i32_e32 v10, 4, v33
	v_add_f32_e32 v67, v67, v11
	v_and_b32_e32 v11, 0x7070707, v10
	v_lshrrev_b32_e32 v10, 1, v10
	v_and_b32_e32 v10, 0x4040404, v10
	v_perm_b32 v12, s24, v75, v11
	v_perm_b32 v11, s25, v76, v11
	v_or_b32_e32 v10, 0x3020100, v10
	v_lshrrev_b32_e32 v13, 1, v33
	v_perm_b32 v10, v12, v11, v10
	v_and_b32_e32 v11, 0x7070707, v33
	v_and_b32_e32 v13, 0x4040404, v13
	v_perm_b32 v12, s24, v75, v11
	v_perm_b32 v11, s25, v76, v11
	v_or_b32_e32 v13, 0x3020100, v13
	v_perm_b32 v11, v12, v11, v13
	v_ashrrev_i32_e32 v12, 4, v32
	v_and_b32_e32 v13, 0x7070707, v12
	v_lshrrev_b32_e32 v12, 1, v12
	v_and_b32_e32 v12, 0x4040404, v12
	v_perm_b32 v14, s24, v75, v13
	v_perm_b32 v13, s25, v76, v13
	v_or_b32_e32 v12, 0x3020100, v12
	v_lshrrev_b32_e32 v15, 1, v32
	v_perm_b32 v12, v14, v13, v12
	v_and_b32_e32 v13, 0x7070707, v32
	v_and_b32_e32 v15, 0x4040404, v15
	v_perm_b32 v14, s24, v75, v13
	v_perm_b32 v13, s25, v76, v13
	v_or_b32_e32 v15, 0x3020100, v15
	v_perm_b32 v13, v14, v13, v15
	v_dot4_i32_i8 v3, v13, v3, 0
	v_dot4_i32_i8 v3, v12, v5, v3
	;; [unrolled: 1-line block ×3, first 2 shown]
	v_ashrrev_i32_e32 v4, 4, v31
	v_and_b32_e32 v5, 0x7070707, v4
	v_lshrrev_b32_e32 v4, 1, v4
	v_and_b32_e32 v4, 0x4040404, v4
	v_perm_b32 v11, s24, v75, v5
	v_perm_b32 v5, s25, v76, v5
	v_or_b32_e32 v4, 0x3020100, v4
	v_lshrrev_b32_e32 v12, 1, v31
	v_perm_b32 v4, v11, v5, v4
	v_and_b32_e32 v5, 0x7070707, v31
	v_and_b32_e32 v12, 0x4040404, v12
	v_perm_b32 v11, s24, v75, v5
	v_perm_b32 v5, s25, v76, v5
	v_or_b32_e32 v12, 0x3020100, v12
	v_perm_b32 v5, v11, v5, v12
	v_ashrrev_i32_e32 v11, 4, v30
	v_and_b32_e32 v12, 0x7070707, v11
	v_lshrrev_b32_e32 v11, 1, v11
	v_and_b32_e32 v11, 0x4040404, v11
	v_perm_b32 v13, s24, v75, v12
	v_perm_b32 v12, s25, v76, v12
	v_or_b32_e32 v11, 0x3020100, v11
	v_lshrrev_b32_e32 v14, 1, v30
	v_perm_b32 v11, v13, v12, v11
	v_and_b32_e32 v12, 0x7070707, v30
	v_and_b32_e32 v14, 0x4040404, v14
	v_perm_b32 v13, s24, v75, v12
	v_perm_b32 v12, s25, v76, v12
	v_or_b32_e32 v14, 0x3020100, v14
	v_perm_b32 v12, v13, v12, v14
	v_dot4_i32_i8 v7, v12, v7, 0
	v_dot4_i32_i8 v7, v11, v9, v7
	;; [unrolled: 1-line block ×4, first 2 shown]
	v_cvt_f32_i32_e32 v2, v2
	v_dot4_i32_i8 v3, v10, v77, v3
	v_cvt_f32_i32_e32 v3, v3
	v_mul_f32_e32 v4, v78, v6
	v_fma_f32 v2, v4, v2, 0
	v_mul_f32_e32 v4, v79, v6
	v_fmac_f32_e32 v2, v4, v3
	v_add_f32_e32 v68, v68, v2
	s_waitcnt vmcnt(0)
	v_ashrrev_i32_e32 v2, 4, v47
	v_and_b32_e32 v3, 0x7070707, v2
	v_lshrrev_b32_e32 v2, 1, v2
	v_and_b32_e32 v2, 0x4040404, v2
	v_perm_b32 v4, s24, v75, v3
	v_perm_b32 v3, s25, v76, v3
	v_or_b32_e32 v2, 0x3020100, v2
	v_lshrrev_b32_e32 v5, 1, v47
	v_perm_b32 v2, v4, v3, v2
	v_and_b32_e32 v3, 0x7070707, v47
	v_and_b32_e32 v5, 0x4040404, v5
	v_perm_b32 v4, s24, v75, v3
	v_perm_b32 v3, s25, v76, v3
	v_or_b32_e32 v5, 0x3020100, v5
	v_perm_b32 v3, v4, v3, v5
	v_ashrrev_i32_e32 v4, 4, v46
	v_and_b32_e32 v5, 0x7070707, v4
	v_lshrrev_b32_e32 v4, 1, v4
	v_and_b32_e32 v4, 0x4040404, v4
	v_perm_b32 v6, s24, v75, v5
	v_perm_b32 v5, s25, v76, v5
	v_or_b32_e32 v4, 0x3020100, v4
	v_lshrrev_b32_e32 v7, 1, v46
	v_perm_b32 v4, v6, v5, v4
	v_and_b32_e32 v5, 0x7070707, v46
	v_and_b32_e32 v7, 0x4040404, v7
	v_perm_b32 v6, s24, v75, v5
	v_perm_b32 v5, s25, v76, v5
	v_or_b32_e32 v7, 0x3020100, v7
	v_perm_b32 v5, v6, v5, v7
	v_dot4_i32_i8 v5, v5, v19, 0
	v_dot4_i32_i8 v4, v4, v21, v5
	;; [unrolled: 1-line block ×3, first 2 shown]
	v_ashrrev_i32_e32 v4, 4, v43
	v_and_b32_e32 v5, 0x7070707, v4
	v_lshrrev_b32_e32 v4, 1, v4
	v_and_b32_e32 v4, 0x4040404, v4
	v_perm_b32 v6, s24, v75, v5
	v_perm_b32 v5, s25, v76, v5
	v_or_b32_e32 v4, 0x3020100, v4
	v_lshrrev_b32_e32 v7, 1, v43
	v_perm_b32 v4, v6, v5, v4
	v_and_b32_e32 v5, 0x7070707, v43
	v_and_b32_e32 v7, 0x4040404, v7
	v_perm_b32 v6, s24, v75, v5
	v_perm_b32 v5, s25, v76, v5
	v_or_b32_e32 v7, 0x3020100, v7
	v_perm_b32 v5, v6, v5, v7
	v_ashrrev_i32_e32 v6, 4, v42
	v_and_b32_e32 v7, 0x7070707, v6
	v_lshrrev_b32_e32 v6, 1, v6
	v_and_b32_e32 v6, 0x4040404, v6
	v_perm_b32 v8, s24, v75, v7
	v_perm_b32 v7, s25, v76, v7
	v_or_b32_e32 v6, 0x3020100, v6
	v_lshrrev_b32_e32 v9, 1, v42
	v_perm_b32 v6, v8, v7, v6
	v_and_b32_e32 v7, 0x7070707, v42
	v_and_b32_e32 v9, 0x4040404, v9
	v_perm_b32 v8, s24, v75, v7
	v_perm_b32 v7, s25, v76, v7
	v_or_b32_e32 v9, 0x3020100, v9
	v_perm_b32 v7, v8, v7, v9
	v_dot4_i32_i8 v7, v7, v23, 0
	v_dot4_i32_i8 v6, v6, v25, v7
	;; [unrolled: 1-line block ×4, first 2 shown]
	v_cvt_f32_i32_e32 v4, v4
	v_dot4_i32_i8 v2, v2, v83, v3
	v_cvt_f32_i32_e32 v2, v2
	v_mul_f32_e32 v3, v48, v22
	v_fma_f32 v3, v3, v4, 0
	v_mul_f32_e32 v4, v44, v22
	v_add_u32_e32 v69, 64, v69
	v_fmac_f32_e32 v3, v4, v2
	v_add_co_u32_e32 v28, vcc, 0x1200, v28
	v_cmp_le_u32_e64 s[0:1], s9, v69
	v_add_f32_e32 v63, v63, v3
	v_add_u32_e32 v73, 0x80, v73
	v_add_u32_e32 v74, 0x80, v74
	s_or_b64 s[12:13], s[0:1], s[12:13]
	v_addc_co_u32_e32 v29, vcc, 0, v29, vcc
	s_andn2_b64 exec, exec, s[12:13]
	s_cbranch_execz .LBB90_75
.LBB90_3:                               ; =>This Inner Loop Header: Depth=1
	v_add_u32_e32 v2, s3, v69
	v_mad_i64_i32 v[10:11], s[0:1], v2, 36, s[20:21]
	v_lshlrev_b32_e32 v12, 2, v70
	global_load_dword v77, v[28:29], off offset:32
	v_add_co_u32_e32 v42, vcc, v10, v12
	v_addc_co_u32_e32 v43, vcc, 0, v11, vcc
	v_add_co_u32_e32 v46, vcc, v10, v71
	v_addc_co_u32_e32 v47, vcc, 0, v11, vcc
	global_load_dwordx2 v[30:31], v[42:43], off offset:4
	global_load_ubyte v13, v[46:47], off
	global_load_dwordx4 v[2:5], v[28:29], off offset:16
	global_load_dwordx4 v[6:9], v[28:29], off
	s_mov_b64 s[0:1], 0
	s_waitcnt vmcnt(2)
	v_cmp_lt_i16_e32 vcc, s19, v13
	s_and_saveexec_b64 s[16:17], vcc
	s_xor_b64 s[16:17], exec, s[16:17]
	s_cbranch_execnz .LBB90_50
; %bb.4:                                ;   in Loop: Header=BB90_3 Depth=1
	s_andn2_saveexec_b64 s[16:17], s[16:17]
	s_cbranch_execnz .LBB90_51
.LBB90_5:                               ;   in Loop: Header=BB90_3 Depth=1
	s_or_b64 exec, exec, s[16:17]
	v_mov_b32_e32 v78, 0
	s_and_saveexec_b64 s[16:17], s[0:1]
	s_cbranch_execz .LBB90_7
.LBB90_6:                               ;   in Loop: Header=BB90_3 Depth=1
	v_and_b32_e32 v13, 0xffff, v13
	v_bfe_u32 v14, v13, 3, 4
	v_and_b32_e32 v13, 7, v13
	v_cvt_f32_ubyte0_e32 v13, v13
	v_fma_f32 v15, v13, s23, 1.0
	v_add_u32_e32 v16, -7, v14
	v_cmp_eq_u32_e32 vcc, 0, v14
	v_cndmask_b32_e32 v13, v15, v13, vcc
	v_cndmask_b32_e64 v14, v16, -9, vcc
	v_ldexp_f32 v13, v13, v14
	v_mul_f32_e32 v78, 0.5, v13
.LBB90_7:                               ;   in Loop: Header=BB90_3 Depth=1
	s_or_b64 exec, exec, s[16:17]
	v_add_co_u32_e32 v48, vcc, v10, v72
	v_addc_co_u32_e32 v49, vcc, 0, v11, vcc
	global_load_ubyte v10, v[48:49], off
	global_load_dwordx2 v[32:33], v[42:43], off offset:12
	s_mov_b64 s[0:1], 0
	s_waitcnt vmcnt(1)
	v_cmp_lt_i16_e32 vcc, s19, v10
	s_and_saveexec_b64 s[16:17], vcc
	s_xor_b64 s[16:17], exec, s[16:17]
	s_cbranch_execnz .LBB90_52
; %bb.8:                                ;   in Loop: Header=BB90_3 Depth=1
	s_andn2_saveexec_b64 s[16:17], s[16:17]
	s_cbranch_execnz .LBB90_53
.LBB90_9:                               ;   in Loop: Header=BB90_3 Depth=1
	s_or_b64 exec, exec, s[16:17]
	v_mov_b32_e32 v79, 0
	s_and_saveexec_b64 s[16:17], s[0:1]
	s_cbranch_execz .LBB90_11
.LBB90_10:                              ;   in Loop: Header=BB90_3 Depth=1
	v_and_b32_e32 v10, 0xffff, v10
	v_bfe_u32 v11, v10, 3, 4
	v_and_b32_e32 v10, 7, v10
	v_cvt_f32_ubyte0_e32 v10, v10
	v_fma_f32 v13, v10, s23, 1.0
	v_add_u32_e32 v14, -7, v11
	v_cmp_eq_u32_e32 vcc, 0, v11
	v_cndmask_b32_e32 v10, v13, v10, vcc
	v_cndmask_b32_e64 v11, v14, -9, vcc
	v_ldexp_f32 v10, v10, v11
	v_mul_f32_e32 v79, 0.5, v10
.LBB90_11:                              ;   in Loop: Header=BB90_3 Depth=1
	s_or_b64 exec, exec, s[16:17]
	v_add_u32_e32 v10, s15, v69
	v_mad_i64_i32 v[10:11], s[0:1], v10, 36, s[20:21]
	s_mov_b64 s[0:1], 0
	v_add_co_u32_e32 v52, vcc, v10, v71
	v_addc_co_u32_e32 v53, vcc, 0, v11, vcc
	v_add_co_u32_e32 v44, vcc, v10, v12
	global_load_ubyte v13, v[52:53], off
	v_addc_co_u32_e32 v45, vcc, 0, v11, vcc
	global_load_dwordx2 v[34:35], v[44:45], off offset:4
	s_waitcnt vmcnt(1)
	v_cmp_lt_i16_e32 vcc, s19, v13
	s_and_saveexec_b64 s[16:17], vcc
	s_xor_b64 s[16:17], exec, s[16:17]
	s_cbranch_execnz .LBB90_54
; %bb.12:                               ;   in Loop: Header=BB90_3 Depth=1
	s_andn2_saveexec_b64 s[16:17], s[16:17]
	s_cbranch_execnz .LBB90_55
.LBB90_13:                              ;   in Loop: Header=BB90_3 Depth=1
	s_or_b64 exec, exec, s[16:17]
	v_mov_b32_e32 v80, 0
	s_and_saveexec_b64 s[16:17], s[0:1]
	s_cbranch_execz .LBB90_15
.LBB90_14:                              ;   in Loop: Header=BB90_3 Depth=1
	v_and_b32_e32 v12, 0xffff, v13
	v_bfe_u32 v13, v12, 3, 4
	v_and_b32_e32 v12, 7, v12
	v_cvt_f32_ubyte0_e32 v12, v12
	v_fma_f32 v14, v12, s23, 1.0
	v_add_u32_e32 v15, -7, v13
	v_cmp_eq_u32_e32 vcc, 0, v13
	v_cndmask_b32_e32 v12, v14, v12, vcc
	v_cndmask_b32_e64 v13, v15, -9, vcc
	v_ldexp_f32 v12, v12, v13
	v_mul_f32_e32 v80, 0.5, v12
.LBB90_15:                              ;   in Loop: Header=BB90_3 Depth=1
	s_or_b64 exec, exec, s[16:17]
	v_add_co_u32_e32 v54, vcc, v10, v72
	v_addc_co_u32_e32 v55, vcc, 0, v11, vcc
	global_load_ubyte v10, v[54:55], off
	global_load_dwordx2 v[36:37], v[44:45], off offset:12
	s_mov_b64 s[0:1], 0
	s_waitcnt vmcnt(1)
	v_cmp_lt_i16_e32 vcc, s19, v10
	s_and_saveexec_b64 s[16:17], vcc
	s_xor_b64 s[16:17], exec, s[16:17]
	s_cbranch_execnz .LBB90_56
; %bb.16:                               ;   in Loop: Header=BB90_3 Depth=1
	s_andn2_saveexec_b64 s[16:17], s[16:17]
	s_cbranch_execnz .LBB90_57
.LBB90_17:                              ;   in Loop: Header=BB90_3 Depth=1
	s_or_b64 exec, exec, s[16:17]
	v_mov_b32_e32 v81, 0
	s_and_saveexec_b64 s[16:17], s[0:1]
	s_cbranch_execz .LBB90_19
.LBB90_18:                              ;   in Loop: Header=BB90_3 Depth=1
	v_and_b32_e32 v10, 0xffff, v10
	v_bfe_u32 v11, v10, 3, 4
	v_and_b32_e32 v10, 7, v10
	v_cvt_f32_ubyte0_e32 v10, v10
	v_fma_f32 v12, v10, s23, 1.0
	v_add_u32_e32 v13, -7, v11
	v_cmp_eq_u32_e32 vcc, 0, v11
	v_cndmask_b32_e32 v10, v12, v10, vcc
	v_cndmask_b32_e64 v11, v13, -9, vcc
	v_ldexp_f32 v10, v10, v11
	v_mul_f32_e32 v81, 0.5, v10
.LBB90_19:                              ;   in Loop: Header=BB90_3 Depth=1
	s_or_b64 exec, exec, s[16:17]
	v_mad_u64_u32 v[19:20], s[0:1], v74, 36, v[26:27]
	global_load_dwordx2 v[38:39], v[42:43], off offset:4
	global_load_ubyte v18, v[46:47], off
	global_load_dword v82, v[19:20], off offset:32
	global_load_dwordx4 v[10:13], v[19:20], off offset:16
	global_load_dwordx4 v[14:17], v[19:20], off
	s_mov_b64 s[0:1], 0
	s_waitcnt vmcnt(3)
	v_cmp_lt_i16_e32 vcc, s19, v18
	s_and_saveexec_b64 s[16:17], vcc
	s_xor_b64 s[16:17], exec, s[16:17]
	s_cbranch_execnz .LBB90_58
; %bb.20:                               ;   in Loop: Header=BB90_3 Depth=1
	s_andn2_saveexec_b64 s[16:17], s[16:17]
	s_cbranch_execnz .LBB90_59
.LBB90_21:                              ;   in Loop: Header=BB90_3 Depth=1
	s_or_b64 exec, exec, s[16:17]
	v_mov_b32_e32 v84, 0
	s_and_saveexec_b64 s[16:17], s[0:1]
	s_cbranch_execz .LBB90_23
.LBB90_22:                              ;   in Loop: Header=BB90_3 Depth=1
	v_and_b32_e32 v18, 0xffff, v18
	v_bfe_u32 v19, v18, 3, 4
	v_and_b32_e32 v18, 7, v18
	v_cvt_f32_ubyte0_e32 v18, v18
	v_fma_f32 v20, v18, s23, 1.0
	v_add_u32_e32 v21, -7, v19
	v_cmp_eq_u32_e32 vcc, 0, v19
	v_cndmask_b32_e32 v18, v20, v18, vcc
	v_cndmask_b32_e64 v19, v21, -9, vcc
	v_ldexp_f32 v18, v18, v19
	v_mul_f32_e32 v84, 0.5, v18
.LBB90_23:                              ;   in Loop: Header=BB90_3 Depth=1
	s_or_b64 exec, exec, s[16:17]
	global_load_ubyte v18, v[48:49], off
	global_load_dwordx2 v[40:41], v[42:43], off offset:12
	s_mov_b64 s[0:1], 0
	s_waitcnt vmcnt(1)
	v_cmp_lt_i16_e32 vcc, s19, v18
	s_and_saveexec_b64 s[16:17], vcc
	s_xor_b64 s[16:17], exec, s[16:17]
	s_cbranch_execnz .LBB90_60
; %bb.24:                               ;   in Loop: Header=BB90_3 Depth=1
	s_andn2_saveexec_b64 s[16:17], s[16:17]
	s_cbranch_execnz .LBB90_61
.LBB90_25:                              ;   in Loop: Header=BB90_3 Depth=1
	s_or_b64 exec, exec, s[16:17]
	v_mov_b32_e32 v85, 0
	s_and_saveexec_b64 s[16:17], s[0:1]
	s_cbranch_execz .LBB90_27
.LBB90_26:                              ;   in Loop: Header=BB90_3 Depth=1
	v_and_b32_e32 v18, 0xffff, v18
	v_bfe_u32 v19, v18, 3, 4
	v_and_b32_e32 v18, 7, v18
	v_cvt_f32_ubyte0_e32 v18, v18
	v_fma_f32 v20, v18, s23, 1.0
	v_add_u32_e32 v21, -7, v19
	v_cmp_eq_u32_e32 vcc, 0, v19
	v_cndmask_b32_e32 v18, v20, v18, vcc
	v_cndmask_b32_e64 v19, v21, -9, vcc
	v_ldexp_f32 v18, v18, v19
	v_mul_f32_e32 v85, 0.5, v18
.LBB90_27:                              ;   in Loop: Header=BB90_3 Depth=1
	s_or_b64 exec, exec, s[16:17]
	global_load_ubyte v18, v[52:53], off
	global_load_dwordx2 v[50:51], v[44:45], off offset:4
	s_mov_b64 s[0:1], 0
	s_waitcnt vmcnt(1)
	v_cmp_lt_i16_e32 vcc, s19, v18
	s_and_saveexec_b64 s[16:17], vcc
	s_xor_b64 s[16:17], exec, s[16:17]
	s_cbranch_execnz .LBB90_62
; %bb.28:                               ;   in Loop: Header=BB90_3 Depth=1
	s_andn2_saveexec_b64 s[16:17], s[16:17]
	s_cbranch_execnz .LBB90_63
.LBB90_29:                              ;   in Loop: Header=BB90_3 Depth=1
	s_or_b64 exec, exec, s[16:17]
	v_mov_b32_e32 v86, 0
	s_and_saveexec_b64 s[16:17], s[0:1]
	s_cbranch_execz .LBB90_31
.LBB90_30:                              ;   in Loop: Header=BB90_3 Depth=1
	v_and_b32_e32 v18, 0xffff, v18
	v_bfe_u32 v19, v18, 3, 4
	v_and_b32_e32 v18, 7, v18
	v_cvt_f32_ubyte0_e32 v18, v18
	v_fma_f32 v20, v18, s23, 1.0
	v_add_u32_e32 v21, -7, v19
	v_cmp_eq_u32_e32 vcc, 0, v19
	v_cndmask_b32_e32 v18, v20, v18, vcc
	v_cndmask_b32_e64 v19, v21, -9, vcc
	v_ldexp_f32 v18, v18, v19
	v_mul_f32_e32 v86, 0.5, v18
.LBB90_31:                              ;   in Loop: Header=BB90_3 Depth=1
	s_or_b64 exec, exec, s[16:17]
	global_load_ubyte v18, v[54:55], off
	global_load_dwordx2 v[56:57], v[44:45], off offset:12
	s_mov_b64 s[0:1], 0
	s_waitcnt vmcnt(1)
	v_cmp_lt_i16_e32 vcc, s19, v18
	s_and_saveexec_b64 s[16:17], vcc
	s_xor_b64 s[16:17], exec, s[16:17]
	s_cbranch_execnz .LBB90_64
; %bb.32:                               ;   in Loop: Header=BB90_3 Depth=1
	s_andn2_saveexec_b64 s[16:17], s[16:17]
	s_cbranch_execnz .LBB90_65
.LBB90_33:                              ;   in Loop: Header=BB90_3 Depth=1
	s_or_b64 exec, exec, s[16:17]
	v_mov_b32_e32 v87, 0
	s_and_saveexec_b64 s[16:17], s[0:1]
	s_cbranch_execz .LBB90_35
.LBB90_34:                              ;   in Loop: Header=BB90_3 Depth=1
	v_and_b32_e32 v18, 0xffff, v18
	v_bfe_u32 v19, v18, 3, 4
	v_and_b32_e32 v18, 7, v18
	v_cvt_f32_ubyte0_e32 v18, v18
	v_fma_f32 v20, v18, s23, 1.0
	v_add_u32_e32 v21, -7, v19
	v_cmp_eq_u32_e32 vcc, 0, v19
	v_cndmask_b32_e32 v18, v20, v18, vcc
	v_cndmask_b32_e64 v19, v21, -9, vcc
	v_ldexp_f32 v18, v18, v19
	v_mul_f32_e32 v87, 0.5, v18
.LBB90_35:                              ;   in Loop: Header=BB90_3 Depth=1
	s_or_b64 exec, exec, s[16:17]
	v_mad_u64_u32 v[88:89], s[0:1], v73, 36, v[26:27]
	global_load_dwordx2 v[58:59], v[42:43], off offset:4
	global_load_ubyte v60, v[46:47], off
	global_load_dword v83, v[88:89], off offset:32
	global_load_dwordx4 v[18:21], v[88:89], off offset:16
	global_load_dwordx4 v[22:25], v[88:89], off
	s_mov_b64 s[0:1], 0
	s_waitcnt vmcnt(3)
	v_cmp_lt_i16_e32 vcc, s19, v60
	s_and_saveexec_b64 s[16:17], vcc
	s_xor_b64 s[16:17], exec, s[16:17]
	s_cbranch_execnz .LBB90_66
; %bb.36:                               ;   in Loop: Header=BB90_3 Depth=1
	s_andn2_saveexec_b64 s[16:17], s[16:17]
	s_cbranch_execnz .LBB90_67
.LBB90_37:                              ;   in Loop: Header=BB90_3 Depth=1
	s_or_b64 exec, exec, s[16:17]
	v_mov_b32_e32 v88, 0
	s_and_saveexec_b64 s[16:17], s[0:1]
	s_cbranch_execz .LBB90_39
.LBB90_38:                              ;   in Loop: Header=BB90_3 Depth=1
	v_and_b32_e32 v46, 0xffff, v60
	v_bfe_u32 v47, v46, 3, 4
	v_and_b32_e32 v46, 7, v46
	v_cvt_f32_ubyte0_e32 v46, v46
	v_fma_f32 v60, v46, s23, 1.0
	v_add_u32_e32 v61, -7, v47
	v_cmp_eq_u32_e32 vcc, 0, v47
	v_cndmask_b32_e32 v46, v60, v46, vcc
	v_cndmask_b32_e64 v47, v61, -9, vcc
	v_ldexp_f32 v46, v46, v47
	v_mul_f32_e32 v88, 0.5, v46
.LBB90_39:                              ;   in Loop: Header=BB90_3 Depth=1
	s_or_b64 exec, exec, s[16:17]
	global_load_ubyte v46, v[48:49], off
	global_load_dwordx2 v[60:61], v[42:43], off offset:12
	s_mov_b64 s[0:1], 0
	s_waitcnt vmcnt(1)
	v_cmp_lt_i16_e32 vcc, s19, v46
	s_and_saveexec_b64 s[16:17], vcc
	s_xor_b64 s[16:17], exec, s[16:17]
	s_cbranch_execnz .LBB90_68
; %bb.40:                               ;   in Loop: Header=BB90_3 Depth=1
	s_andn2_saveexec_b64 s[16:17], s[16:17]
	s_cbranch_execnz .LBB90_69
.LBB90_41:                              ;   in Loop: Header=BB90_3 Depth=1
	s_or_b64 exec, exec, s[16:17]
	v_mov_b32_e32 v49, 0
	s_and_saveexec_b64 s[16:17], s[0:1]
	s_cbranch_execz .LBB90_43
.LBB90_42:                              ;   in Loop: Header=BB90_3 Depth=1
	v_and_b32_e32 v42, 0xffff, v46
	v_bfe_u32 v43, v42, 3, 4
	v_and_b32_e32 v42, 7, v42
	v_cvt_f32_ubyte0_e32 v42, v42
	v_fma_f32 v46, v42, s23, 1.0
	v_add_u32_e32 v47, -7, v43
	v_cmp_eq_u32_e32 vcc, 0, v43
	v_cndmask_b32_e32 v42, v46, v42, vcc
	v_cndmask_b32_e64 v43, v47, -9, vcc
	v_ldexp_f32 v42, v42, v43
	v_mul_f32_e32 v49, 0.5, v42
.LBB90_43:                              ;   in Loop: Header=BB90_3 Depth=1
	s_or_b64 exec, exec, s[16:17]
	global_load_ubyte v46, v[52:53], off
	global_load_dwordx2 v[42:43], v[44:45], off offset:4
	s_mov_b64 s[0:1], 0
	s_waitcnt vmcnt(1)
	v_cmp_lt_i16_e32 vcc, s19, v46
	s_and_saveexec_b64 s[16:17], vcc
	s_xor_b64 s[16:17], exec, s[16:17]
	s_cbranch_execnz .LBB90_70
; %bb.44:                               ;   in Loop: Header=BB90_3 Depth=1
	s_andn2_saveexec_b64 s[16:17], s[16:17]
	s_cbranch_execnz .LBB90_71
.LBB90_45:                              ;   in Loop: Header=BB90_3 Depth=1
	s_or_b64 exec, exec, s[16:17]
	v_mov_b32_e32 v48, 0
	s_and_saveexec_b64 s[16:17], s[0:1]
	s_cbranch_execz .LBB90_47
.LBB90_46:                              ;   in Loop: Header=BB90_3 Depth=1
	v_and_b32_e32 v46, 0xffff, v46
	v_bfe_u32 v47, v46, 3, 4
	v_and_b32_e32 v46, 7, v46
	v_cvt_f32_ubyte0_e32 v46, v46
	v_fma_f32 v48, v46, s23, 1.0
	v_add_u32_e32 v52, -7, v47
	v_cmp_eq_u32_e32 vcc, 0, v47
	v_cndmask_b32_e32 v46, v48, v46, vcc
	v_cndmask_b32_e64 v47, v52, -9, vcc
	v_ldexp_f32 v46, v46, v47
	v_mul_f32_e32 v48, 0.5, v46
.LBB90_47:                              ;   in Loop: Header=BB90_3 Depth=1
	s_or_b64 exec, exec, s[16:17]
	global_load_ubyte v52, v[54:55], off
	global_load_dwordx2 v[46:47], v[44:45], off offset:12
	s_mov_b64 s[0:1], 0
	s_waitcnt vmcnt(1)
	v_cmp_lt_i16_e32 vcc, s19, v52
	s_and_saveexec_b64 s[16:17], vcc
	s_xor_b64 s[16:17], exec, s[16:17]
	s_cbranch_execnz .LBB90_72
; %bb.48:                               ;   in Loop: Header=BB90_3 Depth=1
	s_andn2_saveexec_b64 s[16:17], s[16:17]
	s_cbranch_execnz .LBB90_73
.LBB90_49:                              ;   in Loop: Header=BB90_3 Depth=1
	s_or_b64 exec, exec, s[16:17]
	v_mov_b32_e32 v44, 0
	s_and_saveexec_b64 s[16:17], s[0:1]
	s_cbranch_execz .LBB90_2
	s_branch .LBB90_74
.LBB90_50:                              ;   in Loop: Header=BB90_3 Depth=1
	v_cmp_ne_u16_e32 vcc, s22, v13
	s_and_b64 s[0:1], vcc, exec
	s_andn2_saveexec_b64 s[16:17], s[16:17]
	s_cbranch_execz .LBB90_5
.LBB90_51:                              ;   in Loop: Header=BB90_3 Depth=1
	v_cmp_ne_u16_e32 vcc, 0, v13
	s_andn2_b64 s[0:1], s[0:1], exec
	s_and_b64 s[26:27], vcc, exec
	s_or_b64 s[0:1], s[0:1], s[26:27]
	s_or_b64 exec, exec, s[16:17]
	v_mov_b32_e32 v78, 0
	s_and_saveexec_b64 s[16:17], s[0:1]
	s_cbranch_execnz .LBB90_6
	s_branch .LBB90_7
.LBB90_52:                              ;   in Loop: Header=BB90_3 Depth=1
	v_cmp_ne_u16_e32 vcc, s22, v10
	s_and_b64 s[0:1], vcc, exec
	s_andn2_saveexec_b64 s[16:17], s[16:17]
	s_cbranch_execz .LBB90_9
.LBB90_53:                              ;   in Loop: Header=BB90_3 Depth=1
	v_cmp_ne_u16_e32 vcc, 0, v10
	s_andn2_b64 s[0:1], s[0:1], exec
	s_and_b64 s[26:27], vcc, exec
	s_or_b64 s[0:1], s[0:1], s[26:27]
	s_or_b64 exec, exec, s[16:17]
	v_mov_b32_e32 v79, 0
	s_and_saveexec_b64 s[16:17], s[0:1]
	s_cbranch_execnz .LBB90_10
	s_branch .LBB90_11
.LBB90_54:                              ;   in Loop: Header=BB90_3 Depth=1
	v_cmp_ne_u16_e32 vcc, s22, v13
	s_and_b64 s[0:1], vcc, exec
	s_andn2_saveexec_b64 s[16:17], s[16:17]
	s_cbranch_execz .LBB90_13
.LBB90_55:                              ;   in Loop: Header=BB90_3 Depth=1
	v_cmp_ne_u16_e32 vcc, 0, v13
	s_andn2_b64 s[0:1], s[0:1], exec
	s_and_b64 s[26:27], vcc, exec
	s_or_b64 s[0:1], s[0:1], s[26:27]
	s_or_b64 exec, exec, s[16:17]
	v_mov_b32_e32 v80, 0
	s_and_saveexec_b64 s[16:17], s[0:1]
	s_cbranch_execnz .LBB90_14
	s_branch .LBB90_15
.LBB90_56:                              ;   in Loop: Header=BB90_3 Depth=1
	v_cmp_ne_u16_e32 vcc, s22, v10
	s_and_b64 s[0:1], vcc, exec
	s_andn2_saveexec_b64 s[16:17], s[16:17]
	s_cbranch_execz .LBB90_17
.LBB90_57:                              ;   in Loop: Header=BB90_3 Depth=1
	v_cmp_ne_u16_e32 vcc, 0, v10
	s_andn2_b64 s[0:1], s[0:1], exec
	s_and_b64 s[26:27], vcc, exec
	s_or_b64 s[0:1], s[0:1], s[26:27]
	s_or_b64 exec, exec, s[16:17]
	v_mov_b32_e32 v81, 0
	s_and_saveexec_b64 s[16:17], s[0:1]
	s_cbranch_execnz .LBB90_18
	s_branch .LBB90_19
.LBB90_58:                              ;   in Loop: Header=BB90_3 Depth=1
	v_cmp_ne_u16_e32 vcc, s22, v18
	s_and_b64 s[0:1], vcc, exec
	s_andn2_saveexec_b64 s[16:17], s[16:17]
	s_cbranch_execz .LBB90_21
.LBB90_59:                              ;   in Loop: Header=BB90_3 Depth=1
	v_cmp_ne_u16_e32 vcc, 0, v18
	s_andn2_b64 s[0:1], s[0:1], exec
	s_and_b64 s[26:27], vcc, exec
	s_or_b64 s[0:1], s[0:1], s[26:27]
	s_or_b64 exec, exec, s[16:17]
	v_mov_b32_e32 v84, 0
	s_and_saveexec_b64 s[16:17], s[0:1]
	s_cbranch_execnz .LBB90_22
	s_branch .LBB90_23
.LBB90_60:                              ;   in Loop: Header=BB90_3 Depth=1
	v_cmp_ne_u16_e32 vcc, s22, v18
	s_and_b64 s[0:1], vcc, exec
	s_andn2_saveexec_b64 s[16:17], s[16:17]
	s_cbranch_execz .LBB90_25
.LBB90_61:                              ;   in Loop: Header=BB90_3 Depth=1
	v_cmp_ne_u16_e32 vcc, 0, v18
	s_andn2_b64 s[0:1], s[0:1], exec
	s_and_b64 s[26:27], vcc, exec
	s_or_b64 s[0:1], s[0:1], s[26:27]
	s_or_b64 exec, exec, s[16:17]
	v_mov_b32_e32 v85, 0
	s_and_saveexec_b64 s[16:17], s[0:1]
	s_cbranch_execnz .LBB90_26
	s_branch .LBB90_27
.LBB90_62:                              ;   in Loop: Header=BB90_3 Depth=1
	v_cmp_ne_u16_e32 vcc, s22, v18
	s_and_b64 s[0:1], vcc, exec
	s_andn2_saveexec_b64 s[16:17], s[16:17]
	s_cbranch_execz .LBB90_29
.LBB90_63:                              ;   in Loop: Header=BB90_3 Depth=1
	v_cmp_ne_u16_e32 vcc, 0, v18
	s_andn2_b64 s[0:1], s[0:1], exec
	s_and_b64 s[26:27], vcc, exec
	s_or_b64 s[0:1], s[0:1], s[26:27]
	s_or_b64 exec, exec, s[16:17]
	v_mov_b32_e32 v86, 0
	s_and_saveexec_b64 s[16:17], s[0:1]
	s_cbranch_execnz .LBB90_30
	s_branch .LBB90_31
.LBB90_64:                              ;   in Loop: Header=BB90_3 Depth=1
	v_cmp_ne_u16_e32 vcc, s22, v18
	s_and_b64 s[0:1], vcc, exec
	s_andn2_saveexec_b64 s[16:17], s[16:17]
	s_cbranch_execz .LBB90_33
.LBB90_65:                              ;   in Loop: Header=BB90_3 Depth=1
	v_cmp_ne_u16_e32 vcc, 0, v18
	s_andn2_b64 s[0:1], s[0:1], exec
	s_and_b64 s[26:27], vcc, exec
	s_or_b64 s[0:1], s[0:1], s[26:27]
	s_or_b64 exec, exec, s[16:17]
	v_mov_b32_e32 v87, 0
	s_and_saveexec_b64 s[16:17], s[0:1]
	s_cbranch_execnz .LBB90_34
	s_branch .LBB90_35
.LBB90_66:                              ;   in Loop: Header=BB90_3 Depth=1
	v_cmp_ne_u16_e32 vcc, s22, v60
	s_and_b64 s[0:1], vcc, exec
	s_andn2_saveexec_b64 s[16:17], s[16:17]
	s_cbranch_execz .LBB90_37
.LBB90_67:                              ;   in Loop: Header=BB90_3 Depth=1
	v_cmp_ne_u16_e32 vcc, 0, v60
	s_andn2_b64 s[0:1], s[0:1], exec
	s_and_b64 s[26:27], vcc, exec
	s_or_b64 s[0:1], s[0:1], s[26:27]
	s_or_b64 exec, exec, s[16:17]
	v_mov_b32_e32 v88, 0
	s_and_saveexec_b64 s[16:17], s[0:1]
	s_cbranch_execnz .LBB90_38
	s_branch .LBB90_39
.LBB90_68:                              ;   in Loop: Header=BB90_3 Depth=1
	v_cmp_ne_u16_e32 vcc, s22, v46
	s_and_b64 s[0:1], vcc, exec
	s_andn2_saveexec_b64 s[16:17], s[16:17]
	s_cbranch_execz .LBB90_41
.LBB90_69:                              ;   in Loop: Header=BB90_3 Depth=1
	v_cmp_ne_u16_e32 vcc, 0, v46
	s_andn2_b64 s[0:1], s[0:1], exec
	s_and_b64 s[26:27], vcc, exec
	s_or_b64 s[0:1], s[0:1], s[26:27]
	s_or_b64 exec, exec, s[16:17]
	v_mov_b32_e32 v49, 0
	s_and_saveexec_b64 s[16:17], s[0:1]
	s_cbranch_execnz .LBB90_42
	s_branch .LBB90_43
.LBB90_70:                              ;   in Loop: Header=BB90_3 Depth=1
	v_cmp_ne_u16_e32 vcc, s22, v46
	s_and_b64 s[0:1], vcc, exec
	s_andn2_saveexec_b64 s[16:17], s[16:17]
	s_cbranch_execz .LBB90_45
.LBB90_71:                              ;   in Loop: Header=BB90_3 Depth=1
	v_cmp_ne_u16_e32 vcc, 0, v46
	s_andn2_b64 s[0:1], s[0:1], exec
	s_and_b64 s[26:27], vcc, exec
	s_or_b64 s[0:1], s[0:1], s[26:27]
	s_or_b64 exec, exec, s[16:17]
	v_mov_b32_e32 v48, 0
	s_and_saveexec_b64 s[16:17], s[0:1]
	s_cbranch_execnz .LBB90_46
	s_branch .LBB90_47
.LBB90_72:                              ;   in Loop: Header=BB90_3 Depth=1
	v_cmp_ne_u16_e32 vcc, s22, v52
	s_and_b64 s[0:1], vcc, exec
	s_andn2_saveexec_b64 s[16:17], s[16:17]
	s_cbranch_execz .LBB90_49
.LBB90_73:                              ;   in Loop: Header=BB90_3 Depth=1
	v_cmp_ne_u16_e32 vcc, 0, v52
	s_andn2_b64 s[0:1], s[0:1], exec
	s_and_b64 s[26:27], vcc, exec
	s_or_b64 s[0:1], s[0:1], s[26:27]
	s_or_b64 exec, exec, s[16:17]
	v_mov_b32_e32 v44, 0
	s_and_saveexec_b64 s[16:17], s[0:1]
	s_cbranch_execz .LBB90_2
.LBB90_74:                              ;   in Loop: Header=BB90_3 Depth=1
	v_and_b32_e32 v44, 0xffff, v52
	v_bfe_u32 v45, v44, 3, 4
	v_and_b32_e32 v44, 7, v44
	v_cvt_f32_ubyte0_e32 v44, v44
	v_fma_f32 v52, v44, s23, 1.0
	v_add_u32_e32 v53, -7, v45
	v_cmp_eq_u32_e32 vcc, 0, v45
	v_cndmask_b32_e32 v44, v52, v44, vcc
	v_cndmask_b32_e64 v45, v53, -9, vcc
	v_ldexp_f32 v44, v44, v45
	v_mul_f32_e32 v44, 0.5, v44
	s_branch .LBB90_2
.LBB90_75:
	s_or_b64 exec, exec, s[12:13]
.LBB90_76:
	s_or_b64 exec, exec, s[10:11]
	v_cmp_eq_u32_e32 vcc, 0, v1
	v_cmp_ne_u32_e64 s[0:1], 0, v1
	s_and_saveexec_b64 s[10:11], s[0:1]
	s_cbranch_execz .LBB90_78
; %bb.77:
	v_mul_u32_u24_e32 v1, 0x600, v1
	v_lshl_or_b32 v1, v0, 2, v1
	v_add_u32_e32 v1, 0xfffffa00, v1
	ds_write2st64_b32 v1, v68, v67 offset1:1
	ds_write2st64_b32 v1, v66, v65 offset0:2 offset1:3
	ds_write2st64_b32 v1, v64, v63 offset0:4 offset1:5
.LBB90_78:
	s_or_b64 exec, exec, s[10:11]
	s_waitcnt lgkmcnt(0)
	s_barrier
	s_and_saveexec_b64 s[0:1], vcc
	s_cbranch_execz .LBB90_85
; %bb.79:
	v_mbcnt_lo_u32_b32 v1, -1, 0
	v_mbcnt_hi_u32_b32 v6, -1, v1
	ds_read2st64_b32 v[4:5], v62 offset1:1
	v_and_b32_e32 v1, 64, v6
	v_add_u32_e32 v7, 64, v1
	v_xor_b32_e32 v1, 32, v6
	v_cmp_lt_i32_e32 vcc, v1, v7
	v_cndmask_b32_e32 v1, v6, v1, vcc
	v_lshlrev_b32_e32 v1, 2, v1
	s_waitcnt lgkmcnt(0)
	v_add_f32_e32 v9, v4, v68
	v_add_f32_e32 v5, v5, v67
	ds_bpermute_b32 v10, v1, v9
	ds_bpermute_b32 v11, v1, v5
	v_xor_b32_e32 v2, 16, v6
	v_cmp_lt_i32_e32 vcc, v2, v7
	v_cndmask_b32_e32 v2, v6, v2, vcc
	v_lshlrev_b32_e32 v2, 2, v2
	s_waitcnt lgkmcnt(1)
	v_add_f32_e32 v9, v9, v10
	s_waitcnt lgkmcnt(0)
	v_add_f32_e32 v5, v5, v11
	ds_bpermute_b32 v10, v2, v9
	ds_bpermute_b32 v11, v2, v5
	v_xor_b32_e32 v3, 8, v6
	v_cmp_lt_i32_e32 vcc, v3, v7
	v_cndmask_b32_e32 v3, v6, v3, vcc
	v_lshlrev_b32_e32 v3, 2, v3
	s_waitcnt lgkmcnt(1)
	v_add_f32_e32 v9, v9, v10
	s_waitcnt lgkmcnt(0)
	;; [unrolled: 10-line block ×3, first 2 shown]
	v_add_f32_e32 v11, v11, v12
	ds_bpermute_b32 v10, v4, v9
	ds_bpermute_b32 v12, v4, v11
	v_xor_b32_e32 v8, 2, v6
	v_cmp_lt_i32_e32 vcc, v8, v7
	v_cndmask_b32_e32 v8, v6, v8, vcc
	v_lshlrev_b32_e32 v5, 2, v8
	v_xor_b32_e32 v8, 1, v6
	v_cmp_lt_i32_e32 vcc, v8, v7
	s_waitcnt lgkmcnt(1)
	v_add_f32_e32 v7, v9, v10
	s_waitcnt lgkmcnt(0)
	v_add_f32_e32 v10, v11, v12
	ds_bpermute_b32 v9, v5, v7
	ds_bpermute_b32 v11, v5, v10
	s_load_dwordx2 s[0:1], s[4:5], 0x38
	v_cndmask_b32_e32 v6, v6, v8, vcc
	s_mul_i32 s4, s14, s7
	v_lshlrev_b32_e32 v8, 2, v6
	s_waitcnt lgkmcnt(0)
	v_add_f32_e32 v6, v7, v9
	v_add_f32_e32 v9, v10, v11
	s_mul_i32 s3, s18, s8
	s_add_i32 s4, s4, s6
	ds_bpermute_b32 v7, v8, v6
	ds_bpermute_b32 v10, v8, v9
	s_add_i32 s4, s4, s3
	s_mov_b32 s5, 0
	s_lshl_b64 s[4:5], s[4:5], 2
	s_add_u32 s4, s0, s4
	v_add_u32_e32 v11, s6, v0
	s_addc_u32 s5, s1, s5
	v_cmp_gt_u32_e32 vcc, 2, v0
	v_cmp_gt_u32_e64 s[0:1], s2, v11
	s_and_b64 s[0:1], vcc, s[0:1]
	s_waitcnt lgkmcnt(1)
	v_add_f32_e32 v6, v6, v7
	s_waitcnt lgkmcnt(0)
	v_add_f32_e32 v7, v9, v10
	s_and_saveexec_b64 s[6:7], s[0:1]
	s_cbranch_execz .LBB90_81
; %bb.80:
	v_cmp_eq_u32_e32 vcc, 1, v0
	v_cndmask_b32_e32 v9, v6, v7, vcc
	v_cmp_eq_u32_e32 vcc, 2, v0
	v_cndmask_b32_e32 v9, v9, v66, vcc
	;; [unrolled: 2-line block ×5, first 2 shown]
	global_store_dword v62, v9, s[4:5]
.LBB90_81:
	s_or_b64 exec, exec, s[6:7]
	ds_read2st64_b32 v[9:10], v62 offset0:2 offset1:3
	s_waitcnt lgkmcnt(0)
	v_add_f32_e32 v9, v9, v66
	v_add_f32_e32 v10, v10, v65
	ds_bpermute_b32 v11, v1, v9
	ds_bpermute_b32 v12, v1, v10
	s_waitcnt lgkmcnt(1)
	v_add_f32_e32 v9, v9, v11
	s_waitcnt lgkmcnt(0)
	v_add_f32_e32 v10, v10, v12
	ds_bpermute_b32 v11, v2, v9
	ds_bpermute_b32 v12, v2, v10
	s_waitcnt lgkmcnt(1)
	v_add_f32_e32 v9, v9, v11
	s_waitcnt lgkmcnt(0)
	;; [unrolled: 6-line block ×6, first 2 shown]
	v_add_f32_e32 v9, v11, v12
	s_and_saveexec_b64 s[6:7], s[0:1]
	s_cbranch_execz .LBB90_83
; %bb.82:
	v_add_u32_e32 v11, 2, v0
	v_cmp_eq_u32_e32 vcc, 1, v11
	v_cndmask_b32_e32 v12, v6, v7, vcc
	v_cmp_eq_u32_e32 vcc, 2, v11
	v_cndmask_b32_e32 v12, v12, v10, vcc
	;; [unrolled: 2-line block ×5, first 2 shown]
	v_add_u32_e32 v11, s2, v0
	v_mov_b32_e32 v12, 0
	v_lshlrev_b64 v[11:12], 2, v[11:12]
	v_mov_b32_e32 v14, s5
	v_add_co_u32_e32 v11, vcc, s4, v11
	v_addc_co_u32_e32 v12, vcc, v14, v12, vcc
	global_store_dword v[11:12], v13, off
.LBB90_83:
	s_or_b64 exec, exec, s[6:7]
	ds_read2st64_b32 v[11:12], v62 offset0:4 offset1:5
	s_waitcnt lgkmcnt(0)
	v_add_f32_e32 v11, v11, v64
	v_add_f32_e32 v12, v12, v63
	ds_bpermute_b32 v13, v1, v11
	ds_bpermute_b32 v1, v1, v12
	s_waitcnt lgkmcnt(1)
	v_add_f32_e32 v11, v11, v13
	s_waitcnt lgkmcnt(0)
	v_add_f32_e32 v1, v12, v1
	ds_bpermute_b32 v12, v2, v11
	ds_bpermute_b32 v2, v2, v1
	s_waitcnt lgkmcnt(1)
	v_add_f32_e32 v11, v11, v12
	s_waitcnt lgkmcnt(0)
	;; [unrolled: 6-line block ×5, first 2 shown]
	v_add_f32_e32 v2, v3, v4
	ds_bpermute_b32 v3, v8, v1
	ds_bpermute_b32 v4, v8, v2
	s_and_b64 exec, exec, s[0:1]
	s_cbranch_execz .LBB90_85
; %bb.84:
	s_waitcnt lgkmcnt(1)
	v_add_f32_e32 v1, v1, v3
	v_add_u32_e32 v3, 4, v0
	v_cmp_eq_u32_e32 vcc, 1, v3
	s_waitcnt lgkmcnt(0)
	v_add_f32_e32 v2, v2, v4
	v_cndmask_b32_e32 v4, v6, v7, vcc
	v_cmp_eq_u32_e32 vcc, 2, v3
	v_cndmask_b32_e32 v4, v4, v10, vcc
	v_cmp_eq_u32_e32 vcc, 3, v3
	;; [unrolled: 2-line block ×4, first 2 shown]
	v_cndmask_b32_e32 v2, v1, v2, vcc
	v_lshl_or_b32 v0, s2, 1, v0
	v_mov_b32_e32 v1, 0
	v_lshlrev_b64 v[0:1], 2, v[0:1]
	v_mov_b32_e32 v3, s5
	v_add_co_u32_e32 v0, vcc, s4, v0
	v_addc_co_u32_e32 v1, vcc, v3, v1, vcc
	global_store_dword v[0:1], v2, off
.LBB90_85:
	s_endpgm
	.section	.rodata,"a",@progbits
	.p2align	6, 0x0
	.amdhsa_kernel _ZL13mul_mat_vec_qIL9ggml_type40ELi3ELb0ELb0EEvPKvS2_PKi31ggml_cuda_mm_fusion_args_devicePfj15HIP_vector_typeIjLj3EEjjjS8_jjjS8_jjjj
		.amdhsa_group_segment_fixed_size 1536
		.amdhsa_private_segment_fixed_size 0
		.amdhsa_kernarg_size 144
		.amdhsa_user_sgpr_count 6
		.amdhsa_user_sgpr_private_segment_buffer 1
		.amdhsa_user_sgpr_dispatch_ptr 0
		.amdhsa_user_sgpr_queue_ptr 0
		.amdhsa_user_sgpr_kernarg_segment_ptr 1
		.amdhsa_user_sgpr_dispatch_id 0
		.amdhsa_user_sgpr_flat_scratch_init 0
		.amdhsa_user_sgpr_private_segment_size 0
		.amdhsa_uses_dynamic_stack 0
		.amdhsa_system_sgpr_private_segment_wavefront_offset 0
		.amdhsa_system_sgpr_workgroup_id_x 1
		.amdhsa_system_sgpr_workgroup_id_y 1
		.amdhsa_system_sgpr_workgroup_id_z 1
		.amdhsa_system_sgpr_workgroup_info 0
		.amdhsa_system_vgpr_workitem_id 1
		.amdhsa_next_free_vgpr 90
		.amdhsa_next_free_sgpr 30
		.amdhsa_reserve_vcc 1
		.amdhsa_reserve_flat_scratch 0
		.amdhsa_float_round_mode_32 0
		.amdhsa_float_round_mode_16_64 0
		.amdhsa_float_denorm_mode_32 3
		.amdhsa_float_denorm_mode_16_64 3
		.amdhsa_dx10_clamp 1
		.amdhsa_ieee_mode 1
		.amdhsa_fp16_overflow 0
		.amdhsa_exception_fp_ieee_invalid_op 0
		.amdhsa_exception_fp_denorm_src 0
		.amdhsa_exception_fp_ieee_div_zero 0
		.amdhsa_exception_fp_ieee_overflow 0
		.amdhsa_exception_fp_ieee_underflow 0
		.amdhsa_exception_fp_ieee_inexact 0
		.amdhsa_exception_int_div_zero 0
	.end_amdhsa_kernel
	.section	.text._ZL13mul_mat_vec_qIL9ggml_type40ELi3ELb0ELb0EEvPKvS2_PKi31ggml_cuda_mm_fusion_args_devicePfj15HIP_vector_typeIjLj3EEjjjS8_jjjS8_jjjj,"axG",@progbits,_ZL13mul_mat_vec_qIL9ggml_type40ELi3ELb0ELb0EEvPKvS2_PKi31ggml_cuda_mm_fusion_args_devicePfj15HIP_vector_typeIjLj3EEjjjS8_jjjS8_jjjj,comdat
.Lfunc_end90:
	.size	_ZL13mul_mat_vec_qIL9ggml_type40ELi3ELb0ELb0EEvPKvS2_PKi31ggml_cuda_mm_fusion_args_devicePfj15HIP_vector_typeIjLj3EEjjjS8_jjjS8_jjjj, .Lfunc_end90-_ZL13mul_mat_vec_qIL9ggml_type40ELi3ELb0ELb0EEvPKvS2_PKi31ggml_cuda_mm_fusion_args_devicePfj15HIP_vector_typeIjLj3EEjjjS8_jjjS8_jjjj
                                        ; -- End function
	.set _ZL13mul_mat_vec_qIL9ggml_type40ELi3ELb0ELb0EEvPKvS2_PKi31ggml_cuda_mm_fusion_args_devicePfj15HIP_vector_typeIjLj3EEjjjS8_jjjS8_jjjj.num_vgpr, 90
	.set _ZL13mul_mat_vec_qIL9ggml_type40ELi3ELb0ELb0EEvPKvS2_PKi31ggml_cuda_mm_fusion_args_devicePfj15HIP_vector_typeIjLj3EEjjjS8_jjjS8_jjjj.num_agpr, 0
	.set _ZL13mul_mat_vec_qIL9ggml_type40ELi3ELb0ELb0EEvPKvS2_PKi31ggml_cuda_mm_fusion_args_devicePfj15HIP_vector_typeIjLj3EEjjjS8_jjjS8_jjjj.numbered_sgpr, 30
	.set _ZL13mul_mat_vec_qIL9ggml_type40ELi3ELb0ELb0EEvPKvS2_PKi31ggml_cuda_mm_fusion_args_devicePfj15HIP_vector_typeIjLj3EEjjjS8_jjjS8_jjjj.num_named_barrier, 0
	.set _ZL13mul_mat_vec_qIL9ggml_type40ELi3ELb0ELb0EEvPKvS2_PKi31ggml_cuda_mm_fusion_args_devicePfj15HIP_vector_typeIjLj3EEjjjS8_jjjS8_jjjj.private_seg_size, 0
	.set _ZL13mul_mat_vec_qIL9ggml_type40ELi3ELb0ELb0EEvPKvS2_PKi31ggml_cuda_mm_fusion_args_devicePfj15HIP_vector_typeIjLj3EEjjjS8_jjjS8_jjjj.uses_vcc, 1
	.set _ZL13mul_mat_vec_qIL9ggml_type40ELi3ELb0ELb0EEvPKvS2_PKi31ggml_cuda_mm_fusion_args_devicePfj15HIP_vector_typeIjLj3EEjjjS8_jjjS8_jjjj.uses_flat_scratch, 0
	.set _ZL13mul_mat_vec_qIL9ggml_type40ELi3ELb0ELb0EEvPKvS2_PKi31ggml_cuda_mm_fusion_args_devicePfj15HIP_vector_typeIjLj3EEjjjS8_jjjS8_jjjj.has_dyn_sized_stack, 0
	.set _ZL13mul_mat_vec_qIL9ggml_type40ELi3ELb0ELb0EEvPKvS2_PKi31ggml_cuda_mm_fusion_args_devicePfj15HIP_vector_typeIjLj3EEjjjS8_jjjS8_jjjj.has_recursion, 0
	.set _ZL13mul_mat_vec_qIL9ggml_type40ELi3ELb0ELb0EEvPKvS2_PKi31ggml_cuda_mm_fusion_args_devicePfj15HIP_vector_typeIjLj3EEjjjS8_jjjS8_jjjj.has_indirect_call, 0
	.section	.AMDGPU.csdata,"",@progbits
; Kernel info:
; codeLenInByte = 7160
; TotalNumSgprs: 34
; NumVgprs: 90
; ScratchSize: 0
; MemoryBound: 0
; FloatMode: 240
; IeeeMode: 1
; LDSByteSize: 1536 bytes/workgroup (compile time only)
; SGPRBlocks: 4
; VGPRBlocks: 22
; NumSGPRsForWavesPerEU: 34
; NumVGPRsForWavesPerEU: 90
; Occupancy: 2
; WaveLimiterHint : 0
; COMPUTE_PGM_RSRC2:SCRATCH_EN: 0
; COMPUTE_PGM_RSRC2:USER_SGPR: 6
; COMPUTE_PGM_RSRC2:TRAP_HANDLER: 0
; COMPUTE_PGM_RSRC2:TGID_X_EN: 1
; COMPUTE_PGM_RSRC2:TGID_Y_EN: 1
; COMPUTE_PGM_RSRC2:TGID_Z_EN: 1
; COMPUTE_PGM_RSRC2:TIDIG_COMP_CNT: 1
	.section	.text._ZL13mul_mat_vec_qIL9ggml_type40ELi4ELb0ELb0EEvPKvS2_PKi31ggml_cuda_mm_fusion_args_devicePfj15HIP_vector_typeIjLj3EEjjjS8_jjjS8_jjjj,"axG",@progbits,_ZL13mul_mat_vec_qIL9ggml_type40ELi4ELb0ELb0EEvPKvS2_PKi31ggml_cuda_mm_fusion_args_devicePfj15HIP_vector_typeIjLj3EEjjjS8_jjjS8_jjjj,comdat
	.globl	_ZL13mul_mat_vec_qIL9ggml_type40ELi4ELb0ELb0EEvPKvS2_PKi31ggml_cuda_mm_fusion_args_devicePfj15HIP_vector_typeIjLj3EEjjjS8_jjjS8_jjjj ; -- Begin function _ZL13mul_mat_vec_qIL9ggml_type40ELi4ELb0ELb0EEvPKvS2_PKi31ggml_cuda_mm_fusion_args_devicePfj15HIP_vector_typeIjLj3EEjjjS8_jjjS8_jjjj
	.p2align	8
	.type	_ZL13mul_mat_vec_qIL9ggml_type40ELi4ELb0ELb0EEvPKvS2_PKi31ggml_cuda_mm_fusion_args_devicePfj15HIP_vector_typeIjLj3EEjjjS8_jjjS8_jjjj,@function
_ZL13mul_mat_vec_qIL9ggml_type40ELi4ELb0ELb0EEvPKvS2_PKi31ggml_cuda_mm_fusion_args_devicePfj15HIP_vector_typeIjLj3EEjjjS8_jjjS8_jjjj: ; @_ZL13mul_mat_vec_qIL9ggml_type40ELi4ELb0ELb0EEvPKvS2_PKi31ggml_cuda_mm_fusion_args_devicePfj15HIP_vector_typeIjLj3EEjjjS8_jjjS8_jjjj
; %bb.0:
	v_lshlrev_b32_e32 v2, 6, v1
	s_load_dword s9, s[4:5], 0x40
	s_load_dwordx4 s[0:3], s[4:5], 0x50
	s_load_dword s25, s[4:5], 0x60
	s_load_dwordx4 s[12:15], s[4:5], 0x68
	;; [unrolled: 2-line block ×3, first 2 shown]
	v_add_u16_e32 v2, v2, v0
	s_waitcnt lgkmcnt(0)
	s_lshr_b32 s9, s9, 6
	v_lshrrev_b16_e32 v88, 1, v2
	v_mov_b32_e32 v83, 0
	s_lshl_b32 s6, s6, 1
	v_cmp_gt_u32_e32 vcc, s9, v88
	v_lshlrev_b32_e32 v79, 2, v0
	v_mov_b32_e32 v84, v83
	v_mov_b32_e32 v85, v83
	v_mov_b32_e32 v86, v83
	v_mov_b32_e32 v87, v83
	v_mov_b32_e32 v82, v83
	v_mov_b32_e32 v81, v83
	v_mov_b32_e32 v80, v83
	s_and_saveexec_b64 s[10:11], vcc
	s_cbranch_execz .LBB91_100
; %bb.1:
	s_load_dwordx4 s[20:23], s[4:5], 0x0
	s_mul_i32 s17, s17, s8
	s_mul_i32 s26, s17, 36
	;; [unrolled: 1-line block ×3, first 2 shown]
	s_mul_hi_u32 s19, s17, 36
	s_waitcnt lgkmcnt(0)
	s_add_u32 s28, s22, s26
	s_addc_u32 s19, s23, s19
	s_mul_i32 s26, s13, 36
	s_mul_hi_u32 s27, s13, 36
	s_add_u32 s28, s28, s26
	s_mul_hi_u32 s3, s3, s7
	s_addc_u32 s29, s19, s27
	s_add_i32 s3, s7, s3
	s_lshr_b32 s3, s3, s25
	s_mul_i32 s3, s3, s12
	s_mul_hi_u32 s12, s15, s8
	s_add_i32 s12, s8, s12
	s_lshr_b32 s12, s12, s24
	v_and_b32_e32 v89, 4, v79
	s_mul_i32 s12, s12, s16
	v_and_b32_e32 v5, 1, v0
	v_or_b32_e32 v2, 2, v89
	s_add_i32 s15, s12, s3
	v_lshrrev_b32_e32 v91, 1, v2
	v_mad_u64_u32 v[34:35], s[12:13], v5, 36, s[28:29]
	v_mov_b32_e32 v2, s26
	s_movk_i32 s12, 0x48
	v_mov_b32_e32 v3, s27
	v_mad_u64_u32 v[2:3], s[12:13], v88, s12, v[2:3]
	s_add_i32 s16, s6, 1
	s_mul_i32 s3, s6, s0
	v_mad_u64_u32 v[2:3], s[12:13], s17, 36, v[2:3]
	s_mul_i32 s0, s0, s16
	v_lshlrev_b32_e32 v4, 1, v88
	v_mad_u64_u32 v[2:3], s[12:13], v5, 36, v[2:3]
	v_mov_b32_e32 v5, s23
	s_add_i32 s3, s15, s3
	s_add_i32 s15, s15, s0
	v_add_lshl_u32 v92, s1, v88, 1
	v_add_u32_e32 v93, s1, v4
	v_mad_u64_u32 v[38:39], s[0:1], s1, 3, v[4:5]
	v_mov_b32_e32 v80, 0
	v_add_co_u32_e32 v36, vcc, s22, v2
	v_lshrrev_b32_e32 v90, 1, v89
	v_addc_co_u32_e32 v37, vcc, v5, v3, vcc
	s_mov_b64 s[0:1], 0
	s_movk_i32 s19, 0x7e
	s_movk_i32 s22, 0x7f
	s_mov_b32 s23, 0x3e000000
	s_mov_b32 s24, 0xf4f8fafc
	;; [unrolled: 1-line block ×3, first 2 shown]
	v_mov_b32_e32 v94, 0xfdfeff00
	v_mov_b32_e32 v95, 0x3020100
	;; [unrolled: 1-line block ×9, first 2 shown]
	s_branch .LBB91_3
.LBB91_2:                               ;   in Loop: Header=BB91_3 Depth=1
	s_or_b64 exec, exec, s[16:17]
	v_ashrrev_i32_e32 v58, 4, v78
	v_and_b32_e32 v63, 0x7070707, v58
	v_lshrrev_b32_e32 v58, 1, v58
	v_and_b32_e32 v58, 0x4040404, v58
	v_perm_b32 v64, s24, v94, v63
	v_perm_b32 v63, s25, v95, v63
	v_or_b32_e32 v58, 0x3020100, v58
	v_lshrrev_b32_e32 v65, 1, v78
	v_perm_b32 v58, v64, v63, v58
	v_and_b32_e32 v63, 0x7070707, v78
	v_and_b32_e32 v65, 0x4040404, v65
	v_perm_b32 v64, s24, v94, v63
	v_perm_b32 v63, s25, v95, v63
	v_or_b32_e32 v65, 0x3020100, v65
	v_perm_b32 v63, v64, v63, v65
	v_ashrrev_i32_e32 v64, 4, v77
	v_and_b32_e32 v65, 0x7070707, v64
	v_lshrrev_b32_e32 v64, 1, v64
	v_and_b32_e32 v64, 0x4040404, v64
	v_perm_b32 v66, s24, v94, v65
	v_perm_b32 v65, s25, v95, v65
	v_or_b32_e32 v64, 0x3020100, v64
	v_perm_b32 v64, v66, v65, v64
	v_and_b32_e32 v65, 0x7070707, v77
	v_lshrrev_b32_e32 v77, 1, v77
	v_and_b32_e32 v77, 0x4040404, v77
	v_perm_b32 v66, s24, v94, v65
	v_perm_b32 v65, s25, v95, v65
	v_or_b32_e32 v77, 0x3020100, v77
	v_perm_b32 v65, v66, v65, v77
	v_dot4_i32_i8 v65, v65, v19, 0
	v_dot4_i32_i8 v64, v64, v21, v65
	;; [unrolled: 1-line block ×3, first 2 shown]
	v_ashrrev_i32_e32 v64, 4, v76
	v_and_b32_e32 v65, 0x7070707, v64
	v_lshrrev_b32_e32 v64, 1, v64
	v_and_b32_e32 v64, 0x4040404, v64
	v_perm_b32 v66, s24, v94, v65
	v_perm_b32 v65, s25, v95, v65
	v_or_b32_e32 v64, 0x3020100, v64
	v_perm_b32 v64, v66, v65, v64
	v_and_b32_e32 v65, 0x7070707, v76
	v_lshrrev_b32_e32 v76, 1, v76
	v_and_b32_e32 v76, 0x4040404, v76
	v_perm_b32 v66, s24, v94, v65
	v_perm_b32 v65, s25, v95, v65
	v_or_b32_e32 v76, 0x3020100, v76
	v_perm_b32 v65, v66, v65, v76
	v_ashrrev_i32_e32 v66, 4, v75
	v_and_b32_e32 v76, 0x7070707, v66
	v_lshrrev_b32_e32 v66, 1, v66
	v_and_b32_e32 v66, 0x4040404, v66
	v_perm_b32 v77, s24, v94, v76
	v_perm_b32 v76, s25, v95, v76
	v_or_b32_e32 v66, 0x3020100, v66
	v_perm_b32 v66, v77, v76, v66
	v_and_b32_e32 v76, 0x7070707, v75
	v_lshrrev_b32_e32 v75, 1, v75
	v_and_b32_e32 v75, 0x4040404, v75
	v_perm_b32 v77, s24, v94, v76
	v_perm_b32 v76, s25, v95, v76
	v_or_b32_e32 v75, 0x3020100, v75
	v_perm_b32 v75, v77, v76, v75
	v_dot4_i32_i8 v75, v75, v23, 0
	v_dot4_i32_i8 v66, v66, v25, v75
	v_dot4_i32_i8 v65, v65, v24, v66
	v_cvt_f32_f16_e32 v22, v22
	v_dot4_i32_i8 v64, v64, v18, v65
	v_cvt_f32_i32_e32 v64, v64
	v_dot4_i32_i8 v58, v58, v105, v63
	v_cvt_f32_i32_e32 v58, v58
	v_mul_f32_e32 v63, v112, v22
	v_fma_f32 v63, v63, v64, 0
	v_mul_f32_e32 v62, v62, v22
	v_fmac_f32_e32 v63, v62, v58
	v_ashrrev_i32_e32 v58, 4, v74
	v_and_b32_e32 v62, 0x7070707, v58
	v_lshrrev_b32_e32 v58, 1, v58
	v_and_b32_e32 v58, 0x4040404, v58
	v_add_f32_e32 v81, v81, v63
	v_perm_b32 v63, s24, v94, v62
	v_perm_b32 v62, s25, v95, v62
	v_or_b32_e32 v58, 0x3020100, v58
	v_lshrrev_b32_e32 v64, 1, v74
	v_perm_b32 v58, v63, v62, v58
	v_and_b32_e32 v62, 0x7070707, v74
	v_and_b32_e32 v64, 0x4040404, v64
	v_perm_b32 v63, s24, v94, v62
	v_perm_b32 v62, s25, v95, v62
	v_or_b32_e32 v64, 0x3020100, v64
	v_perm_b32 v62, v63, v62, v64
	v_ashrrev_i32_e32 v63, 4, v73
	v_and_b32_e32 v64, 0x7070707, v63
	v_lshrrev_b32_e32 v63, 1, v63
	v_and_b32_e32 v63, 0x4040404, v63
	v_perm_b32 v65, s24, v94, v64
	v_perm_b32 v64, s25, v95, v64
	v_or_b32_e32 v63, 0x3020100, v63
	v_lshrrev_b32_e32 v66, 1, v73
	v_perm_b32 v63, v65, v64, v63
	v_and_b32_e32 v64, 0x7070707, v73
	v_and_b32_e32 v66, 0x4040404, v66
	v_perm_b32 v65, s24, v94, v64
	v_perm_b32 v64, s25, v95, v64
	v_or_b32_e32 v66, 0x3020100, v66
	v_perm_b32 v64, v65, v64, v66
	v_dot4_i32_i8 v64, v64, v27, 0
	v_dot4_i32_i8 v63, v63, v29, v64
	;; [unrolled: 1-line block ×3, first 2 shown]
	v_ashrrev_i32_e32 v63, 4, v72
	v_and_b32_e32 v64, 0x7070707, v63
	v_lshrrev_b32_e32 v63, 1, v63
	v_and_b32_e32 v63, 0x4040404, v63
	v_perm_b32 v65, s24, v94, v64
	v_perm_b32 v64, s25, v95, v64
	v_or_b32_e32 v63, 0x3020100, v63
	v_lshrrev_b32_e32 v66, 1, v72
	v_perm_b32 v63, v65, v64, v63
	v_and_b32_e32 v64, 0x7070707, v72
	v_and_b32_e32 v66, 0x4040404, v66
	v_perm_b32 v65, s24, v94, v64
	v_perm_b32 v64, s25, v95, v64
	v_or_b32_e32 v66, 0x3020100, v66
	v_perm_b32 v64, v65, v64, v66
	v_ashrrev_i32_e32 v65, 4, v71
	v_and_b32_e32 v66, 0x7070707, v65
	v_lshrrev_b32_e32 v65, 1, v65
	v_and_b32_e32 v65, 0x4040404, v65
	v_perm_b32 v72, s24, v94, v66
	v_perm_b32 v66, s25, v95, v66
	v_or_b32_e32 v65, 0x3020100, v65
	v_perm_b32 v65, v72, v66, v65
	v_and_b32_e32 v66, 0x7070707, v71
	v_lshrrev_b32_e32 v71, 1, v71
	v_and_b32_e32 v71, 0x4040404, v71
	v_perm_b32 v72, s24, v94, v66
	v_perm_b32 v66, s25, v95, v66
	v_or_b32_e32 v71, 0x3020100, v71
	v_perm_b32 v66, v72, v66, v71
	v_dot4_i32_i8 v66, v66, v31, 0
	v_dot4_i32_i8 v65, v65, v33, v66
	;; [unrolled: 1-line block ×3, first 2 shown]
	v_cvt_f32_f16_e32 v30, v30
	v_dot4_i32_i8 v63, v63, v26, v64
	v_cvt_f32_i32_e32 v63, v63
	v_dot4_i32_i8 v58, v58, v107, v62
	v_cvt_f32_i32_e32 v58, v58
	v_mul_f32_e32 v62, v110, v30
	v_fma_f32 v62, v62, v63, 0
	v_mul_f32_e32 v63, v111, v30
	v_fmac_f32_e32 v62, v63, v58
	v_ashrrev_i32_e32 v58, 4, v70
	v_add_f32_e32 v82, v82, v62
	v_and_b32_e32 v62, 0x7070707, v58
	v_lshrrev_b32_e32 v58, 1, v58
	v_and_b32_e32 v58, 0x4040404, v58
	v_perm_b32 v63, s24, v94, v62
	v_perm_b32 v62, s25, v95, v62
	v_or_b32_e32 v58, 0x3020100, v58
	v_lshrrev_b32_e32 v64, 1, v70
	v_perm_b32 v58, v63, v62, v58
	v_and_b32_e32 v62, 0x7070707, v70
	v_and_b32_e32 v64, 0x4040404, v64
	v_perm_b32 v63, s24, v94, v62
	v_perm_b32 v62, s25, v95, v62
	v_or_b32_e32 v64, 0x3020100, v64
	v_perm_b32 v62, v63, v62, v64
	v_ashrrev_i32_e32 v63, 4, v69
	v_and_b32_e32 v64, 0x7070707, v63
	v_lshrrev_b32_e32 v63, 1, v63
	v_and_b32_e32 v63, 0x4040404, v63
	v_perm_b32 v65, s24, v94, v64
	v_perm_b32 v64, s25, v95, v64
	v_or_b32_e32 v63, 0x3020100, v63
	v_lshrrev_b32_e32 v66, 1, v69
	v_perm_b32 v63, v65, v64, v63
	v_and_b32_e32 v64, 0x7070707, v69
	v_and_b32_e32 v66, 0x4040404, v66
	v_perm_b32 v65, s24, v94, v64
	v_perm_b32 v64, s25, v95, v64
	v_or_b32_e32 v66, 0x3020100, v66
	v_perm_b32 v64, v65, v64, v66
	v_dot4_i32_i8 v27, v64, v27, 0
	v_dot4_i32_i8 v27, v63, v29, v27
	;; [unrolled: 1-line block ×3, first 2 shown]
	v_ashrrev_i32_e32 v28, 4, v68
	v_and_b32_e32 v29, 0x7070707, v28
	v_lshrrev_b32_e32 v28, 1, v28
	v_and_b32_e32 v28, 0x4040404, v28
	v_perm_b32 v62, s24, v94, v29
	v_perm_b32 v29, s25, v95, v29
	v_or_b32_e32 v28, 0x3020100, v28
	v_lshrrev_b32_e32 v63, 1, v68
	v_perm_b32 v28, v62, v29, v28
	v_and_b32_e32 v29, 0x7070707, v68
	v_and_b32_e32 v63, 0x4040404, v63
	v_perm_b32 v62, s24, v94, v29
	v_perm_b32 v29, s25, v95, v29
	v_or_b32_e32 v63, 0x3020100, v63
	v_perm_b32 v29, v62, v29, v63
	v_ashrrev_i32_e32 v62, 4, v67
	v_and_b32_e32 v63, 0x7070707, v62
	v_lshrrev_b32_e32 v62, 1, v62
	v_and_b32_e32 v62, 0x4040404, v62
	v_perm_b32 v64, s24, v94, v63
	v_perm_b32 v63, s25, v95, v63
	v_or_b32_e32 v62, 0x3020100, v62
	v_lshrrev_b32_e32 v65, 1, v67
	v_perm_b32 v62, v64, v63, v62
	v_and_b32_e32 v63, 0x7070707, v67
	v_and_b32_e32 v65, 0x4040404, v65
	v_perm_b32 v64, s24, v94, v63
	v_perm_b32 v63, s25, v95, v63
	v_or_b32_e32 v65, 0x3020100, v65
	v_perm_b32 v63, v64, v63, v65
	v_dot4_i32_i8 v31, v63, v31, 0
	v_dot4_i32_i8 v31, v62, v33, v31
	;; [unrolled: 1-line block ×4, first 2 shown]
	v_cvt_f32_i32_e32 v26, v26
	v_dot4_i32_i8 v27, v58, v107, v27
	v_cvt_f32_i32_e32 v27, v27
	v_mul_f32_e32 v28, v108, v30
	v_fma_f32 v26, v28, v26, 0
	v_mul_f32_e32 v28, v109, v30
	v_fmac_f32_e32 v26, v28, v27
	v_add_f32_e32 v83, v83, v26
	v_ashrrev_i32_e32 v26, 4, v56
	v_and_b32_e32 v27, 0x7070707, v26
	v_lshrrev_b32_e32 v26, 1, v26
	v_and_b32_e32 v26, 0x4040404, v26
	v_perm_b32 v28, s24, v94, v27
	v_perm_b32 v27, s25, v95, v27
	v_or_b32_e32 v26, 0x3020100, v26
	v_lshrrev_b32_e32 v29, 1, v56
	v_perm_b32 v26, v28, v27, v26
	v_and_b32_e32 v27, 0x7070707, v56
	v_and_b32_e32 v29, 0x4040404, v29
	v_perm_b32 v28, s24, v94, v27
	v_perm_b32 v27, s25, v95, v27
	v_or_b32_e32 v29, 0x3020100, v29
	v_perm_b32 v27, v28, v27, v29
	v_ashrrev_i32_e32 v28, 4, v55
	v_and_b32_e32 v29, 0x7070707, v28
	v_lshrrev_b32_e32 v28, 1, v28
	v_and_b32_e32 v28, 0x4040404, v28
	v_perm_b32 v30, s24, v94, v29
	v_perm_b32 v29, s25, v95, v29
	v_or_b32_e32 v28, 0x3020100, v28
	v_lshrrev_b32_e32 v31, 1, v55
	v_perm_b32 v28, v30, v29, v28
	v_and_b32_e32 v29, 0x7070707, v55
	v_and_b32_e32 v31, 0x4040404, v31
	v_perm_b32 v30, s24, v94, v29
	v_perm_b32 v29, s25, v95, v29
	v_or_b32_e32 v31, 0x3020100, v31
	v_perm_b32 v29, v30, v29, v31
	v_dot4_i32_i8 v29, v29, v11, 0
	v_dot4_i32_i8 v28, v28, v13, v29
	;; [unrolled: 1-line block ×3, first 2 shown]
	v_ashrrev_i32_e32 v28, 4, v52
	v_and_b32_e32 v29, 0x7070707, v28
	v_lshrrev_b32_e32 v28, 1, v28
	v_and_b32_e32 v28, 0x4040404, v28
	v_perm_b32 v30, s24, v94, v29
	v_perm_b32 v29, s25, v95, v29
	v_or_b32_e32 v28, 0x3020100, v28
	v_lshrrev_b32_e32 v31, 1, v52
	v_perm_b32 v28, v30, v29, v28
	v_and_b32_e32 v29, 0x7070707, v52
	v_and_b32_e32 v31, 0x4040404, v31
	v_perm_b32 v30, s24, v94, v29
	v_perm_b32 v29, s25, v95, v29
	v_or_b32_e32 v31, 0x3020100, v31
	v_perm_b32 v29, v30, v29, v31
	v_ashrrev_i32_e32 v30, 4, v51
	v_and_b32_e32 v31, 0x7070707, v30
	v_lshrrev_b32_e32 v30, 1, v30
	v_and_b32_e32 v30, 0x4040404, v30
	v_perm_b32 v32, s24, v94, v31
	v_perm_b32 v31, s25, v95, v31
	v_or_b32_e32 v30, 0x3020100, v30
	v_lshrrev_b32_e32 v33, 1, v51
	v_perm_b32 v30, v32, v31, v30
	v_and_b32_e32 v31, 0x7070707, v51
	v_and_b32_e32 v33, 0x4040404, v33
	v_perm_b32 v32, s24, v94, v31
	v_perm_b32 v31, s25, v95, v31
	v_or_b32_e32 v33, 0x3020100, v33
	v_perm_b32 v31, v32, v31, v33
	v_dot4_i32_i8 v31, v31, v15, 0
	v_dot4_i32_i8 v30, v30, v17, v31
	;; [unrolled: 1-line block ×3, first 2 shown]
	v_cvt_f32_f16_e32 v14, v14
	v_dot4_i32_i8 v28, v28, v10, v29
	v_cvt_f32_i32_e32 v28, v28
	v_dot4_i32_i8 v26, v26, v101, v27
	v_cvt_f32_i32_e32 v26, v26
	v_mul_f32_e32 v27, v104, v14
	v_fma_f32 v27, v27, v28, 0
	v_mul_f32_e32 v28, v106, v14
	v_fmac_f32_e32 v27, v28, v26
	v_ashrrev_i32_e32 v26, 4, v50
	v_add_f32_e32 v84, v84, v27
	v_and_b32_e32 v27, 0x7070707, v26
	v_lshrrev_b32_e32 v26, 1, v26
	v_and_b32_e32 v26, 0x4040404, v26
	v_perm_b32 v28, s24, v94, v27
	v_perm_b32 v27, s25, v95, v27
	v_or_b32_e32 v26, 0x3020100, v26
	v_lshrrev_b32_e32 v29, 1, v50
	v_perm_b32 v26, v28, v27, v26
	v_and_b32_e32 v27, 0x7070707, v50
	v_and_b32_e32 v29, 0x4040404, v29
	v_perm_b32 v28, s24, v94, v27
	v_perm_b32 v27, s25, v95, v27
	v_or_b32_e32 v29, 0x3020100, v29
	v_perm_b32 v27, v28, v27, v29
	v_ashrrev_i32_e32 v28, 4, v49
	v_and_b32_e32 v29, 0x7070707, v28
	v_lshrrev_b32_e32 v28, 1, v28
	v_and_b32_e32 v28, 0x4040404, v28
	v_perm_b32 v30, s24, v94, v29
	v_perm_b32 v29, s25, v95, v29
	v_or_b32_e32 v28, 0x3020100, v28
	v_lshrrev_b32_e32 v31, 1, v49
	v_perm_b32 v28, v30, v29, v28
	v_and_b32_e32 v29, 0x7070707, v49
	v_and_b32_e32 v31, 0x4040404, v31
	v_perm_b32 v30, s24, v94, v29
	v_perm_b32 v29, s25, v95, v29
	v_or_b32_e32 v31, 0x3020100, v31
	v_perm_b32 v29, v30, v29, v31
	v_dot4_i32_i8 v11, v29, v11, 0
	v_dot4_i32_i8 v11, v28, v13, v11
	;; [unrolled: 1-line block ×3, first 2 shown]
	v_ashrrev_i32_e32 v12, 4, v48
	v_and_b32_e32 v13, 0x7070707, v12
	v_lshrrev_b32_e32 v12, 1, v12
	v_and_b32_e32 v12, 0x4040404, v12
	v_perm_b32 v27, s24, v94, v13
	v_perm_b32 v13, s25, v95, v13
	v_or_b32_e32 v12, 0x3020100, v12
	v_lshrrev_b32_e32 v28, 1, v48
	v_perm_b32 v12, v27, v13, v12
	v_and_b32_e32 v13, 0x7070707, v48
	v_and_b32_e32 v28, 0x4040404, v28
	v_perm_b32 v27, s24, v94, v13
	v_perm_b32 v13, s25, v95, v13
	v_or_b32_e32 v28, 0x3020100, v28
	v_perm_b32 v13, v27, v13, v28
	v_ashrrev_i32_e32 v27, 4, v47
	v_and_b32_e32 v28, 0x7070707, v27
	v_lshrrev_b32_e32 v27, 1, v27
	v_and_b32_e32 v27, 0x4040404, v27
	v_perm_b32 v29, s24, v94, v28
	v_perm_b32 v28, s25, v95, v28
	v_or_b32_e32 v27, 0x3020100, v27
	v_lshrrev_b32_e32 v30, 1, v47
	v_perm_b32 v27, v29, v28, v27
	v_and_b32_e32 v28, 0x7070707, v47
	v_and_b32_e32 v30, 0x4040404, v30
	v_perm_b32 v29, s24, v94, v28
	v_perm_b32 v28, s25, v95, v28
	v_or_b32_e32 v30, 0x3020100, v30
	v_perm_b32 v28, v29, v28, v30
	v_dot4_i32_i8 v15, v28, v15, 0
	v_dot4_i32_i8 v15, v27, v17, v15
	;; [unrolled: 1-line block ×4, first 2 shown]
	v_cvt_f32_i32_e32 v10, v10
	v_dot4_i32_i8 v11, v26, v101, v11
	v_cvt_f32_i32_e32 v11, v11
	v_mul_f32_e32 v12, v102, v14
	v_fma_f32 v10, v12, v10, 0
	v_mul_f32_e32 v12, v103, v14
	v_fmac_f32_e32 v10, v12, v11
	v_add_f32_e32 v85, v85, v10
	v_ashrrev_i32_e32 v10, 4, v46
	v_and_b32_e32 v11, 0x7070707, v10
	v_lshrrev_b32_e32 v10, 1, v10
	v_and_b32_e32 v10, 0x4040404, v10
	v_perm_b32 v12, s24, v94, v11
	v_perm_b32 v11, s25, v95, v11
	v_or_b32_e32 v10, 0x3020100, v10
	v_lshrrev_b32_e32 v13, 1, v46
	v_perm_b32 v10, v12, v11, v10
	v_and_b32_e32 v11, 0x7070707, v46
	v_and_b32_e32 v13, 0x4040404, v13
	v_perm_b32 v12, s24, v94, v11
	v_perm_b32 v11, s25, v95, v11
	v_or_b32_e32 v13, 0x3020100, v13
	v_perm_b32 v11, v12, v11, v13
	v_ashrrev_i32_e32 v12, 4, v45
	v_and_b32_e32 v13, 0x7070707, v12
	v_lshrrev_b32_e32 v12, 1, v12
	v_and_b32_e32 v12, 0x4040404, v12
	v_perm_b32 v14, s24, v94, v13
	v_perm_b32 v13, s25, v95, v13
	v_or_b32_e32 v12, 0x3020100, v12
	v_lshrrev_b32_e32 v15, 1, v45
	v_perm_b32 v12, v14, v13, v12
	v_and_b32_e32 v13, 0x7070707, v45
	v_and_b32_e32 v15, 0x4040404, v15
	v_perm_b32 v14, s24, v94, v13
	v_perm_b32 v13, s25, v95, v13
	v_or_b32_e32 v15, 0x3020100, v15
	v_perm_b32 v13, v14, v13, v15
	v_dot4_i32_i8 v13, v13, v3, 0
	v_dot4_i32_i8 v12, v12, v5, v13
	;; [unrolled: 1-line block ×3, first 2 shown]
	v_ashrrev_i32_e32 v12, 4, v44
	v_and_b32_e32 v13, 0x7070707, v12
	v_lshrrev_b32_e32 v12, 1, v12
	v_and_b32_e32 v12, 0x4040404, v12
	v_perm_b32 v14, s24, v94, v13
	v_perm_b32 v13, s25, v95, v13
	v_or_b32_e32 v12, 0x3020100, v12
	v_lshrrev_b32_e32 v15, 1, v44
	v_perm_b32 v12, v14, v13, v12
	v_and_b32_e32 v13, 0x7070707, v44
	v_and_b32_e32 v15, 0x4040404, v15
	v_perm_b32 v14, s24, v94, v13
	v_perm_b32 v13, s25, v95, v13
	v_or_b32_e32 v15, 0x3020100, v15
	v_perm_b32 v13, v14, v13, v15
	v_ashrrev_i32_e32 v14, 4, v43
	v_and_b32_e32 v15, 0x7070707, v14
	v_lshrrev_b32_e32 v14, 1, v14
	v_and_b32_e32 v14, 0x4040404, v14
	v_perm_b32 v16, s24, v94, v15
	v_perm_b32 v15, s25, v95, v15
	v_or_b32_e32 v14, 0x3020100, v14
	v_lshrrev_b32_e32 v17, 1, v43
	v_perm_b32 v14, v16, v15, v14
	v_and_b32_e32 v15, 0x7070707, v43
	v_and_b32_e32 v17, 0x4040404, v17
	v_perm_b32 v16, s24, v94, v15
	v_perm_b32 v15, s25, v95, v15
	v_or_b32_e32 v17, 0x3020100, v17
	v_perm_b32 v15, v16, v15, v17
	v_dot4_i32_i8 v15, v15, v7, 0
	v_dot4_i32_i8 v14, v14, v9, v15
	;; [unrolled: 1-line block ×3, first 2 shown]
	v_cvt_f32_f16_e32 v6, v6
	v_dot4_i32_i8 v12, v12, v2, v13
	v_cvt_f32_i32_e32 v12, v12
	v_dot4_i32_i8 v10, v10, v96, v11
	v_cvt_f32_i32_e32 v10, v10
	v_mul_f32_e32 v11, v99, v6
	v_fma_f32 v11, v11, v12, 0
	v_mul_f32_e32 v12, v100, v6
	v_fmac_f32_e32 v11, v12, v10
	v_ashrrev_i32_e32 v10, 4, v42
	v_add_f32_e32 v86, v86, v11
	v_and_b32_e32 v11, 0x7070707, v10
	v_lshrrev_b32_e32 v10, 1, v10
	v_and_b32_e32 v10, 0x4040404, v10
	v_perm_b32 v12, s24, v94, v11
	v_perm_b32 v11, s25, v95, v11
	v_or_b32_e32 v10, 0x3020100, v10
	v_lshrrev_b32_e32 v13, 1, v42
	v_perm_b32 v10, v12, v11, v10
	v_and_b32_e32 v11, 0x7070707, v42
	v_and_b32_e32 v13, 0x4040404, v13
	v_perm_b32 v12, s24, v94, v11
	v_perm_b32 v11, s25, v95, v11
	v_or_b32_e32 v13, 0x3020100, v13
	v_perm_b32 v11, v12, v11, v13
	v_ashrrev_i32_e32 v12, 4, v41
	v_and_b32_e32 v13, 0x7070707, v12
	v_lshrrev_b32_e32 v12, 1, v12
	v_and_b32_e32 v12, 0x4040404, v12
	v_perm_b32 v14, s24, v94, v13
	v_perm_b32 v13, s25, v95, v13
	v_or_b32_e32 v12, 0x3020100, v12
	v_lshrrev_b32_e32 v15, 1, v41
	v_perm_b32 v12, v14, v13, v12
	v_and_b32_e32 v13, 0x7070707, v41
	v_and_b32_e32 v15, 0x4040404, v15
	v_perm_b32 v14, s24, v94, v13
	v_perm_b32 v13, s25, v95, v13
	v_or_b32_e32 v15, 0x3020100, v15
	v_perm_b32 v13, v14, v13, v15
	v_dot4_i32_i8 v3, v13, v3, 0
	v_dot4_i32_i8 v3, v12, v5, v3
	;; [unrolled: 1-line block ×3, first 2 shown]
	v_ashrrev_i32_e32 v4, 4, v40
	v_and_b32_e32 v5, 0x7070707, v4
	v_lshrrev_b32_e32 v4, 1, v4
	v_and_b32_e32 v4, 0x4040404, v4
	v_perm_b32 v11, s24, v94, v5
	v_perm_b32 v5, s25, v95, v5
	v_or_b32_e32 v4, 0x3020100, v4
	v_lshrrev_b32_e32 v12, 1, v40
	v_perm_b32 v4, v11, v5, v4
	v_and_b32_e32 v5, 0x7070707, v40
	v_and_b32_e32 v12, 0x4040404, v12
	v_perm_b32 v11, s24, v94, v5
	v_perm_b32 v5, s25, v95, v5
	v_or_b32_e32 v12, 0x3020100, v12
	v_perm_b32 v5, v11, v5, v12
	v_ashrrev_i32_e32 v11, 4, v39
	v_and_b32_e32 v12, 0x7070707, v11
	v_lshrrev_b32_e32 v11, 1, v11
	v_and_b32_e32 v11, 0x4040404, v11
	v_perm_b32 v13, s24, v94, v12
	v_perm_b32 v12, s25, v95, v12
	v_or_b32_e32 v11, 0x3020100, v11
	v_lshrrev_b32_e32 v14, 1, v39
	v_perm_b32 v11, v13, v12, v11
	v_and_b32_e32 v12, 0x7070707, v39
	v_and_b32_e32 v14, 0x4040404, v14
	v_perm_b32 v13, s24, v94, v12
	v_perm_b32 v12, s25, v95, v12
	v_or_b32_e32 v14, 0x3020100, v14
	v_perm_b32 v12, v13, v12, v14
	v_dot4_i32_i8 v7, v12, v7, 0
	v_dot4_i32_i8 v7, v11, v9, v7
	;; [unrolled: 1-line block ×4, first 2 shown]
	v_cvt_f32_i32_e32 v2, v2
	v_dot4_i32_i8 v3, v10, v96, v3
	v_cvt_f32_i32_e32 v3, v3
	v_mul_f32_e32 v4, v97, v6
	v_fma_f32 v2, v4, v2, 0
	v_mul_f32_e32 v4, v98, v6
	v_fmac_f32_e32 v2, v4, v3
	v_add_f32_e32 v87, v87, v2
	s_waitcnt vmcnt(0)
	v_ashrrev_i32_e32 v2, 4, v60
	v_and_b32_e32 v3, 0x7070707, v2
	v_lshrrev_b32_e32 v2, 1, v2
	v_and_b32_e32 v2, 0x4040404, v2
	v_perm_b32 v4, s24, v94, v3
	v_perm_b32 v3, s25, v95, v3
	v_or_b32_e32 v2, 0x3020100, v2
	v_lshrrev_b32_e32 v5, 1, v60
	v_perm_b32 v2, v4, v3, v2
	v_and_b32_e32 v3, 0x7070707, v60
	v_and_b32_e32 v5, 0x4040404, v5
	v_perm_b32 v4, s24, v94, v3
	v_perm_b32 v3, s25, v95, v3
	v_or_b32_e32 v5, 0x3020100, v5
	v_perm_b32 v3, v4, v3, v5
	v_ashrrev_i32_e32 v4, 4, v59
	v_and_b32_e32 v5, 0x7070707, v4
	v_lshrrev_b32_e32 v4, 1, v4
	v_and_b32_e32 v4, 0x4040404, v4
	v_perm_b32 v6, s24, v94, v5
	v_perm_b32 v5, s25, v95, v5
	v_or_b32_e32 v4, 0x3020100, v4
	v_lshrrev_b32_e32 v7, 1, v59
	v_perm_b32 v4, v6, v5, v4
	v_and_b32_e32 v5, 0x7070707, v59
	v_and_b32_e32 v7, 0x4040404, v7
	v_perm_b32 v6, s24, v94, v5
	v_perm_b32 v5, s25, v95, v5
	v_or_b32_e32 v7, 0x3020100, v7
	v_perm_b32 v5, v6, v5, v7
	v_dot4_i32_i8 v5, v5, v19, 0
	v_dot4_i32_i8 v4, v4, v21, v5
	;; [unrolled: 1-line block ×3, first 2 shown]
	v_ashrrev_i32_e32 v4, 4, v54
	v_and_b32_e32 v5, 0x7070707, v4
	v_lshrrev_b32_e32 v4, 1, v4
	v_and_b32_e32 v4, 0x4040404, v4
	v_perm_b32 v6, s24, v94, v5
	v_perm_b32 v5, s25, v95, v5
	v_or_b32_e32 v4, 0x3020100, v4
	v_lshrrev_b32_e32 v7, 1, v54
	v_perm_b32 v4, v6, v5, v4
	v_and_b32_e32 v5, 0x7070707, v54
	v_and_b32_e32 v7, 0x4040404, v7
	v_perm_b32 v6, s24, v94, v5
	v_perm_b32 v5, s25, v95, v5
	v_or_b32_e32 v7, 0x3020100, v7
	v_perm_b32 v5, v6, v5, v7
	v_ashrrev_i32_e32 v6, 4, v53
	v_and_b32_e32 v7, 0x7070707, v6
	v_lshrrev_b32_e32 v6, 1, v6
	v_and_b32_e32 v6, 0x4040404, v6
	v_perm_b32 v8, s24, v94, v7
	v_perm_b32 v7, s25, v95, v7
	v_or_b32_e32 v6, 0x3020100, v6
	v_lshrrev_b32_e32 v9, 1, v53
	v_perm_b32 v6, v8, v7, v6
	v_and_b32_e32 v7, 0x7070707, v53
	v_and_b32_e32 v9, 0x4040404, v9
	v_perm_b32 v8, s24, v94, v7
	v_perm_b32 v7, s25, v95, v7
	v_or_b32_e32 v9, 0x3020100, v9
	v_perm_b32 v7, v8, v7, v9
	v_dot4_i32_i8 v7, v7, v23, 0
	v_dot4_i32_i8 v6, v6, v25, v7
	;; [unrolled: 1-line block ×4, first 2 shown]
	v_cvt_f32_i32_e32 v4, v4
	v_dot4_i32_i8 v2, v2, v105, v3
	v_cvt_f32_i32_e32 v2, v2
	v_mul_f32_e32 v3, v61, v22
	v_add_co_u32_e32 v36, vcc, 0x1200, v36
	v_fma_f32 v3, v3, v4, 0
	v_mul_f32_e32 v4, v57, v22
	v_add_u32_e32 v88, 64, v88
	v_addc_co_u32_e32 v37, vcc, 0, v37, vcc
	v_fmac_f32_e32 v3, v4, v2
	v_cmp_le_u32_e32 vcc, s9, v88
	v_add_f32_e32 v80, v80, v3
	v_add_u32_e32 v92, 0x80, v92
	v_add_u32_e32 v93, 0x80, v93
	s_or_b64 s[0:1], vcc, s[0:1]
	v_add_u32_e32 v38, 0x80, v38
	s_andn2_b64 exec, exec, s[0:1]
	s_cbranch_execz .LBB91_99
.LBB91_3:                               ; =>This Inner Loop Header: Depth=1
	v_add_u32_e32 v2, s3, v88
	v_mad_i64_i32 v[10:11], s[12:13], v2, 36, s[20:21]
	v_lshlrev_b32_e32 v12, 2, v89
	global_load_dword v96, v[36:37], off offset:32
	v_add_co_u32_e32 v53, vcc, v10, v12
	v_addc_co_u32_e32 v54, vcc, 0, v11, vcc
	v_add_co_u32_e32 v59, vcc, v10, v90
	v_addc_co_u32_e32 v60, vcc, 0, v11, vcc
	global_load_dwordx2 v[39:40], v[53:54], off offset:4
	global_load_ubyte v13, v[59:60], off
	global_load_dwordx4 v[2:5], v[36:37], off offset:16
	global_load_dwordx4 v[6:9], v[36:37], off
	s_mov_b64 s[12:13], 0
	s_waitcnt vmcnt(2)
	v_cmp_lt_i16_e32 vcc, s19, v13
	s_and_saveexec_b64 s[16:17], vcc
	s_xor_b64 s[16:17], exec, s[16:17]
	s_cbranch_execnz .LBB91_66
; %bb.4:                                ;   in Loop: Header=BB91_3 Depth=1
	s_andn2_saveexec_b64 s[16:17], s[16:17]
	s_cbranch_execnz .LBB91_67
.LBB91_5:                               ;   in Loop: Header=BB91_3 Depth=1
	s_or_b64 exec, exec, s[16:17]
	v_mov_b32_e32 v97, 0
	s_and_saveexec_b64 s[16:17], s[12:13]
	s_cbranch_execz .LBB91_7
.LBB91_6:                               ;   in Loop: Header=BB91_3 Depth=1
	v_and_b32_e32 v13, 0xffff, v13
	v_bfe_u32 v14, v13, 3, 4
	v_and_b32_e32 v13, 7, v13
	v_cvt_f32_ubyte0_e32 v13, v13
	v_fma_f32 v15, v13, s23, 1.0
	v_add_u32_e32 v16, -7, v14
	v_cmp_eq_u32_e32 vcc, 0, v14
	v_cndmask_b32_e32 v13, v15, v13, vcc
	v_cndmask_b32_e64 v14, v16, -9, vcc
	v_ldexp_f32 v13, v13, v14
	v_mul_f32_e32 v97, 0.5, v13
.LBB91_7:                               ;   in Loop: Header=BB91_3 Depth=1
	s_or_b64 exec, exec, s[16:17]
	v_add_co_u32_e32 v61, vcc, v10, v91
	v_addc_co_u32_e32 v62, vcc, 0, v11, vcc
	global_load_ubyte v10, v[61:62], off
	global_load_dwordx2 v[41:42], v[53:54], off offset:12
	s_mov_b64 s[12:13], 0
	s_waitcnt vmcnt(1)
	v_cmp_lt_i16_e32 vcc, s19, v10
	s_and_saveexec_b64 s[16:17], vcc
	s_xor_b64 s[16:17], exec, s[16:17]
	s_cbranch_execnz .LBB91_68
; %bb.8:                                ;   in Loop: Header=BB91_3 Depth=1
	s_andn2_saveexec_b64 s[16:17], s[16:17]
	s_cbranch_execnz .LBB91_69
.LBB91_9:                               ;   in Loop: Header=BB91_3 Depth=1
	s_or_b64 exec, exec, s[16:17]
	v_mov_b32_e32 v98, 0
	s_and_saveexec_b64 s[16:17], s[12:13]
	s_cbranch_execz .LBB91_11
.LBB91_10:                              ;   in Loop: Header=BB91_3 Depth=1
	v_and_b32_e32 v10, 0xffff, v10
	v_bfe_u32 v11, v10, 3, 4
	v_and_b32_e32 v10, 7, v10
	v_cvt_f32_ubyte0_e32 v10, v10
	v_fma_f32 v13, v10, s23, 1.0
	v_add_u32_e32 v14, -7, v11
	v_cmp_eq_u32_e32 vcc, 0, v11
	v_cndmask_b32_e32 v10, v13, v10, vcc
	v_cndmask_b32_e64 v11, v14, -9, vcc
	v_ldexp_f32 v10, v10, v11
	v_mul_f32_e32 v98, 0.5, v10
.LBB91_11:                              ;   in Loop: Header=BB91_3 Depth=1
	s_or_b64 exec, exec, s[16:17]
	v_add_u32_e32 v10, s15, v88
	v_mad_i64_i32 v[10:11], s[12:13], v10, 36, s[20:21]
	s_mov_b64 s[12:13], 0
	v_add_co_u32_e32 v63, vcc, v10, v90
	v_addc_co_u32_e32 v64, vcc, 0, v11, vcc
	v_add_co_u32_e32 v57, vcc, v10, v12
	global_load_ubyte v13, v[63:64], off
	v_addc_co_u32_e32 v58, vcc, 0, v11, vcc
	global_load_dwordx2 v[43:44], v[57:58], off offset:4
	s_waitcnt vmcnt(1)
	v_cmp_lt_i16_e32 vcc, s19, v13
	s_and_saveexec_b64 s[16:17], vcc
	s_xor_b64 s[16:17], exec, s[16:17]
	s_cbranch_execnz .LBB91_70
; %bb.12:                               ;   in Loop: Header=BB91_3 Depth=1
	s_andn2_saveexec_b64 s[16:17], s[16:17]
	s_cbranch_execnz .LBB91_71
.LBB91_13:                              ;   in Loop: Header=BB91_3 Depth=1
	s_or_b64 exec, exec, s[16:17]
	v_mov_b32_e32 v99, 0
	s_and_saveexec_b64 s[16:17], s[12:13]
	s_cbranch_execz .LBB91_15
.LBB91_14:                              ;   in Loop: Header=BB91_3 Depth=1
	v_and_b32_e32 v12, 0xffff, v13
	v_bfe_u32 v13, v12, 3, 4
	v_and_b32_e32 v12, 7, v12
	v_cvt_f32_ubyte0_e32 v12, v12
	v_fma_f32 v14, v12, s23, 1.0
	v_add_u32_e32 v15, -7, v13
	v_cmp_eq_u32_e32 vcc, 0, v13
	v_cndmask_b32_e32 v12, v14, v12, vcc
	v_cndmask_b32_e64 v13, v15, -9, vcc
	v_ldexp_f32 v12, v12, v13
	v_mul_f32_e32 v99, 0.5, v12
.LBB91_15:                              ;   in Loop: Header=BB91_3 Depth=1
	s_or_b64 exec, exec, s[16:17]
	v_add_co_u32_e32 v65, vcc, v10, v91
	v_addc_co_u32_e32 v66, vcc, 0, v11, vcc
	global_load_ubyte v10, v[65:66], off
	global_load_dwordx2 v[45:46], v[57:58], off offset:12
	s_mov_b64 s[12:13], 0
	s_waitcnt vmcnt(1)
	v_cmp_lt_i16_e32 vcc, s19, v10
	s_and_saveexec_b64 s[16:17], vcc
	s_xor_b64 s[16:17], exec, s[16:17]
	s_cbranch_execnz .LBB91_72
; %bb.16:                               ;   in Loop: Header=BB91_3 Depth=1
	s_andn2_saveexec_b64 s[16:17], s[16:17]
	s_cbranch_execnz .LBB91_73
.LBB91_17:                              ;   in Loop: Header=BB91_3 Depth=1
	s_or_b64 exec, exec, s[16:17]
	v_mov_b32_e32 v100, 0
	s_and_saveexec_b64 s[16:17], s[12:13]
	s_cbranch_execz .LBB91_19
.LBB91_18:                              ;   in Loop: Header=BB91_3 Depth=1
	v_and_b32_e32 v10, 0xffff, v10
	v_bfe_u32 v11, v10, 3, 4
	v_and_b32_e32 v10, 7, v10
	v_cvt_f32_ubyte0_e32 v10, v10
	v_fma_f32 v12, v10, s23, 1.0
	v_add_u32_e32 v13, -7, v11
	v_cmp_eq_u32_e32 vcc, 0, v11
	v_cndmask_b32_e32 v10, v12, v10, vcc
	v_cndmask_b32_e64 v11, v13, -9, vcc
	v_ldexp_f32 v10, v10, v11
	v_mul_f32_e32 v100, 0.5, v10
.LBB91_19:                              ;   in Loop: Header=BB91_3 Depth=1
	s_or_b64 exec, exec, s[16:17]
	v_mad_u64_u32 v[19:20], s[12:13], v93, 36, v[34:35]
	global_load_dwordx2 v[47:48], v[53:54], off offset:4
	global_load_ubyte v18, v[59:60], off
	global_load_dword v101, v[19:20], off offset:32
	global_load_dwordx4 v[10:13], v[19:20], off offset:16
	global_load_dwordx4 v[14:17], v[19:20], off
	s_mov_b64 s[12:13], 0
	s_waitcnt vmcnt(3)
	v_cmp_lt_i16_e32 vcc, s19, v18
	s_and_saveexec_b64 s[16:17], vcc
	s_xor_b64 s[16:17], exec, s[16:17]
	s_cbranch_execnz .LBB91_74
; %bb.20:                               ;   in Loop: Header=BB91_3 Depth=1
	s_andn2_saveexec_b64 s[16:17], s[16:17]
	s_cbranch_execnz .LBB91_75
.LBB91_21:                              ;   in Loop: Header=BB91_3 Depth=1
	s_or_b64 exec, exec, s[16:17]
	v_mov_b32_e32 v102, 0
	s_and_saveexec_b64 s[16:17], s[12:13]
	s_cbranch_execz .LBB91_23
.LBB91_22:                              ;   in Loop: Header=BB91_3 Depth=1
	v_and_b32_e32 v18, 0xffff, v18
	v_bfe_u32 v19, v18, 3, 4
	v_and_b32_e32 v18, 7, v18
	v_cvt_f32_ubyte0_e32 v18, v18
	v_fma_f32 v20, v18, s23, 1.0
	v_add_u32_e32 v21, -7, v19
	v_cmp_eq_u32_e32 vcc, 0, v19
	v_cndmask_b32_e32 v18, v20, v18, vcc
	v_cndmask_b32_e64 v19, v21, -9, vcc
	v_ldexp_f32 v18, v18, v19
	v_mul_f32_e32 v102, 0.5, v18
.LBB91_23:                              ;   in Loop: Header=BB91_3 Depth=1
	s_or_b64 exec, exec, s[16:17]
	global_load_ubyte v18, v[61:62], off
	global_load_dwordx2 v[49:50], v[53:54], off offset:12
	s_mov_b64 s[12:13], 0
	s_waitcnt vmcnt(1)
	v_cmp_lt_i16_e32 vcc, s19, v18
	s_and_saveexec_b64 s[16:17], vcc
	s_xor_b64 s[16:17], exec, s[16:17]
	s_cbranch_execnz .LBB91_76
; %bb.24:                               ;   in Loop: Header=BB91_3 Depth=1
	s_andn2_saveexec_b64 s[16:17], s[16:17]
	s_cbranch_execnz .LBB91_77
.LBB91_25:                              ;   in Loop: Header=BB91_3 Depth=1
	s_or_b64 exec, exec, s[16:17]
	v_mov_b32_e32 v103, 0
	s_and_saveexec_b64 s[16:17], s[12:13]
	s_cbranch_execz .LBB91_27
.LBB91_26:                              ;   in Loop: Header=BB91_3 Depth=1
	v_and_b32_e32 v18, 0xffff, v18
	v_bfe_u32 v19, v18, 3, 4
	v_and_b32_e32 v18, 7, v18
	v_cvt_f32_ubyte0_e32 v18, v18
	v_fma_f32 v20, v18, s23, 1.0
	v_add_u32_e32 v21, -7, v19
	v_cmp_eq_u32_e32 vcc, 0, v19
	v_cndmask_b32_e32 v18, v20, v18, vcc
	v_cndmask_b32_e64 v19, v21, -9, vcc
	v_ldexp_f32 v18, v18, v19
	v_mul_f32_e32 v103, 0.5, v18
.LBB91_27:                              ;   in Loop: Header=BB91_3 Depth=1
	s_or_b64 exec, exec, s[16:17]
	global_load_ubyte v18, v[63:64], off
	global_load_dwordx2 v[51:52], v[57:58], off offset:4
	s_mov_b64 s[12:13], 0
	s_waitcnt vmcnt(1)
	v_cmp_lt_i16_e32 vcc, s19, v18
	s_and_saveexec_b64 s[16:17], vcc
	s_xor_b64 s[16:17], exec, s[16:17]
	s_cbranch_execnz .LBB91_78
; %bb.28:                               ;   in Loop: Header=BB91_3 Depth=1
	s_andn2_saveexec_b64 s[16:17], s[16:17]
	s_cbranch_execnz .LBB91_79
.LBB91_29:                              ;   in Loop: Header=BB91_3 Depth=1
	s_or_b64 exec, exec, s[16:17]
	v_mov_b32_e32 v104, 0
	s_and_saveexec_b64 s[16:17], s[12:13]
	s_cbranch_execz .LBB91_31
.LBB91_30:                              ;   in Loop: Header=BB91_3 Depth=1
	v_and_b32_e32 v18, 0xffff, v18
	v_bfe_u32 v19, v18, 3, 4
	v_and_b32_e32 v18, 7, v18
	v_cvt_f32_ubyte0_e32 v18, v18
	v_fma_f32 v20, v18, s23, 1.0
	v_add_u32_e32 v21, -7, v19
	v_cmp_eq_u32_e32 vcc, 0, v19
	v_cndmask_b32_e32 v18, v20, v18, vcc
	v_cndmask_b32_e64 v19, v21, -9, vcc
	v_ldexp_f32 v18, v18, v19
	v_mul_f32_e32 v104, 0.5, v18
.LBB91_31:                              ;   in Loop: Header=BB91_3 Depth=1
	s_or_b64 exec, exec, s[16:17]
	global_load_ubyte v18, v[65:66], off
	global_load_dwordx2 v[55:56], v[57:58], off offset:12
	s_mov_b64 s[12:13], 0
	s_waitcnt vmcnt(1)
	v_cmp_lt_i16_e32 vcc, s19, v18
	s_and_saveexec_b64 s[16:17], vcc
	s_xor_b64 s[16:17], exec, s[16:17]
	s_cbranch_execnz .LBB91_80
; %bb.32:                               ;   in Loop: Header=BB91_3 Depth=1
	s_andn2_saveexec_b64 s[16:17], s[16:17]
	s_cbranch_execnz .LBB91_81
.LBB91_33:                              ;   in Loop: Header=BB91_3 Depth=1
	s_or_b64 exec, exec, s[16:17]
	v_mov_b32_e32 v106, 0
	s_and_saveexec_b64 s[16:17], s[12:13]
	s_cbranch_execz .LBB91_35
.LBB91_34:                              ;   in Loop: Header=BB91_3 Depth=1
	v_and_b32_e32 v18, 0xffff, v18
	v_bfe_u32 v19, v18, 3, 4
	v_and_b32_e32 v18, 7, v18
	v_cvt_f32_ubyte0_e32 v18, v18
	v_fma_f32 v20, v18, s23, 1.0
	v_add_u32_e32 v21, -7, v19
	v_cmp_eq_u32_e32 vcc, 0, v19
	v_cndmask_b32_e32 v18, v20, v18, vcc
	v_cndmask_b32_e64 v19, v21, -9, vcc
	v_ldexp_f32 v18, v18, v19
	v_mul_f32_e32 v106, 0.5, v18
.LBB91_35:                              ;   in Loop: Header=BB91_3 Depth=1
	s_or_b64 exec, exec, s[16:17]
	v_mad_u64_u32 v[19:20], s[12:13], v92, 36, v[34:35]
	global_load_dwordx2 v[67:68], v[53:54], off offset:4
	global_load_ubyte v18, v[59:60], off
	global_load_dword v107, v[19:20], off offset:32
	global_load_dwordx4 v[26:29], v[19:20], off offset:16
	global_load_dwordx4 v[30:33], v[19:20], off
	s_mov_b64 s[12:13], 0
	s_waitcnt vmcnt(3)
	v_cmp_lt_i16_e32 vcc, s19, v18
	s_and_saveexec_b64 s[16:17], vcc
	s_xor_b64 s[16:17], exec, s[16:17]
	s_cbranch_execnz .LBB91_82
; %bb.36:                               ;   in Loop: Header=BB91_3 Depth=1
	s_andn2_saveexec_b64 s[16:17], s[16:17]
	s_cbranch_execnz .LBB91_83
.LBB91_37:                              ;   in Loop: Header=BB91_3 Depth=1
	s_or_b64 exec, exec, s[16:17]
	v_mov_b32_e32 v108, 0
	s_and_saveexec_b64 s[16:17], s[12:13]
	s_cbranch_execz .LBB91_39
.LBB91_38:                              ;   in Loop: Header=BB91_3 Depth=1
	v_and_b32_e32 v18, 0xffff, v18
	v_bfe_u32 v19, v18, 3, 4
	v_and_b32_e32 v18, 7, v18
	v_cvt_f32_ubyte0_e32 v18, v18
	v_fma_f32 v20, v18, s23, 1.0
	v_add_u32_e32 v21, -7, v19
	v_cmp_eq_u32_e32 vcc, 0, v19
	v_cndmask_b32_e32 v18, v20, v18, vcc
	v_cndmask_b32_e64 v19, v21, -9, vcc
	v_ldexp_f32 v18, v18, v19
	v_mul_f32_e32 v108, 0.5, v18
.LBB91_39:                              ;   in Loop: Header=BB91_3 Depth=1
	s_or_b64 exec, exec, s[16:17]
	global_load_ubyte v18, v[61:62], off
	global_load_dwordx2 v[69:70], v[53:54], off offset:12
	s_mov_b64 s[12:13], 0
	s_waitcnt vmcnt(1)
	v_cmp_lt_i16_e32 vcc, s19, v18
	s_and_saveexec_b64 s[16:17], vcc
	s_xor_b64 s[16:17], exec, s[16:17]
	s_cbranch_execnz .LBB91_84
; %bb.40:                               ;   in Loop: Header=BB91_3 Depth=1
	s_andn2_saveexec_b64 s[16:17], s[16:17]
	s_cbranch_execnz .LBB91_85
.LBB91_41:                              ;   in Loop: Header=BB91_3 Depth=1
	s_or_b64 exec, exec, s[16:17]
	v_mov_b32_e32 v109, 0
	s_and_saveexec_b64 s[16:17], s[12:13]
	s_cbranch_execz .LBB91_43
.LBB91_42:                              ;   in Loop: Header=BB91_3 Depth=1
	v_and_b32_e32 v18, 0xffff, v18
	v_bfe_u32 v19, v18, 3, 4
	v_and_b32_e32 v18, 7, v18
	v_cvt_f32_ubyte0_e32 v18, v18
	v_fma_f32 v20, v18, s23, 1.0
	v_add_u32_e32 v21, -7, v19
	v_cmp_eq_u32_e32 vcc, 0, v19
	v_cndmask_b32_e32 v18, v20, v18, vcc
	v_cndmask_b32_e64 v19, v21, -9, vcc
	v_ldexp_f32 v18, v18, v19
	v_mul_f32_e32 v109, 0.5, v18
.LBB91_43:                              ;   in Loop: Header=BB91_3 Depth=1
	s_or_b64 exec, exec, s[16:17]
	global_load_ubyte v18, v[63:64], off
	global_load_dwordx2 v[71:72], v[57:58], off offset:4
	s_mov_b64 s[12:13], 0
	s_waitcnt vmcnt(1)
	v_cmp_lt_i16_e32 vcc, s19, v18
	s_and_saveexec_b64 s[16:17], vcc
	s_xor_b64 s[16:17], exec, s[16:17]
	s_cbranch_execnz .LBB91_86
; %bb.44:                               ;   in Loop: Header=BB91_3 Depth=1
	s_andn2_saveexec_b64 s[16:17], s[16:17]
	s_cbranch_execnz .LBB91_87
.LBB91_45:                              ;   in Loop: Header=BB91_3 Depth=1
	s_or_b64 exec, exec, s[16:17]
	v_mov_b32_e32 v110, 0
	s_and_saveexec_b64 s[16:17], s[12:13]
	s_cbranch_execz .LBB91_47
.LBB91_46:                              ;   in Loop: Header=BB91_3 Depth=1
	v_and_b32_e32 v18, 0xffff, v18
	v_bfe_u32 v19, v18, 3, 4
	v_and_b32_e32 v18, 7, v18
	v_cvt_f32_ubyte0_e32 v18, v18
	v_fma_f32 v20, v18, s23, 1.0
	v_add_u32_e32 v21, -7, v19
	v_cmp_eq_u32_e32 vcc, 0, v19
	v_cndmask_b32_e32 v18, v20, v18, vcc
	v_cndmask_b32_e64 v19, v21, -9, vcc
	v_ldexp_f32 v18, v18, v19
	v_mul_f32_e32 v110, 0.5, v18
.LBB91_47:                              ;   in Loop: Header=BB91_3 Depth=1
	s_or_b64 exec, exec, s[16:17]
	global_load_ubyte v18, v[65:66], off
	global_load_dwordx2 v[73:74], v[57:58], off offset:12
	s_mov_b64 s[12:13], 0
	s_waitcnt vmcnt(1)
	v_cmp_lt_i16_e32 vcc, s19, v18
	s_and_saveexec_b64 s[16:17], vcc
	s_xor_b64 s[16:17], exec, s[16:17]
	s_cbranch_execnz .LBB91_88
; %bb.48:                               ;   in Loop: Header=BB91_3 Depth=1
	s_andn2_saveexec_b64 s[16:17], s[16:17]
	s_cbranch_execnz .LBB91_89
.LBB91_49:                              ;   in Loop: Header=BB91_3 Depth=1
	s_or_b64 exec, exec, s[16:17]
	v_mov_b32_e32 v111, 0
	s_and_saveexec_b64 s[16:17], s[12:13]
	s_cbranch_execz .LBB91_51
.LBB91_50:                              ;   in Loop: Header=BB91_3 Depth=1
	v_and_b32_e32 v18, 0xffff, v18
	v_bfe_u32 v19, v18, 3, 4
	v_and_b32_e32 v18, 7, v18
	v_cvt_f32_ubyte0_e32 v18, v18
	v_fma_f32 v20, v18, s23, 1.0
	v_add_u32_e32 v21, -7, v19
	v_cmp_eq_u32_e32 vcc, 0, v19
	v_cndmask_b32_e32 v18, v20, v18, vcc
	v_cndmask_b32_e64 v19, v21, -9, vcc
	v_ldexp_f32 v18, v18, v19
	v_mul_f32_e32 v111, 0.5, v18
.LBB91_51:                              ;   in Loop: Header=BB91_3 Depth=1
	s_or_b64 exec, exec, s[16:17]
	v_mad_u64_u32 v[112:113], s[12:13], v38, 36, v[34:35]
	global_load_dwordx2 v[75:76], v[53:54], off offset:4
	global_load_ubyte v77, v[59:60], off
	global_load_dword v105, v[112:113], off offset:32
	global_load_dwordx4 v[18:21], v[112:113], off offset:16
	global_load_dwordx4 v[22:25], v[112:113], off
	s_mov_b64 s[12:13], 0
	s_waitcnt vmcnt(3)
	v_cmp_lt_i16_e32 vcc, s19, v77
	s_and_saveexec_b64 s[16:17], vcc
	s_xor_b64 s[16:17], exec, s[16:17]
	s_cbranch_execnz .LBB91_90
; %bb.52:                               ;   in Loop: Header=BB91_3 Depth=1
	s_andn2_saveexec_b64 s[16:17], s[16:17]
	s_cbranch_execnz .LBB91_91
.LBB91_53:                              ;   in Loop: Header=BB91_3 Depth=1
	s_or_b64 exec, exec, s[16:17]
	v_mov_b32_e32 v112, 0
	s_and_saveexec_b64 s[16:17], s[12:13]
	s_cbranch_execz .LBB91_55
.LBB91_54:                              ;   in Loop: Header=BB91_3 Depth=1
	v_and_b32_e32 v59, 0xffff, v77
	v_bfe_u32 v60, v59, 3, 4
	v_and_b32_e32 v59, 7, v59
	v_cvt_f32_ubyte0_e32 v59, v59
	v_fma_f32 v77, v59, s23, 1.0
	v_add_u32_e32 v78, -7, v60
	v_cmp_eq_u32_e32 vcc, 0, v60
	v_cndmask_b32_e32 v59, v77, v59, vcc
	v_cndmask_b32_e64 v60, v78, -9, vcc
	v_ldexp_f32 v59, v59, v60
	v_mul_f32_e32 v112, 0.5, v59
.LBB91_55:                              ;   in Loop: Header=BB91_3 Depth=1
	s_or_b64 exec, exec, s[16:17]
	global_load_ubyte v59, v[61:62], off
	global_load_dwordx2 v[77:78], v[53:54], off offset:12
	s_mov_b64 s[12:13], 0
	s_waitcnt vmcnt(1)
	v_cmp_lt_i16_e32 vcc, s19, v59
	s_and_saveexec_b64 s[16:17], vcc
	s_xor_b64 s[16:17], exec, s[16:17]
	s_cbranch_execnz .LBB91_92
; %bb.56:                               ;   in Loop: Header=BB91_3 Depth=1
	s_andn2_saveexec_b64 s[16:17], s[16:17]
	s_cbranch_execnz .LBB91_93
.LBB91_57:                              ;   in Loop: Header=BB91_3 Depth=1
	s_or_b64 exec, exec, s[16:17]
	v_mov_b32_e32 v62, 0
	s_and_saveexec_b64 s[16:17], s[12:13]
	s_cbranch_execz .LBB91_59
.LBB91_58:                              ;   in Loop: Header=BB91_3 Depth=1
	v_and_b32_e32 v53, 0xffff, v59
	v_bfe_u32 v54, v53, 3, 4
	v_and_b32_e32 v53, 7, v53
	v_cvt_f32_ubyte0_e32 v53, v53
	v_fma_f32 v59, v53, s23, 1.0
	v_add_u32_e32 v60, -7, v54
	v_cmp_eq_u32_e32 vcc, 0, v54
	v_cndmask_b32_e32 v53, v59, v53, vcc
	v_cndmask_b32_e64 v54, v60, -9, vcc
	v_ldexp_f32 v53, v53, v54
	v_mul_f32_e32 v62, 0.5, v53
.LBB91_59:                              ;   in Loop: Header=BB91_3 Depth=1
	s_or_b64 exec, exec, s[16:17]
	global_load_ubyte v59, v[63:64], off
	global_load_dwordx2 v[53:54], v[57:58], off offset:4
	s_mov_b64 s[12:13], 0
	s_waitcnt vmcnt(1)
	v_cmp_lt_i16_e32 vcc, s19, v59
	s_and_saveexec_b64 s[16:17], vcc
	s_xor_b64 s[16:17], exec, s[16:17]
	s_cbranch_execnz .LBB91_94
; %bb.60:                               ;   in Loop: Header=BB91_3 Depth=1
	s_andn2_saveexec_b64 s[16:17], s[16:17]
	s_cbranch_execnz .LBB91_95
.LBB91_61:                              ;   in Loop: Header=BB91_3 Depth=1
	s_or_b64 exec, exec, s[16:17]
	v_mov_b32_e32 v61, 0
	s_and_saveexec_b64 s[16:17], s[12:13]
	s_cbranch_execz .LBB91_63
.LBB91_62:                              ;   in Loop: Header=BB91_3 Depth=1
	v_and_b32_e32 v59, 0xffff, v59
	v_bfe_u32 v60, v59, 3, 4
	v_and_b32_e32 v59, 7, v59
	v_cvt_f32_ubyte0_e32 v59, v59
	v_fma_f32 v61, v59, s23, 1.0
	v_add_u32_e32 v63, -7, v60
	v_cmp_eq_u32_e32 vcc, 0, v60
	v_cndmask_b32_e32 v59, v61, v59, vcc
	v_cndmask_b32_e64 v60, v63, -9, vcc
	v_ldexp_f32 v59, v59, v60
	v_mul_f32_e32 v61, 0.5, v59
.LBB91_63:                              ;   in Loop: Header=BB91_3 Depth=1
	s_or_b64 exec, exec, s[16:17]
	global_load_ubyte v63, v[65:66], off
	global_load_dwordx2 v[59:60], v[57:58], off offset:12
	s_mov_b64 s[12:13], 0
	s_waitcnt vmcnt(1)
	v_cmp_lt_i16_e32 vcc, s19, v63
	s_and_saveexec_b64 s[16:17], vcc
	s_xor_b64 s[16:17], exec, s[16:17]
	s_cbranch_execnz .LBB91_96
; %bb.64:                               ;   in Loop: Header=BB91_3 Depth=1
	s_andn2_saveexec_b64 s[16:17], s[16:17]
	s_cbranch_execnz .LBB91_97
.LBB91_65:                              ;   in Loop: Header=BB91_3 Depth=1
	s_or_b64 exec, exec, s[16:17]
	v_mov_b32_e32 v57, 0
	s_and_saveexec_b64 s[16:17], s[12:13]
	s_cbranch_execz .LBB91_2
	s_branch .LBB91_98
.LBB91_66:                              ;   in Loop: Header=BB91_3 Depth=1
	v_cmp_ne_u16_e32 vcc, s22, v13
	s_and_b64 s[12:13], vcc, exec
	s_andn2_saveexec_b64 s[16:17], s[16:17]
	s_cbranch_execz .LBB91_5
.LBB91_67:                              ;   in Loop: Header=BB91_3 Depth=1
	v_cmp_ne_u16_e32 vcc, 0, v13
	s_andn2_b64 s[12:13], s[12:13], exec
	s_and_b64 s[26:27], vcc, exec
	s_or_b64 s[12:13], s[12:13], s[26:27]
	s_or_b64 exec, exec, s[16:17]
	v_mov_b32_e32 v97, 0
	s_and_saveexec_b64 s[16:17], s[12:13]
	s_cbranch_execnz .LBB91_6
	s_branch .LBB91_7
.LBB91_68:                              ;   in Loop: Header=BB91_3 Depth=1
	v_cmp_ne_u16_e32 vcc, s22, v10
	s_and_b64 s[12:13], vcc, exec
	s_andn2_saveexec_b64 s[16:17], s[16:17]
	s_cbranch_execz .LBB91_9
.LBB91_69:                              ;   in Loop: Header=BB91_3 Depth=1
	v_cmp_ne_u16_e32 vcc, 0, v10
	s_andn2_b64 s[12:13], s[12:13], exec
	s_and_b64 s[26:27], vcc, exec
	s_or_b64 s[12:13], s[12:13], s[26:27]
	s_or_b64 exec, exec, s[16:17]
	v_mov_b32_e32 v98, 0
	s_and_saveexec_b64 s[16:17], s[12:13]
	s_cbranch_execnz .LBB91_10
	s_branch .LBB91_11
.LBB91_70:                              ;   in Loop: Header=BB91_3 Depth=1
	v_cmp_ne_u16_e32 vcc, s22, v13
	s_and_b64 s[12:13], vcc, exec
	s_andn2_saveexec_b64 s[16:17], s[16:17]
	s_cbranch_execz .LBB91_13
.LBB91_71:                              ;   in Loop: Header=BB91_3 Depth=1
	v_cmp_ne_u16_e32 vcc, 0, v13
	s_andn2_b64 s[12:13], s[12:13], exec
	s_and_b64 s[26:27], vcc, exec
	s_or_b64 s[12:13], s[12:13], s[26:27]
	s_or_b64 exec, exec, s[16:17]
	v_mov_b32_e32 v99, 0
	s_and_saveexec_b64 s[16:17], s[12:13]
	s_cbranch_execnz .LBB91_14
	s_branch .LBB91_15
.LBB91_72:                              ;   in Loop: Header=BB91_3 Depth=1
	v_cmp_ne_u16_e32 vcc, s22, v10
	s_and_b64 s[12:13], vcc, exec
	s_andn2_saveexec_b64 s[16:17], s[16:17]
	s_cbranch_execz .LBB91_17
.LBB91_73:                              ;   in Loop: Header=BB91_3 Depth=1
	v_cmp_ne_u16_e32 vcc, 0, v10
	s_andn2_b64 s[12:13], s[12:13], exec
	s_and_b64 s[26:27], vcc, exec
	s_or_b64 s[12:13], s[12:13], s[26:27]
	s_or_b64 exec, exec, s[16:17]
	v_mov_b32_e32 v100, 0
	s_and_saveexec_b64 s[16:17], s[12:13]
	s_cbranch_execnz .LBB91_18
	s_branch .LBB91_19
.LBB91_74:                              ;   in Loop: Header=BB91_3 Depth=1
	v_cmp_ne_u16_e32 vcc, s22, v18
	s_and_b64 s[12:13], vcc, exec
	s_andn2_saveexec_b64 s[16:17], s[16:17]
	s_cbranch_execz .LBB91_21
.LBB91_75:                              ;   in Loop: Header=BB91_3 Depth=1
	v_cmp_ne_u16_e32 vcc, 0, v18
	s_andn2_b64 s[12:13], s[12:13], exec
	s_and_b64 s[26:27], vcc, exec
	s_or_b64 s[12:13], s[12:13], s[26:27]
	s_or_b64 exec, exec, s[16:17]
	v_mov_b32_e32 v102, 0
	s_and_saveexec_b64 s[16:17], s[12:13]
	s_cbranch_execnz .LBB91_22
	s_branch .LBB91_23
.LBB91_76:                              ;   in Loop: Header=BB91_3 Depth=1
	v_cmp_ne_u16_e32 vcc, s22, v18
	s_and_b64 s[12:13], vcc, exec
	s_andn2_saveexec_b64 s[16:17], s[16:17]
	s_cbranch_execz .LBB91_25
.LBB91_77:                              ;   in Loop: Header=BB91_3 Depth=1
	v_cmp_ne_u16_e32 vcc, 0, v18
	s_andn2_b64 s[12:13], s[12:13], exec
	s_and_b64 s[26:27], vcc, exec
	s_or_b64 s[12:13], s[12:13], s[26:27]
	s_or_b64 exec, exec, s[16:17]
	v_mov_b32_e32 v103, 0
	s_and_saveexec_b64 s[16:17], s[12:13]
	s_cbranch_execnz .LBB91_26
	s_branch .LBB91_27
.LBB91_78:                              ;   in Loop: Header=BB91_3 Depth=1
	v_cmp_ne_u16_e32 vcc, s22, v18
	s_and_b64 s[12:13], vcc, exec
	s_andn2_saveexec_b64 s[16:17], s[16:17]
	s_cbranch_execz .LBB91_29
.LBB91_79:                              ;   in Loop: Header=BB91_3 Depth=1
	v_cmp_ne_u16_e32 vcc, 0, v18
	s_andn2_b64 s[12:13], s[12:13], exec
	s_and_b64 s[26:27], vcc, exec
	s_or_b64 s[12:13], s[12:13], s[26:27]
	s_or_b64 exec, exec, s[16:17]
	v_mov_b32_e32 v104, 0
	s_and_saveexec_b64 s[16:17], s[12:13]
	s_cbranch_execnz .LBB91_30
	s_branch .LBB91_31
.LBB91_80:                              ;   in Loop: Header=BB91_3 Depth=1
	v_cmp_ne_u16_e32 vcc, s22, v18
	s_and_b64 s[12:13], vcc, exec
	s_andn2_saveexec_b64 s[16:17], s[16:17]
	s_cbranch_execz .LBB91_33
.LBB91_81:                              ;   in Loop: Header=BB91_3 Depth=1
	v_cmp_ne_u16_e32 vcc, 0, v18
	s_andn2_b64 s[12:13], s[12:13], exec
	s_and_b64 s[26:27], vcc, exec
	s_or_b64 s[12:13], s[12:13], s[26:27]
	s_or_b64 exec, exec, s[16:17]
	v_mov_b32_e32 v106, 0
	s_and_saveexec_b64 s[16:17], s[12:13]
	s_cbranch_execnz .LBB91_34
	s_branch .LBB91_35
.LBB91_82:                              ;   in Loop: Header=BB91_3 Depth=1
	v_cmp_ne_u16_e32 vcc, s22, v18
	s_and_b64 s[12:13], vcc, exec
	s_andn2_saveexec_b64 s[16:17], s[16:17]
	s_cbranch_execz .LBB91_37
.LBB91_83:                              ;   in Loop: Header=BB91_3 Depth=1
	v_cmp_ne_u16_e32 vcc, 0, v18
	s_andn2_b64 s[12:13], s[12:13], exec
	s_and_b64 s[26:27], vcc, exec
	s_or_b64 s[12:13], s[12:13], s[26:27]
	s_or_b64 exec, exec, s[16:17]
	v_mov_b32_e32 v108, 0
	s_and_saveexec_b64 s[16:17], s[12:13]
	s_cbranch_execnz .LBB91_38
	s_branch .LBB91_39
.LBB91_84:                              ;   in Loop: Header=BB91_3 Depth=1
	v_cmp_ne_u16_e32 vcc, s22, v18
	s_and_b64 s[12:13], vcc, exec
	s_andn2_saveexec_b64 s[16:17], s[16:17]
	s_cbranch_execz .LBB91_41
.LBB91_85:                              ;   in Loop: Header=BB91_3 Depth=1
	v_cmp_ne_u16_e32 vcc, 0, v18
	s_andn2_b64 s[12:13], s[12:13], exec
	s_and_b64 s[26:27], vcc, exec
	s_or_b64 s[12:13], s[12:13], s[26:27]
	s_or_b64 exec, exec, s[16:17]
	v_mov_b32_e32 v109, 0
	s_and_saveexec_b64 s[16:17], s[12:13]
	s_cbranch_execnz .LBB91_42
	s_branch .LBB91_43
.LBB91_86:                              ;   in Loop: Header=BB91_3 Depth=1
	v_cmp_ne_u16_e32 vcc, s22, v18
	s_and_b64 s[12:13], vcc, exec
	s_andn2_saveexec_b64 s[16:17], s[16:17]
	s_cbranch_execz .LBB91_45
.LBB91_87:                              ;   in Loop: Header=BB91_3 Depth=1
	v_cmp_ne_u16_e32 vcc, 0, v18
	s_andn2_b64 s[12:13], s[12:13], exec
	s_and_b64 s[26:27], vcc, exec
	s_or_b64 s[12:13], s[12:13], s[26:27]
	s_or_b64 exec, exec, s[16:17]
	v_mov_b32_e32 v110, 0
	s_and_saveexec_b64 s[16:17], s[12:13]
	s_cbranch_execnz .LBB91_46
	s_branch .LBB91_47
.LBB91_88:                              ;   in Loop: Header=BB91_3 Depth=1
	v_cmp_ne_u16_e32 vcc, s22, v18
	s_and_b64 s[12:13], vcc, exec
	s_andn2_saveexec_b64 s[16:17], s[16:17]
	s_cbranch_execz .LBB91_49
.LBB91_89:                              ;   in Loop: Header=BB91_3 Depth=1
	v_cmp_ne_u16_e32 vcc, 0, v18
	s_andn2_b64 s[12:13], s[12:13], exec
	s_and_b64 s[26:27], vcc, exec
	s_or_b64 s[12:13], s[12:13], s[26:27]
	s_or_b64 exec, exec, s[16:17]
	v_mov_b32_e32 v111, 0
	s_and_saveexec_b64 s[16:17], s[12:13]
	s_cbranch_execnz .LBB91_50
	s_branch .LBB91_51
.LBB91_90:                              ;   in Loop: Header=BB91_3 Depth=1
	v_cmp_ne_u16_e32 vcc, s22, v77
	s_and_b64 s[12:13], vcc, exec
	s_andn2_saveexec_b64 s[16:17], s[16:17]
	s_cbranch_execz .LBB91_53
.LBB91_91:                              ;   in Loop: Header=BB91_3 Depth=1
	v_cmp_ne_u16_e32 vcc, 0, v77
	s_andn2_b64 s[12:13], s[12:13], exec
	s_and_b64 s[26:27], vcc, exec
	s_or_b64 s[12:13], s[12:13], s[26:27]
	s_or_b64 exec, exec, s[16:17]
	v_mov_b32_e32 v112, 0
	s_and_saveexec_b64 s[16:17], s[12:13]
	s_cbranch_execnz .LBB91_54
	s_branch .LBB91_55
.LBB91_92:                              ;   in Loop: Header=BB91_3 Depth=1
	v_cmp_ne_u16_e32 vcc, s22, v59
	s_and_b64 s[12:13], vcc, exec
	s_andn2_saveexec_b64 s[16:17], s[16:17]
	s_cbranch_execz .LBB91_57
.LBB91_93:                              ;   in Loop: Header=BB91_3 Depth=1
	v_cmp_ne_u16_e32 vcc, 0, v59
	s_andn2_b64 s[12:13], s[12:13], exec
	s_and_b64 s[26:27], vcc, exec
	s_or_b64 s[12:13], s[12:13], s[26:27]
	s_or_b64 exec, exec, s[16:17]
	v_mov_b32_e32 v62, 0
	s_and_saveexec_b64 s[16:17], s[12:13]
	s_cbranch_execnz .LBB91_58
	s_branch .LBB91_59
.LBB91_94:                              ;   in Loop: Header=BB91_3 Depth=1
	v_cmp_ne_u16_e32 vcc, s22, v59
	s_and_b64 s[12:13], vcc, exec
	s_andn2_saveexec_b64 s[16:17], s[16:17]
	s_cbranch_execz .LBB91_61
.LBB91_95:                              ;   in Loop: Header=BB91_3 Depth=1
	v_cmp_ne_u16_e32 vcc, 0, v59
	s_andn2_b64 s[12:13], s[12:13], exec
	s_and_b64 s[26:27], vcc, exec
	s_or_b64 s[12:13], s[12:13], s[26:27]
	s_or_b64 exec, exec, s[16:17]
	v_mov_b32_e32 v61, 0
	s_and_saveexec_b64 s[16:17], s[12:13]
	s_cbranch_execnz .LBB91_62
	s_branch .LBB91_63
.LBB91_96:                              ;   in Loop: Header=BB91_3 Depth=1
	v_cmp_ne_u16_e32 vcc, s22, v63
	s_and_b64 s[12:13], vcc, exec
	s_andn2_saveexec_b64 s[16:17], s[16:17]
	s_cbranch_execz .LBB91_65
.LBB91_97:                              ;   in Loop: Header=BB91_3 Depth=1
	v_cmp_ne_u16_e32 vcc, 0, v63
	s_andn2_b64 s[12:13], s[12:13], exec
	s_and_b64 s[26:27], vcc, exec
	s_or_b64 s[12:13], s[12:13], s[26:27]
	s_or_b64 exec, exec, s[16:17]
	v_mov_b32_e32 v57, 0
	s_and_saveexec_b64 s[16:17], s[12:13]
	s_cbranch_execz .LBB91_2
.LBB91_98:                              ;   in Loop: Header=BB91_3 Depth=1
	v_and_b32_e32 v57, 0xffff, v63
	v_bfe_u32 v58, v57, 3, 4
	v_and_b32_e32 v57, 7, v57
	v_cvt_f32_ubyte0_e32 v57, v57
	v_fma_f32 v63, v57, s23, 1.0
	v_add_u32_e32 v64, -7, v58
	v_cmp_eq_u32_e32 vcc, 0, v58
	v_cndmask_b32_e32 v57, v63, v57, vcc
	v_cndmask_b32_e64 v58, v64, -9, vcc
	v_ldexp_f32 v57, v57, v58
	v_mul_f32_e32 v57, 0.5, v57
	s_branch .LBB91_2
.LBB91_99:
	s_or_b64 exec, exec, s[0:1]
.LBB91_100:
	s_or_b64 exec, exec, s[10:11]
	v_cmp_eq_u32_e32 vcc, 0, v1
	v_cmp_ne_u32_e64 s[0:1], 0, v1
	s_and_saveexec_b64 s[10:11], s[0:1]
	s_cbranch_execz .LBB91_102
; %bb.101:
	v_lshl_or_b32 v1, v1, 11, v79
	v_add_u32_e32 v1, 0xfffff800, v1
	ds_write2st64_b32 v1, v87, v86 offset1:1
	ds_write2st64_b32 v1, v85, v84 offset0:2 offset1:3
	ds_write2st64_b32 v1, v83, v82 offset0:4 offset1:5
	;; [unrolled: 1-line block ×3, first 2 shown]
.LBB91_102:
	s_or_b64 exec, exec, s[10:11]
	s_waitcnt lgkmcnt(0)
	s_barrier
	s_and_saveexec_b64 s[0:1], vcc
	s_cbranch_execz .LBB91_111
; %bb.103:
	v_mbcnt_lo_u32_b32 v1, -1, 0
	v_mbcnt_hi_u32_b32 v6, -1, v1
	ds_read2st64_b32 v[4:5], v79 offset1:1
	v_and_b32_e32 v1, 64, v6
	v_add_u32_e32 v7, 64, v1
	v_xor_b32_e32 v1, 32, v6
	v_cmp_lt_i32_e32 vcc, v1, v7
	v_cndmask_b32_e32 v1, v6, v1, vcc
	v_lshlrev_b32_e32 v1, 2, v1
	s_waitcnt lgkmcnt(0)
	v_add_f32_e32 v9, v4, v87
	v_add_f32_e32 v5, v5, v86
	ds_bpermute_b32 v10, v1, v9
	ds_bpermute_b32 v11, v1, v5
	v_xor_b32_e32 v2, 16, v6
	v_cmp_lt_i32_e32 vcc, v2, v7
	v_cndmask_b32_e32 v2, v6, v2, vcc
	v_lshlrev_b32_e32 v2, 2, v2
	s_waitcnt lgkmcnt(1)
	v_add_f32_e32 v9, v9, v10
	s_waitcnt lgkmcnt(0)
	v_add_f32_e32 v5, v5, v11
	ds_bpermute_b32 v10, v2, v9
	ds_bpermute_b32 v11, v2, v5
	v_xor_b32_e32 v3, 8, v6
	v_cmp_lt_i32_e32 vcc, v3, v7
	v_cndmask_b32_e32 v3, v6, v3, vcc
	v_lshlrev_b32_e32 v3, 2, v3
	s_waitcnt lgkmcnt(1)
	v_add_f32_e32 v9, v9, v10
	s_waitcnt lgkmcnt(0)
	;; [unrolled: 10-line block ×3, first 2 shown]
	v_add_f32_e32 v11, v11, v12
	ds_bpermute_b32 v10, v4, v9
	ds_bpermute_b32 v12, v4, v11
	v_xor_b32_e32 v8, 2, v6
	v_cmp_lt_i32_e32 vcc, v8, v7
	v_cndmask_b32_e32 v8, v6, v8, vcc
	v_lshlrev_b32_e32 v5, 2, v8
	v_xor_b32_e32 v8, 1, v6
	v_cmp_lt_i32_e32 vcc, v8, v7
	s_waitcnt lgkmcnt(1)
	v_add_f32_e32 v7, v9, v10
	s_waitcnt lgkmcnt(0)
	v_add_f32_e32 v10, v11, v12
	ds_bpermute_b32 v9, v5, v7
	ds_bpermute_b32 v11, v5, v10
	s_load_dwordx2 s[0:1], s[4:5], 0x38
	v_cndmask_b32_e32 v6, v6, v8, vcc
	s_mul_i32 s4, s14, s7
	v_lshlrev_b32_e32 v8, 2, v6
	s_waitcnt lgkmcnt(0)
	v_add_f32_e32 v6, v7, v9
	v_add_f32_e32 v9, v10, v11
	s_mul_i32 s3, s18, s8
	s_add_i32 s4, s4, s6
	ds_bpermute_b32 v7, v8, v6
	ds_bpermute_b32 v10, v8, v9
	s_add_i32 s4, s4, s3
	s_mov_b32 s5, 0
	s_lshl_b64 s[4:5], s[4:5], 2
	s_add_u32 s4, s0, s4
	v_add_u32_e32 v11, s6, v0
	s_addc_u32 s5, s1, s5
	v_cmp_gt_u32_e32 vcc, 2, v0
	v_cmp_gt_u32_e64 s[0:1], s2, v11
	s_and_b64 s[0:1], vcc, s[0:1]
	s_waitcnt lgkmcnt(1)
	v_add_f32_e32 v6, v6, v7
	s_waitcnt lgkmcnt(0)
	v_add_f32_e32 v7, v9, v10
	s_and_saveexec_b64 s[6:7], s[0:1]
	s_cbranch_execz .LBB91_105
; %bb.104:
	v_cmp_eq_u32_e32 vcc, 1, v0
	v_cndmask_b32_e32 v9, v6, v7, vcc
	v_cmp_eq_u32_e32 vcc, 2, v0
	v_cndmask_b32_e32 v9, v9, v85, vcc
	;; [unrolled: 2-line block ×7, first 2 shown]
	global_store_dword v79, v9, s[4:5]
.LBB91_105:
	s_or_b64 exec, exec, s[6:7]
	ds_read2st64_b32 v[9:10], v79 offset0:2 offset1:3
	s_waitcnt lgkmcnt(0)
	v_add_f32_e32 v9, v9, v85
	v_add_f32_e32 v10, v10, v84
	ds_bpermute_b32 v11, v1, v9
	ds_bpermute_b32 v12, v1, v10
	s_waitcnt lgkmcnt(1)
	v_add_f32_e32 v9, v9, v11
	s_waitcnt lgkmcnt(0)
	v_add_f32_e32 v10, v10, v12
	ds_bpermute_b32 v11, v2, v9
	ds_bpermute_b32 v12, v2, v10
	s_waitcnt lgkmcnt(1)
	v_add_f32_e32 v9, v9, v11
	s_waitcnt lgkmcnt(0)
	v_add_f32_e32 v10, v10, v12
	ds_bpermute_b32 v11, v3, v9
	ds_bpermute_b32 v12, v3, v10
	s_waitcnt lgkmcnt(1)
	v_add_f32_e32 v9, v9, v11
	s_waitcnt lgkmcnt(0)
	v_add_f32_e32 v10, v10, v12
	ds_bpermute_b32 v11, v4, v9
	ds_bpermute_b32 v12, v4, v10
	s_waitcnt lgkmcnt(1)
	v_add_f32_e32 v9, v9, v11
	s_waitcnt lgkmcnt(0)
	v_add_f32_e32 v10, v10, v12
	ds_bpermute_b32 v11, v5, v9
	ds_bpermute_b32 v12, v5, v10
	s_waitcnt lgkmcnt(1)
	v_add_f32_e32 v9, v9, v11
	s_waitcnt lgkmcnt(0)
	v_add_f32_e32 v11, v10, v12
	ds_bpermute_b32 v10, v8, v9
	ds_bpermute_b32 v12, v8, v11
	s_waitcnt lgkmcnt(1)
	v_add_f32_e32 v10, v9, v10
	s_waitcnt lgkmcnt(0)
	v_add_f32_e32 v9, v11, v12
	s_and_saveexec_b64 s[6:7], s[0:1]
	s_cbranch_execz .LBB91_107
; %bb.106:
	v_add_u32_e32 v11, 2, v0
	v_cmp_eq_u32_e32 vcc, 1, v11
	v_cndmask_b32_e32 v12, v6, v7, vcc
	v_cmp_eq_u32_e32 vcc, 2, v11
	v_cndmask_b32_e32 v12, v12, v10, vcc
	;; [unrolled: 2-line block ×7, first 2 shown]
	v_add_u32_e32 v11, s2, v0
	v_mov_b32_e32 v12, 0
	v_lshlrev_b64 v[11:12], 2, v[11:12]
	v_mov_b32_e32 v14, s5
	v_add_co_u32_e32 v11, vcc, s4, v11
	v_addc_co_u32_e32 v12, vcc, v14, v12, vcc
	global_store_dword v[11:12], v13, off
.LBB91_107:
	s_or_b64 exec, exec, s[6:7]
	ds_read2st64_b32 v[11:12], v79 offset0:4 offset1:5
	s_waitcnt lgkmcnt(0)
	v_add_f32_e32 v11, v11, v83
	v_add_f32_e32 v12, v12, v82
	ds_bpermute_b32 v13, v1, v11
	ds_bpermute_b32 v14, v1, v12
	s_waitcnt lgkmcnt(1)
	v_add_f32_e32 v11, v11, v13
	s_waitcnt lgkmcnt(0)
	v_add_f32_e32 v12, v12, v14
	ds_bpermute_b32 v13, v2, v11
	ds_bpermute_b32 v14, v2, v12
	s_waitcnt lgkmcnt(1)
	v_add_f32_e32 v11, v11, v13
	s_waitcnt lgkmcnt(0)
	;; [unrolled: 6-line block ×6, first 2 shown]
	v_add_f32_e32 v11, v13, v14
	s_and_saveexec_b64 s[6:7], s[0:1]
	s_cbranch_execz .LBB91_109
; %bb.108:
	v_add_u32_e32 v13, 4, v0
	v_cmp_eq_u32_e32 vcc, 1, v13
	v_cndmask_b32_e32 v14, v6, v7, vcc
	v_cmp_eq_u32_e32 vcc, 2, v13
	v_cndmask_b32_e32 v14, v14, v10, vcc
	;; [unrolled: 2-line block ×7, first 2 shown]
	v_lshl_or_b32 v13, s2, 1, v0
	v_mov_b32_e32 v14, 0
	v_lshlrev_b64 v[13:14], 2, v[13:14]
	v_mov_b32_e32 v16, s5
	v_add_co_u32_e32 v13, vcc, s4, v13
	v_addc_co_u32_e32 v14, vcc, v16, v14, vcc
	global_store_dword v[13:14], v15, off
.LBB91_109:
	s_or_b64 exec, exec, s[6:7]
	ds_read2st64_b32 v[13:14], v79 offset0:6 offset1:7
	s_waitcnt lgkmcnt(0)
	v_add_f32_e32 v13, v13, v81
	v_add_f32_e32 v14, v14, v80
	ds_bpermute_b32 v15, v1, v13
	ds_bpermute_b32 v1, v1, v14
	s_waitcnt lgkmcnt(1)
	v_add_f32_e32 v13, v13, v15
	s_waitcnt lgkmcnt(0)
	v_add_f32_e32 v1, v14, v1
	ds_bpermute_b32 v14, v2, v13
	ds_bpermute_b32 v2, v2, v1
	s_waitcnt lgkmcnt(1)
	v_add_f32_e32 v13, v13, v14
	s_waitcnt lgkmcnt(0)
	;; [unrolled: 6-line block ×5, first 2 shown]
	v_add_f32_e32 v2, v3, v4
	ds_bpermute_b32 v3, v8, v1
	ds_bpermute_b32 v4, v8, v2
	s_and_b64 exec, exec, s[0:1]
	s_cbranch_execz .LBB91_111
; %bb.110:
	s_waitcnt lgkmcnt(1)
	v_add_f32_e32 v1, v1, v3
	v_add_u32_e32 v3, 6, v0
	v_cmp_eq_u32_e32 vcc, 1, v3
	s_waitcnt lgkmcnt(0)
	v_add_f32_e32 v2, v2, v4
	v_cndmask_b32_e32 v4, v6, v7, vcc
	v_cmp_eq_u32_e32 vcc, 2, v3
	v_cndmask_b32_e32 v4, v4, v10, vcc
	v_cmp_eq_u32_e32 vcc, 3, v3
	;; [unrolled: 2-line block ×5, first 2 shown]
	v_cndmask_b32_e32 v4, v4, v1, vcc
	v_mad_u64_u32 v[0:1], s[0:1], s2, 3, v[0:1]
	v_mov_b32_e32 v1, 0
	v_cmp_eq_u32_e32 vcc, 7, v3
	v_lshlrev_b64 v[0:1], 2, v[0:1]
	v_cndmask_b32_e32 v2, v4, v2, vcc
	v_mov_b32_e32 v3, s5
	v_add_co_u32_e32 v0, vcc, s4, v0
	v_addc_co_u32_e32 v1, vcc, v3, v1, vcc
	global_store_dword v[0:1], v2, off
.LBB91_111:
	s_endpgm
	.section	.rodata,"a",@progbits
	.p2align	6, 0x0
	.amdhsa_kernel _ZL13mul_mat_vec_qIL9ggml_type40ELi4ELb0ELb0EEvPKvS2_PKi31ggml_cuda_mm_fusion_args_devicePfj15HIP_vector_typeIjLj3EEjjjS8_jjjS8_jjjj
		.amdhsa_group_segment_fixed_size 2048
		.amdhsa_private_segment_fixed_size 0
		.amdhsa_kernarg_size 144
		.amdhsa_user_sgpr_count 6
		.amdhsa_user_sgpr_private_segment_buffer 1
		.amdhsa_user_sgpr_dispatch_ptr 0
		.amdhsa_user_sgpr_queue_ptr 0
		.amdhsa_user_sgpr_kernarg_segment_ptr 1
		.amdhsa_user_sgpr_dispatch_id 0
		.amdhsa_user_sgpr_flat_scratch_init 0
		.amdhsa_user_sgpr_private_segment_size 0
		.amdhsa_uses_dynamic_stack 0
		.amdhsa_system_sgpr_private_segment_wavefront_offset 0
		.amdhsa_system_sgpr_workgroup_id_x 1
		.amdhsa_system_sgpr_workgroup_id_y 1
		.amdhsa_system_sgpr_workgroup_id_z 1
		.amdhsa_system_sgpr_workgroup_info 0
		.amdhsa_system_vgpr_workitem_id 1
		.amdhsa_next_free_vgpr 114
		.amdhsa_next_free_sgpr 61
		.amdhsa_reserve_vcc 1
		.amdhsa_reserve_flat_scratch 0
		.amdhsa_float_round_mode_32 0
		.amdhsa_float_round_mode_16_64 0
		.amdhsa_float_denorm_mode_32 3
		.amdhsa_float_denorm_mode_16_64 3
		.amdhsa_dx10_clamp 1
		.amdhsa_ieee_mode 1
		.amdhsa_fp16_overflow 0
		.amdhsa_exception_fp_ieee_invalid_op 0
		.amdhsa_exception_fp_denorm_src 0
		.amdhsa_exception_fp_ieee_div_zero 0
		.amdhsa_exception_fp_ieee_overflow 0
		.amdhsa_exception_fp_ieee_underflow 0
		.amdhsa_exception_fp_ieee_inexact 0
		.amdhsa_exception_int_div_zero 0
	.end_amdhsa_kernel
	.section	.text._ZL13mul_mat_vec_qIL9ggml_type40ELi4ELb0ELb0EEvPKvS2_PKi31ggml_cuda_mm_fusion_args_devicePfj15HIP_vector_typeIjLj3EEjjjS8_jjjS8_jjjj,"axG",@progbits,_ZL13mul_mat_vec_qIL9ggml_type40ELi4ELb0ELb0EEvPKvS2_PKi31ggml_cuda_mm_fusion_args_devicePfj15HIP_vector_typeIjLj3EEjjjS8_jjjS8_jjjj,comdat
.Lfunc_end91:
	.size	_ZL13mul_mat_vec_qIL9ggml_type40ELi4ELb0ELb0EEvPKvS2_PKi31ggml_cuda_mm_fusion_args_devicePfj15HIP_vector_typeIjLj3EEjjjS8_jjjS8_jjjj, .Lfunc_end91-_ZL13mul_mat_vec_qIL9ggml_type40ELi4ELb0ELb0EEvPKvS2_PKi31ggml_cuda_mm_fusion_args_devicePfj15HIP_vector_typeIjLj3EEjjjS8_jjjS8_jjjj
                                        ; -- End function
	.set _ZL13mul_mat_vec_qIL9ggml_type40ELi4ELb0ELb0EEvPKvS2_PKi31ggml_cuda_mm_fusion_args_devicePfj15HIP_vector_typeIjLj3EEjjjS8_jjjS8_jjjj.num_vgpr, 114
	.set _ZL13mul_mat_vec_qIL9ggml_type40ELi4ELb0ELb0EEvPKvS2_PKi31ggml_cuda_mm_fusion_args_devicePfj15HIP_vector_typeIjLj3EEjjjS8_jjjS8_jjjj.num_agpr, 0
	.set _ZL13mul_mat_vec_qIL9ggml_type40ELi4ELb0ELb0EEvPKvS2_PKi31ggml_cuda_mm_fusion_args_devicePfj15HIP_vector_typeIjLj3EEjjjS8_jjjS8_jjjj.numbered_sgpr, 30
	.set _ZL13mul_mat_vec_qIL9ggml_type40ELi4ELb0ELb0EEvPKvS2_PKi31ggml_cuda_mm_fusion_args_devicePfj15HIP_vector_typeIjLj3EEjjjS8_jjjS8_jjjj.num_named_barrier, 0
	.set _ZL13mul_mat_vec_qIL9ggml_type40ELi4ELb0ELb0EEvPKvS2_PKi31ggml_cuda_mm_fusion_args_devicePfj15HIP_vector_typeIjLj3EEjjjS8_jjjS8_jjjj.private_seg_size, 0
	.set _ZL13mul_mat_vec_qIL9ggml_type40ELi4ELb0ELb0EEvPKvS2_PKi31ggml_cuda_mm_fusion_args_devicePfj15HIP_vector_typeIjLj3EEjjjS8_jjjS8_jjjj.uses_vcc, 1
	.set _ZL13mul_mat_vec_qIL9ggml_type40ELi4ELb0ELb0EEvPKvS2_PKi31ggml_cuda_mm_fusion_args_devicePfj15HIP_vector_typeIjLj3EEjjjS8_jjjS8_jjjj.uses_flat_scratch, 0
	.set _ZL13mul_mat_vec_qIL9ggml_type40ELi4ELb0ELb0EEvPKvS2_PKi31ggml_cuda_mm_fusion_args_devicePfj15HIP_vector_typeIjLj3EEjjjS8_jjjS8_jjjj.has_dyn_sized_stack, 0
	.set _ZL13mul_mat_vec_qIL9ggml_type40ELi4ELb0ELb0EEvPKvS2_PKi31ggml_cuda_mm_fusion_args_devicePfj15HIP_vector_typeIjLj3EEjjjS8_jjjS8_jjjj.has_recursion, 0
	.set _ZL13mul_mat_vec_qIL9ggml_type40ELi4ELb0ELb0EEvPKvS2_PKi31ggml_cuda_mm_fusion_args_devicePfj15HIP_vector_typeIjLj3EEjjjS8_jjjS8_jjjj.has_indirect_call, 0
	.section	.AMDGPU.csdata,"",@progbits
; Kernel info:
; codeLenInByte = 9388
; TotalNumSgprs: 34
; NumVgprs: 114
; ScratchSize: 0
; MemoryBound: 0
; FloatMode: 240
; IeeeMode: 1
; LDSByteSize: 2048 bytes/workgroup (compile time only)
; SGPRBlocks: 8
; VGPRBlocks: 28
; NumSGPRsForWavesPerEU: 65
; NumVGPRsForWavesPerEU: 114
; Occupancy: 2
; WaveLimiterHint : 0
; COMPUTE_PGM_RSRC2:SCRATCH_EN: 0
; COMPUTE_PGM_RSRC2:USER_SGPR: 6
; COMPUTE_PGM_RSRC2:TRAP_HANDLER: 0
; COMPUTE_PGM_RSRC2:TGID_X_EN: 1
; COMPUTE_PGM_RSRC2:TGID_Y_EN: 1
; COMPUTE_PGM_RSRC2:TGID_Z_EN: 1
; COMPUTE_PGM_RSRC2:TIDIG_COMP_CNT: 1
	.section	.text._ZL13mul_mat_vec_qIL9ggml_type40ELi5ELb0ELb0EEvPKvS2_PKi31ggml_cuda_mm_fusion_args_devicePfj15HIP_vector_typeIjLj3EEjjjS8_jjjS8_jjjj,"axG",@progbits,_ZL13mul_mat_vec_qIL9ggml_type40ELi5ELb0ELb0EEvPKvS2_PKi31ggml_cuda_mm_fusion_args_devicePfj15HIP_vector_typeIjLj3EEjjjS8_jjjS8_jjjj,comdat
	.globl	_ZL13mul_mat_vec_qIL9ggml_type40ELi5ELb0ELb0EEvPKvS2_PKi31ggml_cuda_mm_fusion_args_devicePfj15HIP_vector_typeIjLj3EEjjjS8_jjjS8_jjjj ; -- Begin function _ZL13mul_mat_vec_qIL9ggml_type40ELi5ELb0ELb0EEvPKvS2_PKi31ggml_cuda_mm_fusion_args_devicePfj15HIP_vector_typeIjLj3EEjjjS8_jjjS8_jjjj
	.p2align	8
	.type	_ZL13mul_mat_vec_qIL9ggml_type40ELi5ELb0ELb0EEvPKvS2_PKi31ggml_cuda_mm_fusion_args_devicePfj15HIP_vector_typeIjLj3EEjjjS8_jjjS8_jjjj,@function
_ZL13mul_mat_vec_qIL9ggml_type40ELi5ELb0ELb0EEvPKvS2_PKi31ggml_cuda_mm_fusion_args_devicePfj15HIP_vector_typeIjLj3EEjjjS8_jjjS8_jjjj: ; @_ZL13mul_mat_vec_qIL9ggml_type40ELi5ELb0ELb0EEvPKvS2_PKi31ggml_cuda_mm_fusion_args_devicePfj15HIP_vector_typeIjLj3EEjjjS8_jjjS8_jjjj
; %bb.0:
	s_load_dword s9, s[4:5], 0x40
	s_load_dwordx4 s[12:15], s[4:5], 0x50
	s_load_dword s25, s[4:5], 0x60
	s_load_dwordx4 s[0:3], s[4:5], 0x68
	;; [unrolled: 2-line block ×3, first 2 shown]
	v_lshl_or_b32 v2, v1, 6, v0
	s_waitcnt lgkmcnt(0)
	s_lshr_b32 s9, s9, 6
	v_lshrrev_b16_e32 v98, 1, v2
	v_mov_b32_e32 v90, 0
	s_lshl_b32 s6, s6, 1
	v_cmp_gt_u32_e32 vcc, s9, v98
	v_mov_b32_e32 v91, v90
	v_mov_b32_e32 v92, v90
	;; [unrolled: 1-line block ×9, first 2 shown]
	s_and_saveexec_b64 s[10:11], vcc
	s_cbranch_execz .LBB92_124
; %bb.1:
	s_load_dwordx4 s[20:23], s[4:5], 0x0
	s_mul_i32 s17, s17, s8
	s_mul_i32 s26, s17, 36
	;; [unrolled: 1-line block ×3, first 2 shown]
	s_mul_hi_u32 s19, s17, 36
	s_waitcnt lgkmcnt(0)
	s_add_u32 s28, s22, s26
	s_addc_u32 s19, s23, s19
	s_mul_i32 s26, s1, 36
	s_mul_hi_u32 s27, s1, 36
	s_add_u32 s28, s28, s26
	s_mul_hi_u32 s1, s15, s7
	s_addc_u32 s29, s19, s27
	s_add_i32 s1, s7, s1
	s_lshr_b32 s1, s1, s25
	s_mul_i32 s1, s1, s0
	s_mul_hi_u32 s0, s3, s8
	s_add_i32 s0, s8, s0
	s_lshr_b32 s0, s0, s24
	v_lshlrev_b32_e32 v3, 2, v0
	s_mul_i32 s0, s0, s16
	v_and_b32_e32 v101, 4, v3
	v_and_b32_e32 v4, 1, v0
	s_add_i32 s16, s0, s1
	v_or_b32_e32 v3, 2, v101
	v_mad_u64_u32 v[42:43], s[0:1], v4, 36, s[28:29]
	v_lshrrev_b32_e32 v103, 1, v3
	s_mul_i32 s0, s6, s12
	v_lshrrev_b32_e32 v5, 1, v2
	v_mov_b32_e32 v2, s26
	s_add_i32 s3, s16, s0
	s_movk_i32 s0, 0x48
	v_mov_b32_e32 v3, s27
	v_mad_u64_u32 v[2:3], s[0:1], v5, s0, v[2:3]
	s_add_i32 s19, s6, 1
	v_mov_b32_e32 v90, 0
	v_mad_u64_u32 v[2:3], s[0:1], s17, 36, v[2:3]
	s_mul_i32 s0, s12, s19
	s_add_i32 s12, s16, s0
	v_mad_u64_u32 v[2:3], s[0:1], v4, 36, v[2:3]
	v_mov_b32_e32 v4, s23
	v_lshrrev_b32_e32 v102, 1, v101
	v_add_co_u32_e32 v44, vcc, s22, v2
	s_lshl_b32 s15, s13, 1
	v_lshlrev_b32_e32 v104, 1, v98
	v_addc_co_u32_e32 v45, vcc, v4, v3, vcc
	s_mul_i32 s19, s13, 3
	s_lshl_b32 s24, s13, 2
	s_mov_b64 s[16:17], 0
	s_movk_i32 s25, 0x7e
	s_movk_i32 s26, 0x7f
	s_mov_b32 s27, 0x3e000000
	s_mov_b32 s28, 0xf4f8fafc
	;; [unrolled: 1-line block ×3, first 2 shown]
	v_mov_b32_e32 v105, 0xfdfeff00
	v_mov_b32_e32 v106, 0x3020100
	;; [unrolled: 1-line block ×11, first 2 shown]
	s_branch .LBB92_3
.LBB92_2:                               ;   in Loop: Header=BB92_3 Depth=1
	s_or_b64 exec, exec, s[22:23]
	v_ashrrev_i32_e32 v74, 4, v71
	v_and_b32_e32 v75, 0x7070707, v74
	v_lshrrev_b32_e32 v74, 1, v74
	v_and_b32_e32 v74, 0x4040404, v74
	v_perm_b32 v130, s28, v105, v75
	v_perm_b32 v75, s29, v106, v75
	v_or_b32_e32 v74, 0x3020100, v74
	v_perm_b32 v74, v130, v75, v74
	v_and_b32_e32 v75, 0x7070707, v71
	v_lshrrev_b32_e32 v71, 1, v71
	v_and_b32_e32 v71, 0x4040404, v71
	v_perm_b32 v130, s28, v105, v75
	v_perm_b32 v75, s29, v106, v75
	v_or_b32_e32 v71, 0x3020100, v71
	v_perm_b32 v71, v130, v75, v71
	v_ashrrev_i32_e32 v75, 4, v70
	v_and_b32_e32 v130, 0x7070707, v75
	v_lshrrev_b32_e32 v75, 1, v75
	v_and_b32_e32 v75, 0x4040404, v75
	v_perm_b32 v131, s28, v105, v130
	v_perm_b32 v130, s29, v106, v130
	v_or_b32_e32 v75, 0x3020100, v75
	v_perm_b32 v75, v131, v130, v75
	v_and_b32_e32 v130, 0x7070707, v70
	v_lshrrev_b32_e32 v70, 1, v70
	v_and_b32_e32 v70, 0x4040404, v70
	v_perm_b32 v131, s28, v105, v130
	v_perm_b32 v130, s29, v106, v130
	v_or_b32_e32 v70, 0x3020100, v70
	v_perm_b32 v70, v131, v130, v70
	v_dot4_i32_i8 v70, v70, v27, 0
	v_dot4_i32_i8 v70, v75, v29, v70
	;; [unrolled: 1-line block ×3, first 2 shown]
	v_ashrrev_i32_e32 v71, 4, v89
	v_and_b32_e32 v75, 0x7070707, v71
	v_lshrrev_b32_e32 v71, 1, v71
	v_and_b32_e32 v71, 0x4040404, v71
	v_perm_b32 v130, s28, v105, v75
	v_perm_b32 v75, s29, v106, v75
	v_or_b32_e32 v71, 0x3020100, v71
	v_perm_b32 v71, v130, v75, v71
	v_and_b32_e32 v75, 0x7070707, v89
	v_lshrrev_b32_e32 v89, 1, v89
	v_and_b32_e32 v89, 0x4040404, v89
	v_perm_b32 v130, s28, v105, v75
	v_perm_b32 v75, s29, v106, v75
	v_or_b32_e32 v89, 0x3020100, v89
	v_perm_b32 v75, v130, v75, v89
	v_ashrrev_i32_e32 v89, 4, v88
	v_and_b32_e32 v130, 0x7070707, v89
	v_lshrrev_b32_e32 v89, 1, v89
	v_and_b32_e32 v89, 0x4040404, v89
	v_perm_b32 v131, s28, v105, v130
	v_perm_b32 v130, s29, v106, v130
	v_or_b32_e32 v89, 0x3020100, v89
	v_perm_b32 v89, v131, v130, v89
	v_and_b32_e32 v130, 0x7070707, v88
	v_lshrrev_b32_e32 v88, 1, v88
	v_and_b32_e32 v88, 0x4040404, v88
	v_perm_b32 v131, s28, v105, v130
	v_perm_b32 v130, s29, v106, v130
	v_or_b32_e32 v88, 0x3020100, v88
	v_perm_b32 v88, v131, v130, v88
	v_dot4_i32_i8 v88, v88, v31, 0
	v_dot4_i32_i8 v88, v89, v33, v88
	;; [unrolled: 1-line block ×3, first 2 shown]
	v_cvt_f32_f16_e32 v30, v30
	v_dot4_i32_i8 v71, v71, v26, v75
	v_cvt_f32_i32_e32 v71, v71
	v_dot4_i32_i8 v70, v74, v119, v70
	v_cvt_f32_i32_e32 v70, v70
	v_mul_f32_e32 v74, v128, v30
	v_fma_f32 v71, v74, v71, 0
	v_mul_f32_e32 v74, v129, v30
	v_fmac_f32_e32 v71, v74, v70
	v_ashrrev_i32_e32 v70, 4, v87
	v_add_f32_e32 v91, v91, v71
	v_and_b32_e32 v71, 0x7070707, v70
	v_lshrrev_b32_e32 v70, 1, v70
	v_and_b32_e32 v70, 0x4040404, v70
	v_perm_b32 v74, s28, v105, v71
	v_perm_b32 v71, s29, v106, v71
	v_or_b32_e32 v70, 0x3020100, v70
	v_lshrrev_b32_e32 v75, 1, v87
	v_perm_b32 v70, v74, v71, v70
	v_and_b32_e32 v71, 0x7070707, v87
	v_and_b32_e32 v75, 0x4040404, v75
	v_perm_b32 v74, s28, v105, v71
	v_perm_b32 v71, s29, v106, v71
	v_or_b32_e32 v75, 0x3020100, v75
	v_perm_b32 v71, v74, v71, v75
	v_ashrrev_i32_e32 v74, 4, v86
	v_and_b32_e32 v75, 0x7070707, v74
	v_lshrrev_b32_e32 v74, 1, v74
	v_and_b32_e32 v74, 0x4040404, v74
	v_perm_b32 v87, s28, v105, v75
	v_perm_b32 v75, s29, v106, v75
	v_or_b32_e32 v74, 0x3020100, v74
	v_perm_b32 v74, v87, v75, v74
	v_and_b32_e32 v75, 0x7070707, v86
	v_lshrrev_b32_e32 v86, 1, v86
	v_and_b32_e32 v86, 0x4040404, v86
	v_perm_b32 v87, s28, v105, v75
	v_perm_b32 v75, s29, v106, v75
	v_or_b32_e32 v86, 0x3020100, v86
	v_perm_b32 v75, v87, v75, v86
	v_dot4_i32_i8 v75, v75, v35, 0
	v_dot4_i32_i8 v74, v74, v37, v75
	;; [unrolled: 1-line block ×3, first 2 shown]
	v_ashrrev_i32_e32 v74, 4, v85
	v_and_b32_e32 v75, 0x7070707, v74
	v_lshrrev_b32_e32 v74, 1, v74
	v_and_b32_e32 v74, 0x4040404, v74
	v_perm_b32 v86, s28, v105, v75
	v_perm_b32 v75, s29, v106, v75
	v_or_b32_e32 v74, 0x3020100, v74
	v_perm_b32 v74, v86, v75, v74
	v_and_b32_e32 v75, 0x7070707, v85
	v_lshrrev_b32_e32 v85, 1, v85
	v_and_b32_e32 v85, 0x4040404, v85
	v_perm_b32 v86, s28, v105, v75
	v_perm_b32 v75, s29, v106, v75
	v_or_b32_e32 v85, 0x3020100, v85
	v_perm_b32 v75, v86, v75, v85
	v_ashrrev_i32_e32 v85, 4, v84
	v_and_b32_e32 v86, 0x7070707, v85
	v_lshrrev_b32_e32 v85, 1, v85
	v_and_b32_e32 v85, 0x4040404, v85
	v_perm_b32 v87, s28, v105, v86
	v_perm_b32 v86, s29, v106, v86
	v_or_b32_e32 v85, 0x3020100, v85
	v_perm_b32 v85, v87, v86, v85
	v_and_b32_e32 v86, 0x7070707, v84
	v_lshrrev_b32_e32 v84, 1, v84
	v_and_b32_e32 v84, 0x4040404, v84
	v_perm_b32 v87, s28, v105, v86
	v_perm_b32 v86, s29, v106, v86
	v_or_b32_e32 v84, 0x3020100, v84
	v_perm_b32 v84, v87, v86, v84
	v_dot4_i32_i8 v84, v84, v39, 0
	v_dot4_i32_i8 v84, v85, v41, v84
	;; [unrolled: 1-line block ×3, first 2 shown]
	v_cvt_f32_f16_e32 v38, v38
	v_dot4_i32_i8 v74, v74, v34, v75
	v_cvt_f32_i32_e32 v74, v74
	v_dot4_i32_i8 v70, v70, v123, v71
	v_cvt_f32_i32_e32 v70, v70
	v_mul_f32_e32 v71, v126, v38
	v_fma_f32 v71, v71, v74, 0
	v_mul_f32_e32 v74, v127, v38
	v_fmac_f32_e32 v71, v74, v70
	v_ashrrev_i32_e32 v70, 4, v83
	v_add_f32_e32 v92, v92, v71
	v_and_b32_e32 v71, 0x7070707, v70
	v_lshrrev_b32_e32 v70, 1, v70
	v_and_b32_e32 v70, 0x4040404, v70
	v_perm_b32 v74, s28, v105, v71
	v_perm_b32 v71, s29, v106, v71
	v_or_b32_e32 v70, 0x3020100, v70
	v_lshrrev_b32_e32 v75, 1, v83
	v_perm_b32 v70, v74, v71, v70
	v_and_b32_e32 v71, 0x7070707, v83
	v_and_b32_e32 v75, 0x4040404, v75
	v_perm_b32 v74, s28, v105, v71
	v_perm_b32 v71, s29, v106, v71
	v_or_b32_e32 v75, 0x3020100, v75
	v_perm_b32 v71, v74, v71, v75
	v_ashrrev_i32_e32 v74, 4, v82
	v_and_b32_e32 v75, 0x7070707, v74
	v_lshrrev_b32_e32 v74, 1, v74
	v_and_b32_e32 v74, 0x4040404, v74
	v_perm_b32 v83, s28, v105, v75
	v_perm_b32 v75, s29, v106, v75
	v_or_b32_e32 v74, 0x3020100, v74
	v_perm_b32 v74, v83, v75, v74
	v_and_b32_e32 v75, 0x7070707, v82
	v_lshrrev_b32_e32 v82, 1, v82
	v_and_b32_e32 v82, 0x4040404, v82
	v_perm_b32 v83, s28, v105, v75
	v_perm_b32 v75, s29, v106, v75
	v_or_b32_e32 v82, 0x3020100, v82
	v_perm_b32 v75, v83, v75, v82
	v_dot4_i32_i8 v35, v75, v35, 0
	v_dot4_i32_i8 v35, v74, v37, v35
	;; [unrolled: 1-line block ×3, first 2 shown]
	v_ashrrev_i32_e32 v36, 4, v81
	v_and_b32_e32 v37, 0x7070707, v36
	v_lshrrev_b32_e32 v36, 1, v36
	v_and_b32_e32 v36, 0x4040404, v36
	v_perm_b32 v71, s28, v105, v37
	v_perm_b32 v37, s29, v106, v37
	v_or_b32_e32 v36, 0x3020100, v36
	v_lshrrev_b32_e32 v74, 1, v81
	v_perm_b32 v36, v71, v37, v36
	v_and_b32_e32 v37, 0x7070707, v81
	v_and_b32_e32 v74, 0x4040404, v74
	v_perm_b32 v71, s28, v105, v37
	v_perm_b32 v37, s29, v106, v37
	v_or_b32_e32 v74, 0x3020100, v74
	v_perm_b32 v37, v71, v37, v74
	v_ashrrev_i32_e32 v71, 4, v80
	v_and_b32_e32 v74, 0x7070707, v71
	v_lshrrev_b32_e32 v71, 1, v71
	v_and_b32_e32 v71, 0x4040404, v71
	v_perm_b32 v75, s28, v105, v74
	v_perm_b32 v74, s29, v106, v74
	v_or_b32_e32 v71, 0x3020100, v71
	v_perm_b32 v71, v75, v74, v71
	v_and_b32_e32 v74, 0x7070707, v80
	v_lshrrev_b32_e32 v80, 1, v80
	v_and_b32_e32 v80, 0x4040404, v80
	v_perm_b32 v75, s28, v105, v74
	v_perm_b32 v74, s29, v106, v74
	v_or_b32_e32 v80, 0x3020100, v80
	v_perm_b32 v74, v75, v74, v80
	v_dot4_i32_i8 v39, v74, v39, 0
	v_dot4_i32_i8 v39, v71, v41, v39
	;; [unrolled: 1-line block ×4, first 2 shown]
	v_cvt_f32_i32_e32 v34, v34
	v_dot4_i32_i8 v35, v70, v123, v35
	v_cvt_f32_i32_e32 v35, v35
	v_mul_f32_e32 v36, v124, v38
	v_fma_f32 v34, v36, v34, 0
	v_mul_f32_e32 v36, v125, v38
	v_fmac_f32_e32 v34, v36, v35
	v_add_f32_e32 v93, v93, v34
	v_ashrrev_i32_e32 v34, 4, v79
	v_and_b32_e32 v35, 0x7070707, v34
	v_lshrrev_b32_e32 v34, 1, v34
	v_and_b32_e32 v34, 0x4040404, v34
	v_perm_b32 v36, s28, v105, v35
	v_perm_b32 v35, s29, v106, v35
	v_or_b32_e32 v34, 0x3020100, v34
	v_lshrrev_b32_e32 v37, 1, v79
	v_perm_b32 v34, v36, v35, v34
	v_and_b32_e32 v35, 0x7070707, v79
	v_and_b32_e32 v37, 0x4040404, v37
	v_perm_b32 v36, s28, v105, v35
	v_perm_b32 v35, s29, v106, v35
	v_or_b32_e32 v37, 0x3020100, v37
	v_perm_b32 v35, v36, v35, v37
	v_ashrrev_i32_e32 v36, 4, v78
	v_and_b32_e32 v37, 0x7070707, v36
	v_lshrrev_b32_e32 v36, 1, v36
	v_and_b32_e32 v36, 0x4040404, v36
	v_perm_b32 v38, s28, v105, v37
	v_perm_b32 v37, s29, v106, v37
	v_or_b32_e32 v36, 0x3020100, v36
	v_lshrrev_b32_e32 v39, 1, v78
	v_perm_b32 v36, v38, v37, v36
	v_and_b32_e32 v37, 0x7070707, v78
	v_and_b32_e32 v39, 0x4040404, v39
	v_perm_b32 v38, s28, v105, v37
	v_perm_b32 v37, s29, v106, v37
	v_or_b32_e32 v39, 0x3020100, v39
	v_perm_b32 v37, v38, v37, v39
	v_dot4_i32_i8 v37, v37, v19, 0
	v_dot4_i32_i8 v36, v36, v21, v37
	;; [unrolled: 1-line block ×3, first 2 shown]
	v_ashrrev_i32_e32 v36, 4, v77
	v_and_b32_e32 v37, 0x7070707, v36
	v_lshrrev_b32_e32 v36, 1, v36
	v_and_b32_e32 v36, 0x4040404, v36
	v_perm_b32 v38, s28, v105, v37
	v_perm_b32 v37, s29, v106, v37
	v_or_b32_e32 v36, 0x3020100, v36
	v_lshrrev_b32_e32 v39, 1, v77
	v_perm_b32 v36, v38, v37, v36
	v_and_b32_e32 v37, 0x7070707, v77
	v_and_b32_e32 v39, 0x4040404, v39
	v_perm_b32 v38, s28, v105, v37
	v_perm_b32 v37, s29, v106, v37
	v_or_b32_e32 v39, 0x3020100, v39
	v_perm_b32 v37, v38, v37, v39
	v_ashrrev_i32_e32 v38, 4, v76
	v_and_b32_e32 v39, 0x7070707, v38
	v_lshrrev_b32_e32 v38, 1, v38
	v_and_b32_e32 v38, 0x4040404, v38
	v_perm_b32 v40, s28, v105, v39
	v_perm_b32 v39, s29, v106, v39
	v_or_b32_e32 v38, 0x3020100, v38
	v_lshrrev_b32_e32 v41, 1, v76
	v_perm_b32 v38, v40, v39, v38
	v_and_b32_e32 v39, 0x7070707, v76
	v_and_b32_e32 v41, 0x4040404, v41
	v_perm_b32 v40, s28, v105, v39
	v_perm_b32 v39, s29, v106, v39
	v_or_b32_e32 v41, 0x3020100, v41
	v_perm_b32 v39, v40, v39, v41
	v_dot4_i32_i8 v39, v39, v23, 0
	v_dot4_i32_i8 v38, v38, v25, v39
	;; [unrolled: 1-line block ×3, first 2 shown]
	v_cvt_f32_f16_e32 v22, v22
	v_dot4_i32_i8 v36, v36, v18, v37
	v_cvt_f32_i32_e32 v36, v36
	v_dot4_i32_i8 v34, v34, v117, v35
	v_cvt_f32_i32_e32 v34, v34
	v_mul_f32_e32 v35, v121, v22
	v_fma_f32 v35, v35, v36, 0
	v_mul_f32_e32 v36, v122, v22
	v_fmac_f32_e32 v35, v36, v34
	v_ashrrev_i32_e32 v34, 4, v69
	v_add_f32_e32 v94, v94, v35
	v_and_b32_e32 v35, 0x7070707, v34
	v_lshrrev_b32_e32 v34, 1, v34
	v_and_b32_e32 v34, 0x4040404, v34
	v_perm_b32 v36, s28, v105, v35
	v_perm_b32 v35, s29, v106, v35
	v_or_b32_e32 v34, 0x3020100, v34
	v_lshrrev_b32_e32 v37, 1, v69
	v_perm_b32 v34, v36, v35, v34
	v_and_b32_e32 v35, 0x7070707, v69
	v_and_b32_e32 v37, 0x4040404, v37
	v_perm_b32 v36, s28, v105, v35
	v_perm_b32 v35, s29, v106, v35
	v_or_b32_e32 v37, 0x3020100, v37
	v_perm_b32 v35, v36, v35, v37
	v_ashrrev_i32_e32 v36, 4, v68
	v_and_b32_e32 v37, 0x7070707, v36
	v_lshrrev_b32_e32 v36, 1, v36
	v_and_b32_e32 v36, 0x4040404, v36
	v_perm_b32 v38, s28, v105, v37
	v_perm_b32 v37, s29, v106, v37
	v_or_b32_e32 v36, 0x3020100, v36
	v_lshrrev_b32_e32 v39, 1, v68
	v_perm_b32 v36, v38, v37, v36
	v_and_b32_e32 v37, 0x7070707, v68
	v_and_b32_e32 v39, 0x4040404, v39
	v_perm_b32 v38, s28, v105, v37
	v_perm_b32 v37, s29, v106, v37
	v_or_b32_e32 v39, 0x3020100, v39
	v_perm_b32 v37, v38, v37, v39
	v_dot4_i32_i8 v19, v37, v19, 0
	v_dot4_i32_i8 v19, v36, v21, v19
	;; [unrolled: 1-line block ×3, first 2 shown]
	v_ashrrev_i32_e32 v20, 4, v63
	v_and_b32_e32 v21, 0x7070707, v20
	v_lshrrev_b32_e32 v20, 1, v20
	v_and_b32_e32 v20, 0x4040404, v20
	v_perm_b32 v35, s28, v105, v21
	v_perm_b32 v21, s29, v106, v21
	v_or_b32_e32 v20, 0x3020100, v20
	v_lshrrev_b32_e32 v36, 1, v63
	v_perm_b32 v20, v35, v21, v20
	v_and_b32_e32 v21, 0x7070707, v63
	v_and_b32_e32 v36, 0x4040404, v36
	v_perm_b32 v35, s28, v105, v21
	v_perm_b32 v21, s29, v106, v21
	v_or_b32_e32 v36, 0x3020100, v36
	v_perm_b32 v21, v35, v21, v36
	v_ashrrev_i32_e32 v35, 4, v62
	v_and_b32_e32 v36, 0x7070707, v35
	v_lshrrev_b32_e32 v35, 1, v35
	v_and_b32_e32 v35, 0x4040404, v35
	v_perm_b32 v37, s28, v105, v36
	v_perm_b32 v36, s29, v106, v36
	v_or_b32_e32 v35, 0x3020100, v35
	v_lshrrev_b32_e32 v38, 1, v62
	v_perm_b32 v35, v37, v36, v35
	v_and_b32_e32 v36, 0x7070707, v62
	v_and_b32_e32 v38, 0x4040404, v38
	v_perm_b32 v37, s28, v105, v36
	v_perm_b32 v36, s29, v106, v36
	v_or_b32_e32 v38, 0x3020100, v38
	v_perm_b32 v36, v37, v36, v38
	v_dot4_i32_i8 v23, v36, v23, 0
	v_dot4_i32_i8 v23, v35, v25, v23
	;; [unrolled: 1-line block ×4, first 2 shown]
	v_cvt_f32_i32_e32 v18, v18
	v_dot4_i32_i8 v19, v34, v117, v19
	v_cvt_f32_i32_e32 v19, v19
	v_mul_f32_e32 v20, v118, v22
	v_fma_f32 v18, v20, v18, 0
	v_mul_f32_e32 v20, v120, v22
	v_fmac_f32_e32 v18, v20, v19
	v_add_f32_e32 v95, v95, v18
	v_ashrrev_i32_e32 v18, 4, v61
	v_and_b32_e32 v19, 0x7070707, v18
	v_lshrrev_b32_e32 v18, 1, v18
	v_and_b32_e32 v18, 0x4040404, v18
	v_perm_b32 v20, s28, v105, v19
	v_perm_b32 v19, s29, v106, v19
	v_or_b32_e32 v18, 0x3020100, v18
	v_lshrrev_b32_e32 v21, 1, v61
	v_perm_b32 v18, v20, v19, v18
	v_and_b32_e32 v19, 0x7070707, v61
	v_and_b32_e32 v21, 0x4040404, v21
	v_perm_b32 v20, s28, v105, v19
	v_perm_b32 v19, s29, v106, v19
	v_or_b32_e32 v21, 0x3020100, v21
	v_perm_b32 v19, v20, v19, v21
	v_ashrrev_i32_e32 v20, 4, v60
	v_and_b32_e32 v21, 0x7070707, v20
	v_lshrrev_b32_e32 v20, 1, v20
	v_and_b32_e32 v20, 0x4040404, v20
	v_perm_b32 v22, s28, v105, v21
	v_perm_b32 v21, s29, v106, v21
	v_or_b32_e32 v20, 0x3020100, v20
	v_lshrrev_b32_e32 v23, 1, v60
	v_perm_b32 v20, v22, v21, v20
	v_and_b32_e32 v21, 0x7070707, v60
	v_and_b32_e32 v23, 0x4040404, v23
	v_perm_b32 v22, s28, v105, v21
	v_perm_b32 v21, s29, v106, v21
	v_or_b32_e32 v23, 0x3020100, v23
	v_perm_b32 v21, v22, v21, v23
	v_dot4_i32_i8 v21, v21, v11, 0
	v_dot4_i32_i8 v20, v20, v13, v21
	;; [unrolled: 1-line block ×3, first 2 shown]
	v_ashrrev_i32_e32 v20, 4, v59
	v_and_b32_e32 v21, 0x7070707, v20
	v_lshrrev_b32_e32 v20, 1, v20
	v_and_b32_e32 v20, 0x4040404, v20
	v_perm_b32 v22, s28, v105, v21
	v_perm_b32 v21, s29, v106, v21
	v_or_b32_e32 v20, 0x3020100, v20
	v_lshrrev_b32_e32 v23, 1, v59
	v_perm_b32 v20, v22, v21, v20
	v_and_b32_e32 v21, 0x7070707, v59
	v_and_b32_e32 v23, 0x4040404, v23
	v_perm_b32 v22, s28, v105, v21
	v_perm_b32 v21, s29, v106, v21
	v_or_b32_e32 v23, 0x3020100, v23
	v_perm_b32 v21, v22, v21, v23
	v_ashrrev_i32_e32 v22, 4, v58
	v_and_b32_e32 v23, 0x7070707, v22
	v_lshrrev_b32_e32 v22, 1, v22
	v_and_b32_e32 v22, 0x4040404, v22
	v_perm_b32 v24, s28, v105, v23
	v_perm_b32 v23, s29, v106, v23
	v_or_b32_e32 v22, 0x3020100, v22
	v_lshrrev_b32_e32 v25, 1, v58
	v_perm_b32 v22, v24, v23, v22
	v_and_b32_e32 v23, 0x7070707, v58
	v_and_b32_e32 v25, 0x4040404, v25
	v_perm_b32 v24, s28, v105, v23
	v_perm_b32 v23, s29, v106, v23
	v_or_b32_e32 v25, 0x3020100, v25
	v_perm_b32 v23, v24, v23, v25
	v_dot4_i32_i8 v23, v23, v15, 0
	v_dot4_i32_i8 v22, v22, v17, v23
	v_dot4_i32_i8 v21, v21, v16, v22
	v_cvt_f32_f16_e32 v14, v14
	v_dot4_i32_i8 v20, v20, v10, v21
	v_cvt_f32_i32_e32 v20, v20
	v_dot4_i32_i8 v18, v18, v112, v19
	v_cvt_f32_i32_e32 v18, v18
	v_mul_f32_e32 v19, v115, v14
	v_fma_f32 v19, v19, v20, 0
	v_mul_f32_e32 v20, v116, v14
	v_fmac_f32_e32 v19, v20, v18
	v_ashrrev_i32_e32 v18, 4, v57
	v_add_f32_e32 v96, v96, v19
	v_and_b32_e32 v19, 0x7070707, v18
	v_lshrrev_b32_e32 v18, 1, v18
	v_and_b32_e32 v18, 0x4040404, v18
	v_perm_b32 v20, s28, v105, v19
	v_perm_b32 v19, s29, v106, v19
	v_or_b32_e32 v18, 0x3020100, v18
	v_lshrrev_b32_e32 v21, 1, v57
	v_perm_b32 v18, v20, v19, v18
	v_and_b32_e32 v19, 0x7070707, v57
	v_and_b32_e32 v21, 0x4040404, v21
	v_perm_b32 v20, s28, v105, v19
	v_perm_b32 v19, s29, v106, v19
	v_or_b32_e32 v21, 0x3020100, v21
	v_perm_b32 v19, v20, v19, v21
	v_ashrrev_i32_e32 v20, 4, v56
	v_and_b32_e32 v21, 0x7070707, v20
	v_lshrrev_b32_e32 v20, 1, v20
	v_and_b32_e32 v20, 0x4040404, v20
	v_perm_b32 v22, s28, v105, v21
	v_perm_b32 v21, s29, v106, v21
	v_or_b32_e32 v20, 0x3020100, v20
	v_lshrrev_b32_e32 v23, 1, v56
	v_perm_b32 v20, v22, v21, v20
	v_and_b32_e32 v21, 0x7070707, v56
	v_and_b32_e32 v23, 0x4040404, v23
	v_perm_b32 v22, s28, v105, v21
	v_perm_b32 v21, s29, v106, v21
	v_or_b32_e32 v23, 0x3020100, v23
	v_perm_b32 v21, v22, v21, v23
	v_dot4_i32_i8 v11, v21, v11, 0
	v_dot4_i32_i8 v11, v20, v13, v11
	;; [unrolled: 1-line block ×3, first 2 shown]
	v_ashrrev_i32_e32 v12, 4, v55
	v_and_b32_e32 v13, 0x7070707, v12
	v_lshrrev_b32_e32 v12, 1, v12
	v_and_b32_e32 v12, 0x4040404, v12
	v_perm_b32 v19, s28, v105, v13
	v_perm_b32 v13, s29, v106, v13
	v_or_b32_e32 v12, 0x3020100, v12
	v_lshrrev_b32_e32 v20, 1, v55
	v_perm_b32 v12, v19, v13, v12
	v_and_b32_e32 v13, 0x7070707, v55
	v_and_b32_e32 v20, 0x4040404, v20
	v_perm_b32 v19, s28, v105, v13
	v_perm_b32 v13, s29, v106, v13
	v_or_b32_e32 v20, 0x3020100, v20
	v_perm_b32 v13, v19, v13, v20
	v_ashrrev_i32_e32 v19, 4, v54
	v_and_b32_e32 v20, 0x7070707, v19
	v_lshrrev_b32_e32 v19, 1, v19
	v_and_b32_e32 v19, 0x4040404, v19
	v_perm_b32 v21, s28, v105, v20
	v_perm_b32 v20, s29, v106, v20
	v_or_b32_e32 v19, 0x3020100, v19
	v_lshrrev_b32_e32 v22, 1, v54
	v_perm_b32 v19, v21, v20, v19
	v_and_b32_e32 v20, 0x7070707, v54
	v_and_b32_e32 v22, 0x4040404, v22
	v_perm_b32 v21, s28, v105, v20
	v_perm_b32 v20, s29, v106, v20
	v_or_b32_e32 v22, 0x3020100, v22
	v_perm_b32 v20, v21, v20, v22
	v_dot4_i32_i8 v15, v20, v15, 0
	v_dot4_i32_i8 v15, v19, v17, v15
	;; [unrolled: 1-line block ×4, first 2 shown]
	v_cvt_f32_i32_e32 v10, v10
	v_dot4_i32_i8 v11, v18, v112, v11
	v_cvt_f32_i32_e32 v11, v11
	v_mul_f32_e32 v12, v113, v14
	v_fma_f32 v10, v12, v10, 0
	v_mul_f32_e32 v12, v114, v14
	v_fmac_f32_e32 v10, v12, v11
	v_add_f32_e32 v97, v97, v10
	v_ashrrev_i32_e32 v10, 4, v53
	v_and_b32_e32 v11, 0x7070707, v10
	v_lshrrev_b32_e32 v10, 1, v10
	v_and_b32_e32 v10, 0x4040404, v10
	v_perm_b32 v12, s28, v105, v11
	v_perm_b32 v11, s29, v106, v11
	v_or_b32_e32 v10, 0x3020100, v10
	v_lshrrev_b32_e32 v13, 1, v53
	v_perm_b32 v10, v12, v11, v10
	v_and_b32_e32 v11, 0x7070707, v53
	v_and_b32_e32 v13, 0x4040404, v13
	v_perm_b32 v12, s28, v105, v11
	v_perm_b32 v11, s29, v106, v11
	v_or_b32_e32 v13, 0x3020100, v13
	v_perm_b32 v11, v12, v11, v13
	v_ashrrev_i32_e32 v12, 4, v52
	v_and_b32_e32 v13, 0x7070707, v12
	v_lshrrev_b32_e32 v12, 1, v12
	v_and_b32_e32 v12, 0x4040404, v12
	v_perm_b32 v14, s28, v105, v13
	v_perm_b32 v13, s29, v106, v13
	v_or_b32_e32 v12, 0x3020100, v12
	v_lshrrev_b32_e32 v15, 1, v52
	v_perm_b32 v12, v14, v13, v12
	v_and_b32_e32 v13, 0x7070707, v52
	v_and_b32_e32 v15, 0x4040404, v15
	v_perm_b32 v14, s28, v105, v13
	v_perm_b32 v13, s29, v106, v13
	v_or_b32_e32 v15, 0x3020100, v15
	v_perm_b32 v13, v14, v13, v15
	v_dot4_i32_i8 v13, v13, v3, 0
	v_dot4_i32_i8 v12, v12, v5, v13
	;; [unrolled: 1-line block ×3, first 2 shown]
	v_ashrrev_i32_e32 v12, 4, v51
	v_and_b32_e32 v13, 0x7070707, v12
	v_lshrrev_b32_e32 v12, 1, v12
	v_and_b32_e32 v12, 0x4040404, v12
	v_perm_b32 v14, s28, v105, v13
	v_perm_b32 v13, s29, v106, v13
	v_or_b32_e32 v12, 0x3020100, v12
	v_lshrrev_b32_e32 v15, 1, v51
	v_perm_b32 v12, v14, v13, v12
	v_and_b32_e32 v13, 0x7070707, v51
	v_and_b32_e32 v15, 0x4040404, v15
	v_perm_b32 v14, s28, v105, v13
	v_perm_b32 v13, s29, v106, v13
	v_or_b32_e32 v15, 0x3020100, v15
	v_perm_b32 v13, v14, v13, v15
	v_ashrrev_i32_e32 v14, 4, v50
	v_and_b32_e32 v15, 0x7070707, v14
	v_lshrrev_b32_e32 v14, 1, v14
	v_and_b32_e32 v14, 0x4040404, v14
	v_perm_b32 v16, s28, v105, v15
	v_perm_b32 v15, s29, v106, v15
	v_or_b32_e32 v14, 0x3020100, v14
	v_lshrrev_b32_e32 v17, 1, v50
	v_perm_b32 v14, v16, v15, v14
	v_and_b32_e32 v15, 0x7070707, v50
	v_and_b32_e32 v17, 0x4040404, v17
	v_perm_b32 v16, s28, v105, v15
	v_perm_b32 v15, s29, v106, v15
	v_or_b32_e32 v17, 0x3020100, v17
	v_perm_b32 v15, v16, v15, v17
	v_dot4_i32_i8 v15, v15, v7, 0
	v_dot4_i32_i8 v14, v14, v9, v15
	;; [unrolled: 1-line block ×3, first 2 shown]
	v_cvt_f32_f16_e32 v6, v6
	v_dot4_i32_i8 v12, v12, v2, v13
	v_cvt_f32_i32_e32 v12, v12
	v_dot4_i32_i8 v10, v10, v107, v11
	v_cvt_f32_i32_e32 v10, v10
	v_mul_f32_e32 v11, v110, v6
	v_fma_f32 v11, v11, v12, 0
	v_mul_f32_e32 v12, v111, v6
	v_fmac_f32_e32 v11, v12, v10
	v_ashrrev_i32_e32 v10, 4, v49
	v_add_f32_e32 v99, v99, v11
	v_and_b32_e32 v11, 0x7070707, v10
	v_lshrrev_b32_e32 v10, 1, v10
	v_and_b32_e32 v10, 0x4040404, v10
	v_perm_b32 v12, s28, v105, v11
	v_perm_b32 v11, s29, v106, v11
	v_or_b32_e32 v10, 0x3020100, v10
	v_lshrrev_b32_e32 v13, 1, v49
	v_perm_b32 v10, v12, v11, v10
	v_and_b32_e32 v11, 0x7070707, v49
	v_and_b32_e32 v13, 0x4040404, v13
	v_perm_b32 v12, s28, v105, v11
	v_perm_b32 v11, s29, v106, v11
	v_or_b32_e32 v13, 0x3020100, v13
	v_perm_b32 v11, v12, v11, v13
	v_ashrrev_i32_e32 v12, 4, v48
	v_and_b32_e32 v13, 0x7070707, v12
	v_lshrrev_b32_e32 v12, 1, v12
	v_and_b32_e32 v12, 0x4040404, v12
	v_perm_b32 v14, s28, v105, v13
	v_perm_b32 v13, s29, v106, v13
	v_or_b32_e32 v12, 0x3020100, v12
	v_lshrrev_b32_e32 v15, 1, v48
	v_perm_b32 v12, v14, v13, v12
	v_and_b32_e32 v13, 0x7070707, v48
	v_and_b32_e32 v15, 0x4040404, v15
	v_perm_b32 v14, s28, v105, v13
	v_perm_b32 v13, s29, v106, v13
	v_or_b32_e32 v15, 0x3020100, v15
	v_perm_b32 v13, v14, v13, v15
	v_dot4_i32_i8 v3, v13, v3, 0
	v_dot4_i32_i8 v3, v12, v5, v3
	;; [unrolled: 1-line block ×3, first 2 shown]
	v_ashrrev_i32_e32 v4, 4, v47
	v_and_b32_e32 v5, 0x7070707, v4
	v_lshrrev_b32_e32 v4, 1, v4
	v_and_b32_e32 v4, 0x4040404, v4
	v_perm_b32 v11, s28, v105, v5
	v_perm_b32 v5, s29, v106, v5
	v_or_b32_e32 v4, 0x3020100, v4
	v_lshrrev_b32_e32 v12, 1, v47
	v_perm_b32 v4, v11, v5, v4
	v_and_b32_e32 v5, 0x7070707, v47
	v_and_b32_e32 v12, 0x4040404, v12
	v_perm_b32 v11, s28, v105, v5
	v_perm_b32 v5, s29, v106, v5
	v_or_b32_e32 v12, 0x3020100, v12
	v_perm_b32 v5, v11, v5, v12
	v_ashrrev_i32_e32 v11, 4, v46
	v_and_b32_e32 v12, 0x7070707, v11
	v_lshrrev_b32_e32 v11, 1, v11
	v_and_b32_e32 v11, 0x4040404, v11
	v_perm_b32 v13, s28, v105, v12
	v_perm_b32 v12, s29, v106, v12
	v_or_b32_e32 v11, 0x3020100, v11
	v_lshrrev_b32_e32 v14, 1, v46
	v_perm_b32 v11, v13, v12, v11
	v_and_b32_e32 v12, 0x7070707, v46
	v_and_b32_e32 v14, 0x4040404, v14
	v_perm_b32 v13, s28, v105, v12
	v_perm_b32 v12, s29, v106, v12
	v_or_b32_e32 v14, 0x3020100, v14
	v_perm_b32 v12, v13, v12, v14
	v_dot4_i32_i8 v7, v12, v7, 0
	v_dot4_i32_i8 v7, v11, v9, v7
	;; [unrolled: 1-line block ×4, first 2 shown]
	v_cvt_f32_i32_e32 v2, v2
	v_dot4_i32_i8 v3, v10, v107, v3
	v_cvt_f32_i32_e32 v3, v3
	v_mul_f32_e32 v4, v108, v6
	v_fma_f32 v2, v4, v2, 0
	v_mul_f32_e32 v4, v109, v6
	v_fmac_f32_e32 v2, v4, v3
	v_add_f32_e32 v100, v100, v2
	s_waitcnt vmcnt(0)
	v_ashrrev_i32_e32 v2, 4, v67
	v_and_b32_e32 v3, 0x7070707, v2
	v_lshrrev_b32_e32 v2, 1, v2
	v_and_b32_e32 v2, 0x4040404, v2
	v_perm_b32 v4, s28, v105, v3
	v_perm_b32 v3, s29, v106, v3
	v_or_b32_e32 v2, 0x3020100, v2
	v_lshrrev_b32_e32 v5, 1, v67
	v_perm_b32 v2, v4, v3, v2
	v_and_b32_e32 v3, 0x7070707, v67
	v_and_b32_e32 v5, 0x4040404, v5
	v_perm_b32 v4, s28, v105, v3
	v_perm_b32 v3, s29, v106, v3
	v_or_b32_e32 v5, 0x3020100, v5
	v_perm_b32 v3, v4, v3, v5
	v_ashrrev_i32_e32 v4, 4, v66
	v_and_b32_e32 v5, 0x7070707, v4
	v_lshrrev_b32_e32 v4, 1, v4
	v_and_b32_e32 v4, 0x4040404, v4
	v_perm_b32 v6, s28, v105, v5
	v_perm_b32 v5, s29, v106, v5
	v_or_b32_e32 v4, 0x3020100, v4
	v_lshrrev_b32_e32 v7, 1, v66
	v_perm_b32 v4, v6, v5, v4
	v_and_b32_e32 v5, 0x7070707, v66
	v_and_b32_e32 v7, 0x4040404, v7
	v_perm_b32 v6, s28, v105, v5
	v_perm_b32 v5, s29, v106, v5
	v_or_b32_e32 v7, 0x3020100, v7
	v_perm_b32 v5, v6, v5, v7
	v_dot4_i32_i8 v5, v5, v27, 0
	v_dot4_i32_i8 v4, v4, v29, v5
	;; [unrolled: 1-line block ×3, first 2 shown]
	v_ashrrev_i32_e32 v4, 4, v65
	v_and_b32_e32 v5, 0x7070707, v4
	v_lshrrev_b32_e32 v4, 1, v4
	v_and_b32_e32 v4, 0x4040404, v4
	v_perm_b32 v6, s28, v105, v5
	v_perm_b32 v5, s29, v106, v5
	v_or_b32_e32 v4, 0x3020100, v4
	v_lshrrev_b32_e32 v7, 1, v65
	v_perm_b32 v4, v6, v5, v4
	v_and_b32_e32 v5, 0x7070707, v65
	v_and_b32_e32 v7, 0x4040404, v7
	v_perm_b32 v6, s28, v105, v5
	v_perm_b32 v5, s29, v106, v5
	v_or_b32_e32 v7, 0x3020100, v7
	v_perm_b32 v5, v6, v5, v7
	v_ashrrev_i32_e32 v6, 4, v64
	v_and_b32_e32 v7, 0x7070707, v6
	v_lshrrev_b32_e32 v6, 1, v6
	v_and_b32_e32 v6, 0x4040404, v6
	v_perm_b32 v8, s28, v105, v7
	v_perm_b32 v7, s29, v106, v7
	v_or_b32_e32 v6, 0x3020100, v6
	v_lshrrev_b32_e32 v9, 1, v64
	v_perm_b32 v6, v8, v7, v6
	v_and_b32_e32 v7, 0x7070707, v64
	v_and_b32_e32 v9, 0x4040404, v9
	v_perm_b32 v8, s28, v105, v7
	v_perm_b32 v7, s29, v106, v7
	v_or_b32_e32 v9, 0x3020100, v9
	v_perm_b32 v7, v8, v7, v9
	v_dot4_i32_i8 v7, v7, v31, 0
	v_dot4_i32_i8 v6, v6, v33, v7
	;; [unrolled: 1-line block ×4, first 2 shown]
	v_cvt_f32_i32_e32 v4, v4
	v_dot4_i32_i8 v2, v2, v119, v3
	v_cvt_f32_i32_e32 v2, v2
	v_mul_f32_e32 v3, v72, v30
	v_fma_f32 v3, v3, v4, 0
	v_mul_f32_e32 v4, v73, v30
	v_add_u32_e32 v98, 32, v98
	v_fmac_f32_e32 v3, v4, v2
	s_add_i32 s15, s15, 64
	s_add_i32 s13, s13, 64
	v_add_co_u32_e32 v44, vcc, 0x900, v44
	s_add_i32 s19, s19, 64
	s_add_i32 s24, s24, 64
	v_cmp_le_u32_e64 s[0:1], s9, v98
	v_add_f32_e32 v90, v90, v3
	s_or_b64 s[16:17], s[0:1], s[16:17]
	v_addc_co_u32_e32 v45, vcc, 0, v45, vcc
	s_andn2_b64 exec, exec, s[16:17]
	s_cbranch_execz .LBB92_123
.LBB92_3:                               ; =>This Inner Loop Header: Depth=1
	v_add_u32_e32 v2, s3, v98
	v_mad_i64_i32 v[10:11], s[0:1], v2, 36, s[20:21]
	v_lshlrev_b32_e32 v12, 2, v101
	global_load_dword v107, v[44:45], off offset:32
	v_add_co_u32_e32 v64, vcc, v10, v12
	v_addc_co_u32_e32 v65, vcc, 0, v11, vcc
	v_add_co_u32_e32 v26, vcc, v10, v102
	v_addc_co_u32_e32 v27, vcc, 0, v11, vcc
	global_load_dwordx2 v[46:47], v[64:65], off offset:4
	global_load_ubyte v13, v[26:27], off
	global_load_dwordx4 v[2:5], v[44:45], off offset:16
	global_load_dwordx4 v[6:9], v[44:45], off
	s_mov_b64 s[0:1], 0
	s_waitcnt vmcnt(2)
	v_cmp_lt_i16_e32 vcc, s25, v13
	s_and_saveexec_b64 s[22:23], vcc
	s_xor_b64 s[22:23], exec, s[22:23]
	s_cbranch_execnz .LBB92_82
; %bb.4:                                ;   in Loop: Header=BB92_3 Depth=1
	s_andn2_saveexec_b64 s[22:23], s[22:23]
	s_cbranch_execnz .LBB92_83
.LBB92_5:                               ;   in Loop: Header=BB92_3 Depth=1
	s_or_b64 exec, exec, s[22:23]
	v_mov_b32_e32 v108, 0
	s_and_saveexec_b64 s[22:23], s[0:1]
	s_cbranch_execz .LBB92_7
.LBB92_6:                               ;   in Loop: Header=BB92_3 Depth=1
	v_and_b32_e32 v13, 0xffff, v13
	v_bfe_u32 v14, v13, 3, 4
	v_and_b32_e32 v13, 7, v13
	v_cvt_f32_ubyte0_e32 v13, v13
	v_fma_f32 v15, v13, s27, 1.0
	v_add_u32_e32 v16, -7, v14
	v_cmp_eq_u32_e32 vcc, 0, v14
	v_cndmask_b32_e32 v13, v15, v13, vcc
	v_cndmask_b32_e64 v14, v16, -9, vcc
	v_ldexp_f32 v13, v13, v14
	v_mul_f32_e32 v108, 0.5, v13
.LBB92_7:                               ;   in Loop: Header=BB92_3 Depth=1
	s_or_b64 exec, exec, s[22:23]
	v_add_co_u32_e32 v70, vcc, v10, v103
	v_addc_co_u32_e32 v71, vcc, 0, v11, vcc
	global_load_ubyte v10, v[70:71], off
	global_load_dwordx2 v[48:49], v[64:65], off offset:12
	s_mov_b64 s[0:1], 0
	s_waitcnt vmcnt(1)
	v_cmp_lt_i16_e32 vcc, s25, v10
	s_and_saveexec_b64 s[22:23], vcc
	s_xor_b64 s[22:23], exec, s[22:23]
	s_cbranch_execnz .LBB92_84
; %bb.8:                                ;   in Loop: Header=BB92_3 Depth=1
	s_andn2_saveexec_b64 s[22:23], s[22:23]
	s_cbranch_execnz .LBB92_85
.LBB92_9:                               ;   in Loop: Header=BB92_3 Depth=1
	s_or_b64 exec, exec, s[22:23]
	v_mov_b32_e32 v109, 0
	s_and_saveexec_b64 s[22:23], s[0:1]
	s_cbranch_execz .LBB92_11
.LBB92_10:                              ;   in Loop: Header=BB92_3 Depth=1
	v_and_b32_e32 v10, 0xffff, v10
	v_bfe_u32 v11, v10, 3, 4
	v_and_b32_e32 v10, 7, v10
	v_cvt_f32_ubyte0_e32 v10, v10
	v_fma_f32 v13, v10, s27, 1.0
	v_add_u32_e32 v14, -7, v11
	v_cmp_eq_u32_e32 vcc, 0, v11
	v_cndmask_b32_e32 v10, v13, v10, vcc
	v_cndmask_b32_e64 v11, v14, -9, vcc
	v_ldexp_f32 v10, v10, v11
	v_mul_f32_e32 v109, 0.5, v10
.LBB92_11:                              ;   in Loop: Header=BB92_3 Depth=1
	s_or_b64 exec, exec, s[22:23]
	v_add_u32_e32 v10, s12, v98
	v_mad_i64_i32 v[10:11], s[0:1], v10, 36, s[20:21]
	s_mov_b64 s[0:1], 0
	v_add_co_u32_e32 v72, vcc, v10, v102
	v_addc_co_u32_e32 v73, vcc, 0, v11, vcc
	v_add_co_u32_e32 v66, vcc, v10, v12
	global_load_ubyte v13, v[72:73], off
	v_addc_co_u32_e32 v67, vcc, 0, v11, vcc
	global_load_dwordx2 v[50:51], v[66:67], off offset:4
	s_waitcnt vmcnt(1)
	v_cmp_lt_i16_e32 vcc, s25, v13
	s_and_saveexec_b64 s[22:23], vcc
	s_xor_b64 s[22:23], exec, s[22:23]
	s_cbranch_execnz .LBB92_86
; %bb.12:                               ;   in Loop: Header=BB92_3 Depth=1
	s_andn2_saveexec_b64 s[22:23], s[22:23]
	s_cbranch_execnz .LBB92_87
.LBB92_13:                              ;   in Loop: Header=BB92_3 Depth=1
	s_or_b64 exec, exec, s[22:23]
	v_mov_b32_e32 v110, 0
	s_and_saveexec_b64 s[22:23], s[0:1]
	s_cbranch_execz .LBB92_15
.LBB92_14:                              ;   in Loop: Header=BB92_3 Depth=1
	v_and_b32_e32 v12, 0xffff, v13
	v_bfe_u32 v13, v12, 3, 4
	v_and_b32_e32 v12, 7, v12
	v_cvt_f32_ubyte0_e32 v12, v12
	v_fma_f32 v14, v12, s27, 1.0
	v_add_u32_e32 v15, -7, v13
	v_cmp_eq_u32_e32 vcc, 0, v13
	v_cndmask_b32_e32 v12, v14, v12, vcc
	v_cndmask_b32_e64 v13, v15, -9, vcc
	v_ldexp_f32 v12, v12, v13
	v_mul_f32_e32 v110, 0.5, v12
.LBB92_15:                              ;   in Loop: Header=BB92_3 Depth=1
	s_or_b64 exec, exec, s[22:23]
	v_add_co_u32_e32 v74, vcc, v10, v103
	v_addc_co_u32_e32 v75, vcc, 0, v11, vcc
	global_load_ubyte v10, v[74:75], off
	global_load_dwordx2 v[52:53], v[66:67], off offset:12
	s_mov_b64 s[0:1], 0
	s_waitcnt vmcnt(1)
	v_cmp_lt_i16_e32 vcc, s25, v10
	s_and_saveexec_b64 s[22:23], vcc
	s_xor_b64 s[22:23], exec, s[22:23]
	s_cbranch_execnz .LBB92_88
; %bb.16:                               ;   in Loop: Header=BB92_3 Depth=1
	s_andn2_saveexec_b64 s[22:23], s[22:23]
	s_cbranch_execnz .LBB92_89
.LBB92_17:                              ;   in Loop: Header=BB92_3 Depth=1
	s_or_b64 exec, exec, s[22:23]
	v_mov_b32_e32 v111, 0
	s_and_saveexec_b64 s[22:23], s[0:1]
	s_cbranch_execz .LBB92_19
.LBB92_18:                              ;   in Loop: Header=BB92_3 Depth=1
	v_and_b32_e32 v10, 0xffff, v10
	v_bfe_u32 v11, v10, 3, 4
	v_and_b32_e32 v10, 7, v10
	v_cvt_f32_ubyte0_e32 v10, v10
	v_fma_f32 v12, v10, s27, 1.0
	v_add_u32_e32 v13, -7, v11
	v_cmp_eq_u32_e32 vcc, 0, v11
	v_cndmask_b32_e32 v10, v12, v10, vcc
	v_cndmask_b32_e64 v11, v13, -9, vcc
	v_ldexp_f32 v10, v10, v11
	v_mul_f32_e32 v111, 0.5, v10
.LBB92_19:                              ;   in Loop: Header=BB92_3 Depth=1
	s_or_b64 exec, exec, s[22:23]
	v_add_u32_e32 v10, s13, v104
	v_mad_u64_u32 v[19:20], s[0:1], v10, 36, v[42:43]
	global_load_dwordx2 v[54:55], v[64:65], off offset:4
	global_load_ubyte v18, v[26:27], off
	global_load_dword v112, v[19:20], off offset:32
	global_load_dwordx4 v[10:13], v[19:20], off offset:16
	global_load_dwordx4 v[14:17], v[19:20], off
	s_mov_b64 s[0:1], 0
	s_waitcnt vmcnt(3)
	v_cmp_lt_i16_e32 vcc, s25, v18
	s_and_saveexec_b64 s[22:23], vcc
	s_xor_b64 s[22:23], exec, s[22:23]
	s_cbranch_execnz .LBB92_90
; %bb.20:                               ;   in Loop: Header=BB92_3 Depth=1
	s_andn2_saveexec_b64 s[22:23], s[22:23]
	s_cbranch_execnz .LBB92_91
.LBB92_21:                              ;   in Loop: Header=BB92_3 Depth=1
	s_or_b64 exec, exec, s[22:23]
	v_mov_b32_e32 v113, 0
	s_and_saveexec_b64 s[22:23], s[0:1]
	s_cbranch_execz .LBB92_23
.LBB92_22:                              ;   in Loop: Header=BB92_3 Depth=1
	v_and_b32_e32 v18, 0xffff, v18
	v_bfe_u32 v19, v18, 3, 4
	v_and_b32_e32 v18, 7, v18
	v_cvt_f32_ubyte0_e32 v18, v18
	v_fma_f32 v20, v18, s27, 1.0
	v_add_u32_e32 v21, -7, v19
	v_cmp_eq_u32_e32 vcc, 0, v19
	v_cndmask_b32_e32 v18, v20, v18, vcc
	v_cndmask_b32_e64 v19, v21, -9, vcc
	v_ldexp_f32 v18, v18, v19
	v_mul_f32_e32 v113, 0.5, v18
.LBB92_23:                              ;   in Loop: Header=BB92_3 Depth=1
	s_or_b64 exec, exec, s[22:23]
	global_load_ubyte v18, v[70:71], off
	global_load_dwordx2 v[56:57], v[64:65], off offset:12
	s_mov_b64 s[0:1], 0
	s_waitcnt vmcnt(1)
	v_cmp_lt_i16_e32 vcc, s25, v18
	s_and_saveexec_b64 s[22:23], vcc
	s_xor_b64 s[22:23], exec, s[22:23]
	s_cbranch_execnz .LBB92_92
; %bb.24:                               ;   in Loop: Header=BB92_3 Depth=1
	s_andn2_saveexec_b64 s[22:23], s[22:23]
	s_cbranch_execnz .LBB92_93
.LBB92_25:                              ;   in Loop: Header=BB92_3 Depth=1
	s_or_b64 exec, exec, s[22:23]
	v_mov_b32_e32 v114, 0
	s_and_saveexec_b64 s[22:23], s[0:1]
	s_cbranch_execz .LBB92_27
.LBB92_26:                              ;   in Loop: Header=BB92_3 Depth=1
	v_and_b32_e32 v18, 0xffff, v18
	v_bfe_u32 v19, v18, 3, 4
	v_and_b32_e32 v18, 7, v18
	v_cvt_f32_ubyte0_e32 v18, v18
	v_fma_f32 v20, v18, s27, 1.0
	v_add_u32_e32 v21, -7, v19
	v_cmp_eq_u32_e32 vcc, 0, v19
	v_cndmask_b32_e32 v18, v20, v18, vcc
	v_cndmask_b32_e64 v19, v21, -9, vcc
	v_ldexp_f32 v18, v18, v19
	v_mul_f32_e32 v114, 0.5, v18
.LBB92_27:                              ;   in Loop: Header=BB92_3 Depth=1
	s_or_b64 exec, exec, s[22:23]
	global_load_ubyte v18, v[72:73], off
	global_load_dwordx2 v[58:59], v[66:67], off offset:4
	s_mov_b64 s[0:1], 0
	s_waitcnt vmcnt(1)
	v_cmp_lt_i16_e32 vcc, s25, v18
	s_and_saveexec_b64 s[22:23], vcc
	s_xor_b64 s[22:23], exec, s[22:23]
	s_cbranch_execnz .LBB92_94
; %bb.28:                               ;   in Loop: Header=BB92_3 Depth=1
	s_andn2_saveexec_b64 s[22:23], s[22:23]
	s_cbranch_execnz .LBB92_95
.LBB92_29:                              ;   in Loop: Header=BB92_3 Depth=1
	s_or_b64 exec, exec, s[22:23]
	v_mov_b32_e32 v115, 0
	s_and_saveexec_b64 s[22:23], s[0:1]
	s_cbranch_execz .LBB92_31
.LBB92_30:                              ;   in Loop: Header=BB92_3 Depth=1
	v_and_b32_e32 v18, 0xffff, v18
	v_bfe_u32 v19, v18, 3, 4
	v_and_b32_e32 v18, 7, v18
	v_cvt_f32_ubyte0_e32 v18, v18
	v_fma_f32 v20, v18, s27, 1.0
	v_add_u32_e32 v21, -7, v19
	v_cmp_eq_u32_e32 vcc, 0, v19
	v_cndmask_b32_e32 v18, v20, v18, vcc
	v_cndmask_b32_e64 v19, v21, -9, vcc
	v_ldexp_f32 v18, v18, v19
	v_mul_f32_e32 v115, 0.5, v18
.LBB92_31:                              ;   in Loop: Header=BB92_3 Depth=1
	s_or_b64 exec, exec, s[22:23]
	global_load_ubyte v18, v[74:75], off
	global_load_dwordx2 v[60:61], v[66:67], off offset:12
	s_mov_b64 s[0:1], 0
	s_waitcnt vmcnt(1)
	v_cmp_lt_i16_e32 vcc, s25, v18
	s_and_saveexec_b64 s[22:23], vcc
	s_xor_b64 s[22:23], exec, s[22:23]
	s_cbranch_execnz .LBB92_96
; %bb.32:                               ;   in Loop: Header=BB92_3 Depth=1
	s_andn2_saveexec_b64 s[22:23], s[22:23]
	s_cbranch_execnz .LBB92_97
.LBB92_33:                              ;   in Loop: Header=BB92_3 Depth=1
	s_or_b64 exec, exec, s[22:23]
	v_mov_b32_e32 v116, 0
	s_and_saveexec_b64 s[22:23], s[0:1]
	s_cbranch_execz .LBB92_35
.LBB92_34:                              ;   in Loop: Header=BB92_3 Depth=1
	v_and_b32_e32 v18, 0xffff, v18
	v_bfe_u32 v19, v18, 3, 4
	v_and_b32_e32 v18, 7, v18
	v_cvt_f32_ubyte0_e32 v18, v18
	v_fma_f32 v20, v18, s27, 1.0
	v_add_u32_e32 v21, -7, v19
	v_cmp_eq_u32_e32 vcc, 0, v19
	v_cndmask_b32_e32 v18, v20, v18, vcc
	v_cndmask_b32_e64 v19, v21, -9, vcc
	v_ldexp_f32 v18, v18, v19
	v_mul_f32_e32 v116, 0.5, v18
.LBB92_35:                              ;   in Loop: Header=BB92_3 Depth=1
	s_or_b64 exec, exec, s[22:23]
	v_add_u32_e32 v18, s15, v104
	v_mad_u64_u32 v[29:30], s[0:1], v18, 36, v[42:43]
	global_load_dwordx2 v[62:63], v[64:65], off offset:4
	global_load_ubyte v28, v[26:27], off
	global_load_dword v117, v[29:30], off offset:32
	global_load_dwordx4 v[18:21], v[29:30], off offset:16
	global_load_dwordx4 v[22:25], v[29:30], off
	s_mov_b64 s[0:1], 0
	s_waitcnt vmcnt(3)
	v_cmp_lt_i16_e32 vcc, s25, v28
	s_and_saveexec_b64 s[22:23], vcc
	s_xor_b64 s[22:23], exec, s[22:23]
	s_cbranch_execnz .LBB92_98
; %bb.36:                               ;   in Loop: Header=BB92_3 Depth=1
	s_andn2_saveexec_b64 s[22:23], s[22:23]
	s_cbranch_execnz .LBB92_99
.LBB92_37:                              ;   in Loop: Header=BB92_3 Depth=1
	s_or_b64 exec, exec, s[22:23]
	v_mov_b32_e32 v118, 0
	s_and_saveexec_b64 s[22:23], s[0:1]
	s_cbranch_execz .LBB92_39
.LBB92_38:                              ;   in Loop: Header=BB92_3 Depth=1
	v_and_b32_e32 v28, 0xffff, v28
	v_bfe_u32 v29, v28, 3, 4
	v_and_b32_e32 v28, 7, v28
	v_cvt_f32_ubyte0_e32 v28, v28
	v_fma_f32 v30, v28, s27, 1.0
	v_add_u32_e32 v31, -7, v29
	v_cmp_eq_u32_e32 vcc, 0, v29
	v_cndmask_b32_e32 v28, v30, v28, vcc
	v_cndmask_b32_e64 v29, v31, -9, vcc
	v_ldexp_f32 v28, v28, v29
	v_mul_f32_e32 v118, 0.5, v28
.LBB92_39:                              ;   in Loop: Header=BB92_3 Depth=1
	s_or_b64 exec, exec, s[22:23]
	global_load_ubyte v28, v[70:71], off
	global_load_dwordx2 v[68:69], v[64:65], off offset:12
	s_mov_b64 s[0:1], 0
	s_waitcnt vmcnt(1)
	v_cmp_lt_i16_e32 vcc, s25, v28
	s_and_saveexec_b64 s[22:23], vcc
	s_xor_b64 s[22:23], exec, s[22:23]
	s_cbranch_execnz .LBB92_100
; %bb.40:                               ;   in Loop: Header=BB92_3 Depth=1
	s_andn2_saveexec_b64 s[22:23], s[22:23]
	s_cbranch_execnz .LBB92_101
.LBB92_41:                              ;   in Loop: Header=BB92_3 Depth=1
	s_or_b64 exec, exec, s[22:23]
	v_mov_b32_e32 v120, 0
	s_and_saveexec_b64 s[22:23], s[0:1]
	s_cbranch_execz .LBB92_43
.LBB92_42:                              ;   in Loop: Header=BB92_3 Depth=1
	v_and_b32_e32 v28, 0xffff, v28
	v_bfe_u32 v29, v28, 3, 4
	v_and_b32_e32 v28, 7, v28
	v_cvt_f32_ubyte0_e32 v28, v28
	v_fma_f32 v30, v28, s27, 1.0
	v_add_u32_e32 v31, -7, v29
	v_cmp_eq_u32_e32 vcc, 0, v29
	v_cndmask_b32_e32 v28, v30, v28, vcc
	v_cndmask_b32_e64 v29, v31, -9, vcc
	v_ldexp_f32 v28, v28, v29
	v_mul_f32_e32 v120, 0.5, v28
.LBB92_43:                              ;   in Loop: Header=BB92_3 Depth=1
	s_or_b64 exec, exec, s[22:23]
	global_load_ubyte v28, v[72:73], off
	global_load_dwordx2 v[76:77], v[66:67], off offset:4
	s_mov_b64 s[0:1], 0
	s_waitcnt vmcnt(1)
	v_cmp_lt_i16_e32 vcc, s25, v28
	s_and_saveexec_b64 s[22:23], vcc
	s_xor_b64 s[22:23], exec, s[22:23]
	s_cbranch_execnz .LBB92_102
; %bb.44:                               ;   in Loop: Header=BB92_3 Depth=1
	s_andn2_saveexec_b64 s[22:23], s[22:23]
	s_cbranch_execnz .LBB92_103
.LBB92_45:                              ;   in Loop: Header=BB92_3 Depth=1
	s_or_b64 exec, exec, s[22:23]
	v_mov_b32_e32 v121, 0
	s_and_saveexec_b64 s[22:23], s[0:1]
	s_cbranch_execz .LBB92_47
.LBB92_46:                              ;   in Loop: Header=BB92_3 Depth=1
	v_and_b32_e32 v28, 0xffff, v28
	v_bfe_u32 v29, v28, 3, 4
	v_and_b32_e32 v28, 7, v28
	v_cvt_f32_ubyte0_e32 v28, v28
	v_fma_f32 v30, v28, s27, 1.0
	v_add_u32_e32 v31, -7, v29
	v_cmp_eq_u32_e32 vcc, 0, v29
	v_cndmask_b32_e32 v28, v30, v28, vcc
	v_cndmask_b32_e64 v29, v31, -9, vcc
	v_ldexp_f32 v28, v28, v29
	v_mul_f32_e32 v121, 0.5, v28
.LBB92_47:                              ;   in Loop: Header=BB92_3 Depth=1
	s_or_b64 exec, exec, s[22:23]
	global_load_ubyte v28, v[74:75], off
	global_load_dwordx2 v[78:79], v[66:67], off offset:12
	s_mov_b64 s[0:1], 0
	s_waitcnt vmcnt(1)
	v_cmp_lt_i16_e32 vcc, s25, v28
	s_and_saveexec_b64 s[22:23], vcc
	s_xor_b64 s[22:23], exec, s[22:23]
	s_cbranch_execnz .LBB92_104
; %bb.48:                               ;   in Loop: Header=BB92_3 Depth=1
	s_andn2_saveexec_b64 s[22:23], s[22:23]
	s_cbranch_execnz .LBB92_105
.LBB92_49:                              ;   in Loop: Header=BB92_3 Depth=1
	s_or_b64 exec, exec, s[22:23]
	v_mov_b32_e32 v122, 0
	s_and_saveexec_b64 s[22:23], s[0:1]
	s_cbranch_execz .LBB92_51
.LBB92_50:                              ;   in Loop: Header=BB92_3 Depth=1
	v_and_b32_e32 v28, 0xffff, v28
	v_bfe_u32 v29, v28, 3, 4
	v_and_b32_e32 v28, 7, v28
	v_cvt_f32_ubyte0_e32 v28, v28
	v_fma_f32 v30, v28, s27, 1.0
	v_add_u32_e32 v31, -7, v29
	v_cmp_eq_u32_e32 vcc, 0, v29
	v_cndmask_b32_e32 v28, v30, v28, vcc
	v_cndmask_b32_e64 v29, v31, -9, vcc
	v_ldexp_f32 v28, v28, v29
	v_mul_f32_e32 v122, 0.5, v28
.LBB92_51:                              ;   in Loop: Header=BB92_3 Depth=1
	s_or_b64 exec, exec, s[22:23]
	v_add_u32_e32 v28, s19, v104
	v_mad_u64_u32 v[29:30], s[0:1], v28, 36, v[42:43]
	global_load_dwordx2 v[80:81], v[64:65], off offset:4
	global_load_ubyte v28, v[26:27], off
	global_load_dword v123, v[29:30], off offset:32
	global_load_dwordx4 v[34:37], v[29:30], off offset:16
	global_load_dwordx4 v[38:41], v[29:30], off
	s_mov_b64 s[0:1], 0
	s_waitcnt vmcnt(3)
	v_cmp_lt_i16_e32 vcc, s25, v28
	s_and_saveexec_b64 s[22:23], vcc
	s_xor_b64 s[22:23], exec, s[22:23]
	s_cbranch_execnz .LBB92_106
; %bb.52:                               ;   in Loop: Header=BB92_3 Depth=1
	s_andn2_saveexec_b64 s[22:23], s[22:23]
	s_cbranch_execnz .LBB92_107
.LBB92_53:                              ;   in Loop: Header=BB92_3 Depth=1
	s_or_b64 exec, exec, s[22:23]
	v_mov_b32_e32 v124, 0
	s_and_saveexec_b64 s[22:23], s[0:1]
	s_cbranch_execz .LBB92_55
.LBB92_54:                              ;   in Loop: Header=BB92_3 Depth=1
	v_and_b32_e32 v28, 0xffff, v28
	v_bfe_u32 v29, v28, 3, 4
	v_and_b32_e32 v28, 7, v28
	v_cvt_f32_ubyte0_e32 v28, v28
	v_fma_f32 v30, v28, s27, 1.0
	v_add_u32_e32 v31, -7, v29
	v_cmp_eq_u32_e32 vcc, 0, v29
	v_cndmask_b32_e32 v28, v30, v28, vcc
	v_cndmask_b32_e64 v29, v31, -9, vcc
	v_ldexp_f32 v28, v28, v29
	v_mul_f32_e32 v124, 0.5, v28
.LBB92_55:                              ;   in Loop: Header=BB92_3 Depth=1
	s_or_b64 exec, exec, s[22:23]
	global_load_ubyte v28, v[70:71], off
	global_load_dwordx2 v[82:83], v[64:65], off offset:12
	s_mov_b64 s[0:1], 0
	s_waitcnt vmcnt(1)
	v_cmp_lt_i16_e32 vcc, s25, v28
	s_and_saveexec_b64 s[22:23], vcc
	s_xor_b64 s[22:23], exec, s[22:23]
	s_cbranch_execnz .LBB92_108
; %bb.56:                               ;   in Loop: Header=BB92_3 Depth=1
	s_andn2_saveexec_b64 s[22:23], s[22:23]
	s_cbranch_execnz .LBB92_109
.LBB92_57:                              ;   in Loop: Header=BB92_3 Depth=1
	s_or_b64 exec, exec, s[22:23]
	v_mov_b32_e32 v125, 0
	s_and_saveexec_b64 s[22:23], s[0:1]
	s_cbranch_execz .LBB92_59
.LBB92_58:                              ;   in Loop: Header=BB92_3 Depth=1
	v_and_b32_e32 v28, 0xffff, v28
	v_bfe_u32 v29, v28, 3, 4
	v_and_b32_e32 v28, 7, v28
	v_cvt_f32_ubyte0_e32 v28, v28
	v_fma_f32 v30, v28, s27, 1.0
	v_add_u32_e32 v31, -7, v29
	v_cmp_eq_u32_e32 vcc, 0, v29
	v_cndmask_b32_e32 v28, v30, v28, vcc
	v_cndmask_b32_e64 v29, v31, -9, vcc
	v_ldexp_f32 v28, v28, v29
	v_mul_f32_e32 v125, 0.5, v28
.LBB92_59:                              ;   in Loop: Header=BB92_3 Depth=1
	s_or_b64 exec, exec, s[22:23]
	global_load_ubyte v28, v[72:73], off
	global_load_dwordx2 v[84:85], v[66:67], off offset:4
	s_mov_b64 s[0:1], 0
	s_waitcnt vmcnt(1)
	v_cmp_lt_i16_e32 vcc, s25, v28
	s_and_saveexec_b64 s[22:23], vcc
	s_xor_b64 s[22:23], exec, s[22:23]
	s_cbranch_execnz .LBB92_110
; %bb.60:                               ;   in Loop: Header=BB92_3 Depth=1
	s_andn2_saveexec_b64 s[22:23], s[22:23]
	s_cbranch_execnz .LBB92_111
.LBB92_61:                              ;   in Loop: Header=BB92_3 Depth=1
	s_or_b64 exec, exec, s[22:23]
	v_mov_b32_e32 v126, 0
	s_and_saveexec_b64 s[22:23], s[0:1]
	s_cbranch_execz .LBB92_63
.LBB92_62:                              ;   in Loop: Header=BB92_3 Depth=1
	v_and_b32_e32 v28, 0xffff, v28
	v_bfe_u32 v29, v28, 3, 4
	v_and_b32_e32 v28, 7, v28
	v_cvt_f32_ubyte0_e32 v28, v28
	v_fma_f32 v30, v28, s27, 1.0
	v_add_u32_e32 v31, -7, v29
	v_cmp_eq_u32_e32 vcc, 0, v29
	v_cndmask_b32_e32 v28, v30, v28, vcc
	v_cndmask_b32_e64 v29, v31, -9, vcc
	v_ldexp_f32 v28, v28, v29
	v_mul_f32_e32 v126, 0.5, v28
.LBB92_63:                              ;   in Loop: Header=BB92_3 Depth=1
	s_or_b64 exec, exec, s[22:23]
	global_load_ubyte v28, v[74:75], off
	global_load_dwordx2 v[86:87], v[66:67], off offset:12
	s_mov_b64 s[0:1], 0
	s_waitcnt vmcnt(1)
	v_cmp_lt_i16_e32 vcc, s25, v28
	s_and_saveexec_b64 s[22:23], vcc
	s_xor_b64 s[22:23], exec, s[22:23]
	s_cbranch_execnz .LBB92_112
; %bb.64:                               ;   in Loop: Header=BB92_3 Depth=1
	s_andn2_saveexec_b64 s[22:23], s[22:23]
	s_cbranch_execnz .LBB92_113
.LBB92_65:                              ;   in Loop: Header=BB92_3 Depth=1
	s_or_b64 exec, exec, s[22:23]
	v_mov_b32_e32 v127, 0
	s_and_saveexec_b64 s[22:23], s[0:1]
	s_cbranch_execz .LBB92_67
.LBB92_66:                              ;   in Loop: Header=BB92_3 Depth=1
	v_and_b32_e32 v28, 0xffff, v28
	v_bfe_u32 v29, v28, 3, 4
	v_and_b32_e32 v28, 7, v28
	v_cvt_f32_ubyte0_e32 v28, v28
	v_fma_f32 v30, v28, s27, 1.0
	v_add_u32_e32 v31, -7, v29
	v_cmp_eq_u32_e32 vcc, 0, v29
	v_cndmask_b32_e32 v28, v30, v28, vcc
	v_cndmask_b32_e64 v29, v31, -9, vcc
	v_ldexp_f32 v28, v28, v29
	v_mul_f32_e32 v127, 0.5, v28
.LBB92_67:                              ;   in Loop: Header=BB92_3 Depth=1
	s_or_b64 exec, exec, s[22:23]
	v_add_u32_e32 v28, s24, v104
	v_mad_u64_u32 v[30:31], s[0:1], v28, 36, v[42:43]
	global_load_dwordx2 v[88:89], v[64:65], off offset:4
	global_load_ubyte v129, v[26:27], off
	global_load_dword v119, v[30:31], off offset:32
                                        ; kill: killed $vgpr26 killed $vgpr27
	s_nop 0
	global_load_dwordx4 v[26:29], v[30:31], off offset:16
	s_nop 0
	global_load_dwordx4 v[30:33], v[30:31], off
	s_mov_b64 s[0:1], 0
	s_waitcnt vmcnt(3)
	v_cmp_lt_i16_e32 vcc, s25, v129
	s_and_saveexec_b64 s[22:23], vcc
	s_xor_b64 s[22:23], exec, s[22:23]
	s_cbranch_execnz .LBB92_114
; %bb.68:                               ;   in Loop: Header=BB92_3 Depth=1
	s_andn2_saveexec_b64 s[22:23], s[22:23]
	s_cbranch_execnz .LBB92_115
.LBB92_69:                              ;   in Loop: Header=BB92_3 Depth=1
	s_or_b64 exec, exec, s[22:23]
	v_mov_b32_e32 v128, 0
	s_and_saveexec_b64 s[22:23], s[0:1]
	s_cbranch_execz .LBB92_71
.LBB92_70:                              ;   in Loop: Header=BB92_3 Depth=1
	v_and_b32_e32 v128, 0xffff, v129
	v_bfe_u32 v129, v128, 3, 4
	v_and_b32_e32 v128, 7, v128
	v_cvt_f32_ubyte0_e32 v128, v128
	v_fma_f32 v130, v128, s27, 1.0
	v_add_u32_e32 v131, -7, v129
	v_cmp_eq_u32_e32 vcc, 0, v129
	v_cndmask_b32_e32 v128, v130, v128, vcc
	v_cndmask_b32_e64 v129, v131, -9, vcc
	v_ldexp_f32 v128, v128, v129
	v_mul_f32_e32 v128, 0.5, v128
.LBB92_71:                              ;   in Loop: Header=BB92_3 Depth=1
	s_or_b64 exec, exec, s[22:23]
	global_load_ubyte v130, v[70:71], off
	s_nop 0
	global_load_dwordx2 v[70:71], v[64:65], off offset:12
	s_mov_b64 s[0:1], 0
	s_waitcnt vmcnt(1)
	v_cmp_lt_i16_e32 vcc, s25, v130
	s_and_saveexec_b64 s[22:23], vcc
	s_xor_b64 s[22:23], exec, s[22:23]
	s_cbranch_execnz .LBB92_116
; %bb.72:                               ;   in Loop: Header=BB92_3 Depth=1
	s_andn2_saveexec_b64 s[22:23], s[22:23]
	s_cbranch_execnz .LBB92_117
.LBB92_73:                              ;   in Loop: Header=BB92_3 Depth=1
	s_or_b64 exec, exec, s[22:23]
	v_mov_b32_e32 v129, 0
	s_and_saveexec_b64 s[22:23], s[0:1]
	s_cbranch_execz .LBB92_75
.LBB92_74:                              ;   in Loop: Header=BB92_3 Depth=1
	v_and_b32_e32 v64, 0xffff, v130
	v_bfe_u32 v65, v64, 3, 4
	v_and_b32_e32 v64, 7, v64
	v_cvt_f32_ubyte0_e32 v64, v64
	v_fma_f32 v129, v64, s27, 1.0
	v_add_u32_e32 v130, -7, v65
	v_cmp_eq_u32_e32 vcc, 0, v65
	v_cndmask_b32_e32 v64, v129, v64, vcc
	v_cndmask_b32_e64 v65, v130, -9, vcc
	v_ldexp_f32 v64, v64, v65
	v_mul_f32_e32 v129, 0.5, v64
.LBB92_75:                              ;   in Loop: Header=BB92_3 Depth=1
	s_or_b64 exec, exec, s[22:23]
	global_load_ubyte v73, v[72:73], off
	s_nop 0
	global_load_dwordx2 v[64:65], v[66:67], off offset:4
	s_mov_b64 s[0:1], 0
	s_waitcnt vmcnt(1)
	v_cmp_lt_i16_e32 vcc, s25, v73
	s_and_saveexec_b64 s[22:23], vcc
	s_xor_b64 s[22:23], exec, s[22:23]
	s_cbranch_execnz .LBB92_118
; %bb.76:                               ;   in Loop: Header=BB92_3 Depth=1
	s_andn2_saveexec_b64 s[22:23], s[22:23]
	s_cbranch_execnz .LBB92_119
.LBB92_77:                              ;   in Loop: Header=BB92_3 Depth=1
	s_or_b64 exec, exec, s[22:23]
	v_mov_b32_e32 v72, 0
	s_and_saveexec_b64 s[22:23], s[0:1]
	s_cbranch_execz .LBB92_79
.LBB92_78:                              ;   in Loop: Header=BB92_3 Depth=1
	v_and_b32_e32 v72, 0xffff, v73
	v_bfe_u32 v73, v72, 3, 4
	v_and_b32_e32 v72, 7, v72
	v_cvt_f32_ubyte0_e32 v72, v72
	v_fma_f32 v130, v72, s27, 1.0
	v_add_u32_e32 v131, -7, v73
	v_cmp_eq_u32_e32 vcc, 0, v73
	v_cndmask_b32_e32 v72, v130, v72, vcc
	v_cndmask_b32_e64 v73, v131, -9, vcc
	v_ldexp_f32 v72, v72, v73
	v_mul_f32_e32 v72, 0.5, v72
.LBB92_79:                              ;   in Loop: Header=BB92_3 Depth=1
	s_or_b64 exec, exec, s[22:23]
	global_load_ubyte v74, v[74:75], off
	s_nop 0
	global_load_dwordx2 v[66:67], v[66:67], off offset:12
	s_mov_b64 s[0:1], 0
	s_waitcnt vmcnt(1)
	v_cmp_lt_i16_e32 vcc, s25, v74
	s_and_saveexec_b64 s[22:23], vcc
	s_xor_b64 s[22:23], exec, s[22:23]
	s_cbranch_execnz .LBB92_120
; %bb.80:                               ;   in Loop: Header=BB92_3 Depth=1
	s_andn2_saveexec_b64 s[22:23], s[22:23]
	s_cbranch_execnz .LBB92_121
.LBB92_81:                              ;   in Loop: Header=BB92_3 Depth=1
	s_or_b64 exec, exec, s[22:23]
	v_mov_b32_e32 v73, 0
	s_and_saveexec_b64 s[22:23], s[0:1]
	s_cbranch_execz .LBB92_2
	s_branch .LBB92_122
.LBB92_82:                              ;   in Loop: Header=BB92_3 Depth=1
	v_cmp_ne_u16_e32 vcc, s26, v13
	s_and_b64 s[0:1], vcc, exec
	s_andn2_saveexec_b64 s[22:23], s[22:23]
	s_cbranch_execz .LBB92_5
.LBB92_83:                              ;   in Loop: Header=BB92_3 Depth=1
	v_cmp_ne_u16_e32 vcc, 0, v13
	s_andn2_b64 s[0:1], s[0:1], exec
	s_and_b64 s[30:31], vcc, exec
	s_or_b64 s[0:1], s[0:1], s[30:31]
	s_or_b64 exec, exec, s[22:23]
	v_mov_b32_e32 v108, 0
	s_and_saveexec_b64 s[22:23], s[0:1]
	s_cbranch_execnz .LBB92_6
	s_branch .LBB92_7
.LBB92_84:                              ;   in Loop: Header=BB92_3 Depth=1
	v_cmp_ne_u16_e32 vcc, s26, v10
	s_and_b64 s[0:1], vcc, exec
	s_andn2_saveexec_b64 s[22:23], s[22:23]
	s_cbranch_execz .LBB92_9
.LBB92_85:                              ;   in Loop: Header=BB92_3 Depth=1
	v_cmp_ne_u16_e32 vcc, 0, v10
	s_andn2_b64 s[0:1], s[0:1], exec
	s_and_b64 s[30:31], vcc, exec
	s_or_b64 s[0:1], s[0:1], s[30:31]
	s_or_b64 exec, exec, s[22:23]
	v_mov_b32_e32 v109, 0
	s_and_saveexec_b64 s[22:23], s[0:1]
	s_cbranch_execnz .LBB92_10
	s_branch .LBB92_11
.LBB92_86:                              ;   in Loop: Header=BB92_3 Depth=1
	v_cmp_ne_u16_e32 vcc, s26, v13
	s_and_b64 s[0:1], vcc, exec
	s_andn2_saveexec_b64 s[22:23], s[22:23]
	s_cbranch_execz .LBB92_13
.LBB92_87:                              ;   in Loop: Header=BB92_3 Depth=1
	v_cmp_ne_u16_e32 vcc, 0, v13
	s_andn2_b64 s[0:1], s[0:1], exec
	s_and_b64 s[30:31], vcc, exec
	s_or_b64 s[0:1], s[0:1], s[30:31]
	s_or_b64 exec, exec, s[22:23]
	v_mov_b32_e32 v110, 0
	s_and_saveexec_b64 s[22:23], s[0:1]
	s_cbranch_execnz .LBB92_14
	s_branch .LBB92_15
.LBB92_88:                              ;   in Loop: Header=BB92_3 Depth=1
	v_cmp_ne_u16_e32 vcc, s26, v10
	s_and_b64 s[0:1], vcc, exec
	s_andn2_saveexec_b64 s[22:23], s[22:23]
	s_cbranch_execz .LBB92_17
.LBB92_89:                              ;   in Loop: Header=BB92_3 Depth=1
	v_cmp_ne_u16_e32 vcc, 0, v10
	s_andn2_b64 s[0:1], s[0:1], exec
	s_and_b64 s[30:31], vcc, exec
	s_or_b64 s[0:1], s[0:1], s[30:31]
	s_or_b64 exec, exec, s[22:23]
	v_mov_b32_e32 v111, 0
	s_and_saveexec_b64 s[22:23], s[0:1]
	s_cbranch_execnz .LBB92_18
	s_branch .LBB92_19
.LBB92_90:                              ;   in Loop: Header=BB92_3 Depth=1
	v_cmp_ne_u16_e32 vcc, s26, v18
	s_and_b64 s[0:1], vcc, exec
	s_andn2_saveexec_b64 s[22:23], s[22:23]
	s_cbranch_execz .LBB92_21
.LBB92_91:                              ;   in Loop: Header=BB92_3 Depth=1
	v_cmp_ne_u16_e32 vcc, 0, v18
	s_andn2_b64 s[0:1], s[0:1], exec
	s_and_b64 s[30:31], vcc, exec
	s_or_b64 s[0:1], s[0:1], s[30:31]
	s_or_b64 exec, exec, s[22:23]
	v_mov_b32_e32 v113, 0
	s_and_saveexec_b64 s[22:23], s[0:1]
	s_cbranch_execnz .LBB92_22
	s_branch .LBB92_23
.LBB92_92:                              ;   in Loop: Header=BB92_3 Depth=1
	v_cmp_ne_u16_e32 vcc, s26, v18
	s_and_b64 s[0:1], vcc, exec
	s_andn2_saveexec_b64 s[22:23], s[22:23]
	s_cbranch_execz .LBB92_25
.LBB92_93:                              ;   in Loop: Header=BB92_3 Depth=1
	v_cmp_ne_u16_e32 vcc, 0, v18
	s_andn2_b64 s[0:1], s[0:1], exec
	s_and_b64 s[30:31], vcc, exec
	s_or_b64 s[0:1], s[0:1], s[30:31]
	s_or_b64 exec, exec, s[22:23]
	v_mov_b32_e32 v114, 0
	s_and_saveexec_b64 s[22:23], s[0:1]
	s_cbranch_execnz .LBB92_26
	s_branch .LBB92_27
.LBB92_94:                              ;   in Loop: Header=BB92_3 Depth=1
	v_cmp_ne_u16_e32 vcc, s26, v18
	s_and_b64 s[0:1], vcc, exec
	s_andn2_saveexec_b64 s[22:23], s[22:23]
	s_cbranch_execz .LBB92_29
.LBB92_95:                              ;   in Loop: Header=BB92_3 Depth=1
	v_cmp_ne_u16_e32 vcc, 0, v18
	s_andn2_b64 s[0:1], s[0:1], exec
	s_and_b64 s[30:31], vcc, exec
	s_or_b64 s[0:1], s[0:1], s[30:31]
	s_or_b64 exec, exec, s[22:23]
	v_mov_b32_e32 v115, 0
	s_and_saveexec_b64 s[22:23], s[0:1]
	s_cbranch_execnz .LBB92_30
	s_branch .LBB92_31
.LBB92_96:                              ;   in Loop: Header=BB92_3 Depth=1
	v_cmp_ne_u16_e32 vcc, s26, v18
	s_and_b64 s[0:1], vcc, exec
	s_andn2_saveexec_b64 s[22:23], s[22:23]
	s_cbranch_execz .LBB92_33
.LBB92_97:                              ;   in Loop: Header=BB92_3 Depth=1
	v_cmp_ne_u16_e32 vcc, 0, v18
	s_andn2_b64 s[0:1], s[0:1], exec
	s_and_b64 s[30:31], vcc, exec
	s_or_b64 s[0:1], s[0:1], s[30:31]
	s_or_b64 exec, exec, s[22:23]
	v_mov_b32_e32 v116, 0
	s_and_saveexec_b64 s[22:23], s[0:1]
	s_cbranch_execnz .LBB92_34
	s_branch .LBB92_35
.LBB92_98:                              ;   in Loop: Header=BB92_3 Depth=1
	v_cmp_ne_u16_e32 vcc, s26, v28
	s_and_b64 s[0:1], vcc, exec
	s_andn2_saveexec_b64 s[22:23], s[22:23]
	s_cbranch_execz .LBB92_37
.LBB92_99:                              ;   in Loop: Header=BB92_3 Depth=1
	v_cmp_ne_u16_e32 vcc, 0, v28
	s_andn2_b64 s[0:1], s[0:1], exec
	s_and_b64 s[30:31], vcc, exec
	s_or_b64 s[0:1], s[0:1], s[30:31]
	s_or_b64 exec, exec, s[22:23]
	v_mov_b32_e32 v118, 0
	s_and_saveexec_b64 s[22:23], s[0:1]
	s_cbranch_execnz .LBB92_38
	s_branch .LBB92_39
.LBB92_100:                             ;   in Loop: Header=BB92_3 Depth=1
	v_cmp_ne_u16_e32 vcc, s26, v28
	s_and_b64 s[0:1], vcc, exec
	s_andn2_saveexec_b64 s[22:23], s[22:23]
	s_cbranch_execz .LBB92_41
.LBB92_101:                             ;   in Loop: Header=BB92_3 Depth=1
	v_cmp_ne_u16_e32 vcc, 0, v28
	s_andn2_b64 s[0:1], s[0:1], exec
	s_and_b64 s[30:31], vcc, exec
	s_or_b64 s[0:1], s[0:1], s[30:31]
	s_or_b64 exec, exec, s[22:23]
	v_mov_b32_e32 v120, 0
	s_and_saveexec_b64 s[22:23], s[0:1]
	s_cbranch_execnz .LBB92_42
	s_branch .LBB92_43
.LBB92_102:                             ;   in Loop: Header=BB92_3 Depth=1
	v_cmp_ne_u16_e32 vcc, s26, v28
	s_and_b64 s[0:1], vcc, exec
	s_andn2_saveexec_b64 s[22:23], s[22:23]
	s_cbranch_execz .LBB92_45
.LBB92_103:                             ;   in Loop: Header=BB92_3 Depth=1
	v_cmp_ne_u16_e32 vcc, 0, v28
	s_andn2_b64 s[0:1], s[0:1], exec
	s_and_b64 s[30:31], vcc, exec
	s_or_b64 s[0:1], s[0:1], s[30:31]
	s_or_b64 exec, exec, s[22:23]
	v_mov_b32_e32 v121, 0
	s_and_saveexec_b64 s[22:23], s[0:1]
	s_cbranch_execnz .LBB92_46
	s_branch .LBB92_47
.LBB92_104:                             ;   in Loop: Header=BB92_3 Depth=1
	v_cmp_ne_u16_e32 vcc, s26, v28
	s_and_b64 s[0:1], vcc, exec
	s_andn2_saveexec_b64 s[22:23], s[22:23]
	s_cbranch_execz .LBB92_49
.LBB92_105:                             ;   in Loop: Header=BB92_3 Depth=1
	v_cmp_ne_u16_e32 vcc, 0, v28
	s_andn2_b64 s[0:1], s[0:1], exec
	s_and_b64 s[30:31], vcc, exec
	s_or_b64 s[0:1], s[0:1], s[30:31]
	s_or_b64 exec, exec, s[22:23]
	v_mov_b32_e32 v122, 0
	s_and_saveexec_b64 s[22:23], s[0:1]
	s_cbranch_execnz .LBB92_50
	s_branch .LBB92_51
.LBB92_106:                             ;   in Loop: Header=BB92_3 Depth=1
	v_cmp_ne_u16_e32 vcc, s26, v28
	s_and_b64 s[0:1], vcc, exec
	s_andn2_saveexec_b64 s[22:23], s[22:23]
	s_cbranch_execz .LBB92_53
.LBB92_107:                             ;   in Loop: Header=BB92_3 Depth=1
	v_cmp_ne_u16_e32 vcc, 0, v28
	s_andn2_b64 s[0:1], s[0:1], exec
	s_and_b64 s[30:31], vcc, exec
	s_or_b64 s[0:1], s[0:1], s[30:31]
	s_or_b64 exec, exec, s[22:23]
	v_mov_b32_e32 v124, 0
	s_and_saveexec_b64 s[22:23], s[0:1]
	s_cbranch_execnz .LBB92_54
	s_branch .LBB92_55
.LBB92_108:                             ;   in Loop: Header=BB92_3 Depth=1
	v_cmp_ne_u16_e32 vcc, s26, v28
	s_and_b64 s[0:1], vcc, exec
	s_andn2_saveexec_b64 s[22:23], s[22:23]
	s_cbranch_execz .LBB92_57
.LBB92_109:                             ;   in Loop: Header=BB92_3 Depth=1
	v_cmp_ne_u16_e32 vcc, 0, v28
	s_andn2_b64 s[0:1], s[0:1], exec
	s_and_b64 s[30:31], vcc, exec
	s_or_b64 s[0:1], s[0:1], s[30:31]
	s_or_b64 exec, exec, s[22:23]
	v_mov_b32_e32 v125, 0
	s_and_saveexec_b64 s[22:23], s[0:1]
	s_cbranch_execnz .LBB92_58
	s_branch .LBB92_59
.LBB92_110:                             ;   in Loop: Header=BB92_3 Depth=1
	v_cmp_ne_u16_e32 vcc, s26, v28
	s_and_b64 s[0:1], vcc, exec
	s_andn2_saveexec_b64 s[22:23], s[22:23]
	s_cbranch_execz .LBB92_61
.LBB92_111:                             ;   in Loop: Header=BB92_3 Depth=1
	v_cmp_ne_u16_e32 vcc, 0, v28
	s_andn2_b64 s[0:1], s[0:1], exec
	s_and_b64 s[30:31], vcc, exec
	s_or_b64 s[0:1], s[0:1], s[30:31]
	s_or_b64 exec, exec, s[22:23]
	v_mov_b32_e32 v126, 0
	s_and_saveexec_b64 s[22:23], s[0:1]
	s_cbranch_execnz .LBB92_62
	s_branch .LBB92_63
.LBB92_112:                             ;   in Loop: Header=BB92_3 Depth=1
	v_cmp_ne_u16_e32 vcc, s26, v28
	s_and_b64 s[0:1], vcc, exec
	s_andn2_saveexec_b64 s[22:23], s[22:23]
	s_cbranch_execz .LBB92_65
.LBB92_113:                             ;   in Loop: Header=BB92_3 Depth=1
	v_cmp_ne_u16_e32 vcc, 0, v28
	s_andn2_b64 s[0:1], s[0:1], exec
	s_and_b64 s[30:31], vcc, exec
	s_or_b64 s[0:1], s[0:1], s[30:31]
	s_or_b64 exec, exec, s[22:23]
	v_mov_b32_e32 v127, 0
	s_and_saveexec_b64 s[22:23], s[0:1]
	s_cbranch_execnz .LBB92_66
	s_branch .LBB92_67
.LBB92_114:                             ;   in Loop: Header=BB92_3 Depth=1
	v_cmp_ne_u16_e32 vcc, s26, v129
	s_and_b64 s[0:1], vcc, exec
	s_andn2_saveexec_b64 s[22:23], s[22:23]
	s_cbranch_execz .LBB92_69
.LBB92_115:                             ;   in Loop: Header=BB92_3 Depth=1
	v_cmp_ne_u16_e32 vcc, 0, v129
	s_andn2_b64 s[0:1], s[0:1], exec
	s_and_b64 s[30:31], vcc, exec
	s_or_b64 s[0:1], s[0:1], s[30:31]
	s_or_b64 exec, exec, s[22:23]
	v_mov_b32_e32 v128, 0
	s_and_saveexec_b64 s[22:23], s[0:1]
	s_cbranch_execnz .LBB92_70
	s_branch .LBB92_71
.LBB92_116:                             ;   in Loop: Header=BB92_3 Depth=1
	v_cmp_ne_u16_e32 vcc, s26, v130
	s_and_b64 s[0:1], vcc, exec
	s_andn2_saveexec_b64 s[22:23], s[22:23]
	s_cbranch_execz .LBB92_73
.LBB92_117:                             ;   in Loop: Header=BB92_3 Depth=1
	v_cmp_ne_u16_e32 vcc, 0, v130
	s_andn2_b64 s[0:1], s[0:1], exec
	s_and_b64 s[30:31], vcc, exec
	s_or_b64 s[0:1], s[0:1], s[30:31]
	s_or_b64 exec, exec, s[22:23]
	v_mov_b32_e32 v129, 0
	s_and_saveexec_b64 s[22:23], s[0:1]
	s_cbranch_execnz .LBB92_74
	s_branch .LBB92_75
.LBB92_118:                             ;   in Loop: Header=BB92_3 Depth=1
	v_cmp_ne_u16_e32 vcc, s26, v73
	s_and_b64 s[0:1], vcc, exec
	s_andn2_saveexec_b64 s[22:23], s[22:23]
	s_cbranch_execz .LBB92_77
.LBB92_119:                             ;   in Loop: Header=BB92_3 Depth=1
	v_cmp_ne_u16_e32 vcc, 0, v73
	s_andn2_b64 s[0:1], s[0:1], exec
	s_and_b64 s[30:31], vcc, exec
	s_or_b64 s[0:1], s[0:1], s[30:31]
	s_or_b64 exec, exec, s[22:23]
	v_mov_b32_e32 v72, 0
	s_and_saveexec_b64 s[22:23], s[0:1]
	s_cbranch_execnz .LBB92_78
	s_branch .LBB92_79
.LBB92_120:                             ;   in Loop: Header=BB92_3 Depth=1
	v_cmp_ne_u16_e32 vcc, s26, v74
	s_and_b64 s[0:1], vcc, exec
	s_andn2_saveexec_b64 s[22:23], s[22:23]
	s_cbranch_execz .LBB92_81
.LBB92_121:                             ;   in Loop: Header=BB92_3 Depth=1
	v_cmp_ne_u16_e32 vcc, 0, v74
	s_andn2_b64 s[0:1], s[0:1], exec
	s_and_b64 s[30:31], vcc, exec
	s_or_b64 s[0:1], s[0:1], s[30:31]
	s_or_b64 exec, exec, s[22:23]
	v_mov_b32_e32 v73, 0
	s_and_saveexec_b64 s[22:23], s[0:1]
	s_cbranch_execz .LBB92_2
.LBB92_122:                             ;   in Loop: Header=BB92_3 Depth=1
	v_and_b32_e32 v73, 0xffff, v74
	v_bfe_u32 v74, v73, 3, 4
	v_and_b32_e32 v73, 7, v73
	v_cvt_f32_ubyte0_e32 v73, v73
	v_fma_f32 v75, v73, s27, 1.0
	v_add_u32_e32 v130, -7, v74
	v_cmp_eq_u32_e32 vcc, 0, v74
	v_cndmask_b32_e32 v73, v75, v73, vcc
	v_cndmask_b32_e64 v74, v130, -9, vcc
	v_ldexp_f32 v73, v73, v74
	v_mul_f32_e32 v73, 0.5, v73
	s_branch .LBB92_2
.LBB92_123:
	s_or_b64 exec, exec, s[16:17]
.LBB92_124:
	s_or_b64 exec, exec, s[10:11]
	s_mov_b32 s1, 0
	v_cmp_eq_u32_e32 vcc, 0, v1
	; wave barrier
	s_and_saveexec_b64 s[10:11], vcc
	s_cbranch_execz .LBB92_135
; %bb.125:
	v_mbcnt_lo_u32_b32 v1, -1, 0
	v_mbcnt_hi_u32_b32 v6, -1, v1
	v_and_b32_e32 v1, 64, v6
	v_add_u32_e32 v7, 64, v1
	v_xor_b32_e32 v1, 32, v6
	v_cmp_lt_i32_e32 vcc, v1, v7
	v_cndmask_b32_e32 v1, v6, v1, vcc
	v_lshlrev_b32_e32 v1, 2, v1
	ds_bpermute_b32 v5, v1, v100
	ds_bpermute_b32 v8, v1, v99
	v_xor_b32_e32 v2, 16, v6
	v_cmp_lt_i32_e32 vcc, v2, v7
	v_cndmask_b32_e32 v2, v6, v2, vcc
	v_lshlrev_b32_e32 v2, 2, v2
	s_waitcnt lgkmcnt(1)
	v_add_f32_e32 v5, v100, v5
	s_waitcnt lgkmcnt(0)
	v_add_f32_e32 v8, v99, v8
	ds_bpermute_b32 v10, v2, v5
	ds_bpermute_b32 v11, v2, v8
	v_xor_b32_e32 v3, 8, v6
	v_cmp_lt_i32_e32 vcc, v3, v7
	v_cndmask_b32_e32 v3, v6, v3, vcc
	v_lshlrev_b32_e32 v3, 2, v3
	s_waitcnt lgkmcnt(1)
	v_add_f32_e32 v10, v5, v10
	s_waitcnt lgkmcnt(0)
	v_add_f32_e32 v8, v8, v11
	;; [unrolled: 10-line block ×3, first 2 shown]
	ds_bpermute_b32 v12, v4, v10
	ds_bpermute_b32 v11, v4, v8
	v_xor_b32_e32 v9, 2, v6
	v_cmp_lt_i32_e32 vcc, v9, v7
	v_cndmask_b32_e32 v9, v6, v9, vcc
	v_lshlrev_b32_e32 v5, 2, v9
	v_xor_b32_e32 v9, 1, v6
	v_cmp_lt_i32_e32 vcc, v9, v7
	s_waitcnt lgkmcnt(1)
	v_add_f32_e32 v7, v10, v12
	s_waitcnt lgkmcnt(0)
	v_add_f32_e32 v10, v8, v11
	v_cndmask_b32_e32 v6, v6, v9, vcc
	ds_bpermute_b32 v9, v5, v7
	ds_bpermute_b32 v11, v5, v10
	s_load_dwordx2 s[4:5], s[4:5], 0x38
	s_mul_i32 s2, s2, s7
	v_lshlrev_b32_e32 v8, 2, v6
	s_waitcnt lgkmcnt(0)
	v_add_f32_e32 v6, v7, v9
	v_add_f32_e32 v9, v10, v11
	s_mul_i32 s0, s18, s8
	s_add_i32 s2, s2, s6
	ds_bpermute_b32 v7, v8, v6
	ds_bpermute_b32 v10, v8, v9
	s_add_i32 s0, s2, s0
	s_lshl_b64 s[0:1], s[0:1], 2
	s_add_u32 s2, s4, s0
	v_add_u32_e32 v11, s6, v0
	s_addc_u32 s3, s5, s1
	v_cmp_gt_u32_e32 vcc, 2, v0
	v_cmp_gt_u32_e64 s[0:1], s14, v11
	s_and_b64 s[0:1], vcc, s[0:1]
	s_waitcnt lgkmcnt(1)
	v_add_f32_e32 v6, v6, v7
	s_waitcnt lgkmcnt(0)
	v_add_f32_e32 v7, v9, v10
	s_and_saveexec_b64 s[4:5], s[0:1]
	s_cbranch_execz .LBB92_127
; %bb.126:
	v_cmp_eq_u32_e32 vcc, 1, v0
	v_cndmask_b32_e32 v9, v6, v7, vcc
	v_cmp_eq_u32_e32 vcc, 2, v0
	v_cndmask_b32_e32 v9, v9, v97, vcc
	;; [unrolled: 2-line block ×9, first 2 shown]
	v_lshlrev_b32_e32 v10, 2, v0
	global_store_dword v10, v9, s[2:3]
.LBB92_127:
	s_or_b64 exec, exec, s[4:5]
	ds_bpermute_b32 v9, v1, v97
	ds_bpermute_b32 v10, v1, v96
	s_waitcnt lgkmcnt(1)
	v_add_f32_e32 v9, v97, v9
	s_waitcnt lgkmcnt(0)
	v_add_f32_e32 v10, v96, v10
	ds_bpermute_b32 v11, v2, v9
	ds_bpermute_b32 v12, v2, v10
	s_waitcnt lgkmcnt(1)
	v_add_f32_e32 v9, v9, v11
	s_waitcnt lgkmcnt(0)
	v_add_f32_e32 v10, v10, v12
	;; [unrolled: 6-line block ×6, first 2 shown]
	s_and_saveexec_b64 s[4:5], s[0:1]
	s_cbranch_execz .LBB92_129
; %bb.128:
	v_add_u32_e32 v11, 2, v0
	v_cmp_eq_u32_e32 vcc, 1, v11
	v_cndmask_b32_e32 v12, v6, v7, vcc
	v_cmp_eq_u32_e32 vcc, 2, v11
	v_cndmask_b32_e32 v12, v12, v10, vcc
	;; [unrolled: 2-line block ×9, first 2 shown]
	v_add_u32_e32 v11, s14, v0
	v_mov_b32_e32 v12, 0
	v_lshlrev_b64 v[11:12], 2, v[11:12]
	v_mov_b32_e32 v14, s3
	v_add_co_u32_e32 v11, vcc, s2, v11
	v_addc_co_u32_e32 v12, vcc, v14, v12, vcc
	global_store_dword v[11:12], v13, off
.LBB92_129:
	s_or_b64 exec, exec, s[4:5]
	ds_bpermute_b32 v11, v1, v95
	ds_bpermute_b32 v12, v1, v94
	s_waitcnt lgkmcnt(1)
	v_add_f32_e32 v11, v95, v11
	s_waitcnt lgkmcnt(0)
	v_add_f32_e32 v12, v94, v12
	ds_bpermute_b32 v13, v2, v11
	ds_bpermute_b32 v14, v2, v12
	s_waitcnt lgkmcnt(1)
	v_add_f32_e32 v11, v11, v13
	s_waitcnt lgkmcnt(0)
	v_add_f32_e32 v12, v12, v14
	;; [unrolled: 6-line block ×6, first 2 shown]
	s_and_saveexec_b64 s[4:5], s[0:1]
	s_cbranch_execz .LBB92_131
; %bb.130:
	v_add_u32_e32 v13, 4, v0
	v_cmp_eq_u32_e32 vcc, 1, v13
	v_cndmask_b32_e32 v14, v6, v7, vcc
	v_cmp_eq_u32_e32 vcc, 2, v13
	v_cndmask_b32_e32 v14, v14, v10, vcc
	;; [unrolled: 2-line block ×9, first 2 shown]
	v_lshl_or_b32 v13, s14, 1, v0
	v_mov_b32_e32 v14, 0
	v_lshlrev_b64 v[13:14], 2, v[13:14]
	v_mov_b32_e32 v16, s3
	v_add_co_u32_e32 v13, vcc, s2, v13
	v_addc_co_u32_e32 v14, vcc, v16, v14, vcc
	global_store_dword v[13:14], v15, off
.LBB92_131:
	s_or_b64 exec, exec, s[4:5]
	ds_bpermute_b32 v13, v1, v93
	ds_bpermute_b32 v14, v1, v92
	s_waitcnt lgkmcnt(1)
	v_add_f32_e32 v13, v93, v13
	s_waitcnt lgkmcnt(0)
	v_add_f32_e32 v14, v92, v14
	ds_bpermute_b32 v15, v2, v13
	ds_bpermute_b32 v16, v2, v14
	s_waitcnt lgkmcnt(1)
	v_add_f32_e32 v13, v13, v15
	s_waitcnt lgkmcnt(0)
	v_add_f32_e32 v14, v14, v16
	;; [unrolled: 6-line block ×6, first 2 shown]
	s_and_saveexec_b64 s[4:5], s[0:1]
	s_cbranch_execz .LBB92_133
; %bb.132:
	v_add_u32_e32 v17, 6, v0
	v_cmp_eq_u32_e32 vcc, 1, v17
	v_cndmask_b32_e32 v15, v6, v7, vcc
	v_cmp_eq_u32_e32 vcc, 2, v17
	v_cndmask_b32_e32 v15, v15, v10, vcc
	;; [unrolled: 2-line block ×8, first 2 shown]
	v_mad_u64_u32 v[15:16], s[6:7], s14, 3, v[0:1]
	v_mov_b32_e32 v16, 0
	v_cmp_eq_u32_e32 vcc, 9, v17
	v_lshlrev_b64 v[15:16], 2, v[15:16]
	v_cndmask_b32_e32 v17, v18, v90, vcc
	v_mov_b32_e32 v18, s3
	v_add_co_u32_e32 v15, vcc, s2, v15
	v_addc_co_u32_e32 v16, vcc, v18, v16, vcc
	global_store_dword v[15:16], v17, off
.LBB92_133:
	s_or_b64 exec, exec, s[4:5]
	ds_bpermute_b32 v15, v1, v91
	ds_bpermute_b32 v1, v1, v90
	s_waitcnt lgkmcnt(1)
	v_add_f32_e32 v15, v91, v15
	s_waitcnt lgkmcnt(0)
	v_add_f32_e32 v1, v90, v1
	ds_bpermute_b32 v16, v2, v15
	ds_bpermute_b32 v2, v2, v1
	s_waitcnt lgkmcnt(1)
	v_add_f32_e32 v15, v15, v16
	s_waitcnt lgkmcnt(0)
	v_add_f32_e32 v1, v1, v2
	;; [unrolled: 6-line block ×5, first 2 shown]
	ds_bpermute_b32 v3, v8, v1
	ds_bpermute_b32 v4, v8, v2
	s_and_b64 exec, exec, s[0:1]
	s_cbranch_execz .LBB92_135
; %bb.134:
	s_waitcnt lgkmcnt(1)
	v_add_f32_e32 v1, v1, v3
	v_add_u32_e32 v3, 8, v0
	v_cmp_eq_u32_e32 vcc, 1, v3
	s_waitcnt lgkmcnt(0)
	v_add_f32_e32 v2, v2, v4
	v_cndmask_b32_e32 v4, v6, v7, vcc
	v_cmp_eq_u32_e32 vcc, 2, v3
	v_cndmask_b32_e32 v4, v4, v10, vcc
	v_cmp_eq_u32_e32 vcc, 3, v3
	;; [unrolled: 2-line block ×8, first 2 shown]
	v_cndmask_b32_e32 v2, v1, v2, vcc
	v_lshl_or_b32 v0, s14, 2, v0
	v_mov_b32_e32 v1, 0
	v_lshlrev_b64 v[0:1], 2, v[0:1]
	v_mov_b32_e32 v3, s3
	v_add_co_u32_e32 v0, vcc, s2, v0
	v_addc_co_u32_e32 v1, vcc, v3, v1, vcc
	global_store_dword v[0:1], v2, off
.LBB92_135:
	s_endpgm
	.section	.rodata,"a",@progbits
	.p2align	6, 0x0
	.amdhsa_kernel _ZL13mul_mat_vec_qIL9ggml_type40ELi5ELb0ELb0EEvPKvS2_PKi31ggml_cuda_mm_fusion_args_devicePfj15HIP_vector_typeIjLj3EEjjjS8_jjjS8_jjjj
		.amdhsa_group_segment_fixed_size 0
		.amdhsa_private_segment_fixed_size 0
		.amdhsa_kernarg_size 144
		.amdhsa_user_sgpr_count 6
		.amdhsa_user_sgpr_private_segment_buffer 1
		.amdhsa_user_sgpr_dispatch_ptr 0
		.amdhsa_user_sgpr_queue_ptr 0
		.amdhsa_user_sgpr_kernarg_segment_ptr 1
		.amdhsa_user_sgpr_dispatch_id 0
		.amdhsa_user_sgpr_flat_scratch_init 0
		.amdhsa_user_sgpr_private_segment_size 0
		.amdhsa_uses_dynamic_stack 0
		.amdhsa_system_sgpr_private_segment_wavefront_offset 0
		.amdhsa_system_sgpr_workgroup_id_x 1
		.amdhsa_system_sgpr_workgroup_id_y 1
		.amdhsa_system_sgpr_workgroup_id_z 1
		.amdhsa_system_sgpr_workgroup_info 0
		.amdhsa_system_vgpr_workitem_id 1
		.amdhsa_next_free_vgpr 132
		.amdhsa_next_free_sgpr 32
		.amdhsa_reserve_vcc 1
		.amdhsa_reserve_flat_scratch 0
		.amdhsa_float_round_mode_32 0
		.amdhsa_float_round_mode_16_64 0
		.amdhsa_float_denorm_mode_32 3
		.amdhsa_float_denorm_mode_16_64 3
		.amdhsa_dx10_clamp 1
		.amdhsa_ieee_mode 1
		.amdhsa_fp16_overflow 0
		.amdhsa_exception_fp_ieee_invalid_op 0
		.amdhsa_exception_fp_denorm_src 0
		.amdhsa_exception_fp_ieee_div_zero 0
		.amdhsa_exception_fp_ieee_overflow 0
		.amdhsa_exception_fp_ieee_underflow 0
		.amdhsa_exception_fp_ieee_inexact 0
		.amdhsa_exception_int_div_zero 0
	.end_amdhsa_kernel
	.section	.text._ZL13mul_mat_vec_qIL9ggml_type40ELi5ELb0ELb0EEvPKvS2_PKi31ggml_cuda_mm_fusion_args_devicePfj15HIP_vector_typeIjLj3EEjjjS8_jjjS8_jjjj,"axG",@progbits,_ZL13mul_mat_vec_qIL9ggml_type40ELi5ELb0ELb0EEvPKvS2_PKi31ggml_cuda_mm_fusion_args_devicePfj15HIP_vector_typeIjLj3EEjjjS8_jjjS8_jjjj,comdat
.Lfunc_end92:
	.size	_ZL13mul_mat_vec_qIL9ggml_type40ELi5ELb0ELb0EEvPKvS2_PKi31ggml_cuda_mm_fusion_args_devicePfj15HIP_vector_typeIjLj3EEjjjS8_jjjS8_jjjj, .Lfunc_end92-_ZL13mul_mat_vec_qIL9ggml_type40ELi5ELb0ELb0EEvPKvS2_PKi31ggml_cuda_mm_fusion_args_devicePfj15HIP_vector_typeIjLj3EEjjjS8_jjjS8_jjjj
                                        ; -- End function
	.set _ZL13mul_mat_vec_qIL9ggml_type40ELi5ELb0ELb0EEvPKvS2_PKi31ggml_cuda_mm_fusion_args_devicePfj15HIP_vector_typeIjLj3EEjjjS8_jjjS8_jjjj.num_vgpr, 132
	.set _ZL13mul_mat_vec_qIL9ggml_type40ELi5ELb0ELb0EEvPKvS2_PKi31ggml_cuda_mm_fusion_args_devicePfj15HIP_vector_typeIjLj3EEjjjS8_jjjS8_jjjj.num_agpr, 0
	.set _ZL13mul_mat_vec_qIL9ggml_type40ELi5ELb0ELb0EEvPKvS2_PKi31ggml_cuda_mm_fusion_args_devicePfj15HIP_vector_typeIjLj3EEjjjS8_jjjS8_jjjj.numbered_sgpr, 32
	.set _ZL13mul_mat_vec_qIL9ggml_type40ELi5ELb0ELb0EEvPKvS2_PKi31ggml_cuda_mm_fusion_args_devicePfj15HIP_vector_typeIjLj3EEjjjS8_jjjS8_jjjj.num_named_barrier, 0
	.set _ZL13mul_mat_vec_qIL9ggml_type40ELi5ELb0ELb0EEvPKvS2_PKi31ggml_cuda_mm_fusion_args_devicePfj15HIP_vector_typeIjLj3EEjjjS8_jjjS8_jjjj.private_seg_size, 0
	.set _ZL13mul_mat_vec_qIL9ggml_type40ELi5ELb0ELb0EEvPKvS2_PKi31ggml_cuda_mm_fusion_args_devicePfj15HIP_vector_typeIjLj3EEjjjS8_jjjS8_jjjj.uses_vcc, 1
	.set _ZL13mul_mat_vec_qIL9ggml_type40ELi5ELb0ELb0EEvPKvS2_PKi31ggml_cuda_mm_fusion_args_devicePfj15HIP_vector_typeIjLj3EEjjjS8_jjjS8_jjjj.uses_flat_scratch, 0
	.set _ZL13mul_mat_vec_qIL9ggml_type40ELi5ELb0ELb0EEvPKvS2_PKi31ggml_cuda_mm_fusion_args_devicePfj15HIP_vector_typeIjLj3EEjjjS8_jjjS8_jjjj.has_dyn_sized_stack, 0
	.set _ZL13mul_mat_vec_qIL9ggml_type40ELi5ELb0ELb0EEvPKvS2_PKi31ggml_cuda_mm_fusion_args_devicePfj15HIP_vector_typeIjLj3EEjjjS8_jjjS8_jjjj.has_recursion, 0
	.set _ZL13mul_mat_vec_qIL9ggml_type40ELi5ELb0ELb0EEvPKvS2_PKi31ggml_cuda_mm_fusion_args_devicePfj15HIP_vector_typeIjLj3EEjjjS8_jjjS8_jjjj.has_indirect_call, 0
	.section	.AMDGPU.csdata,"",@progbits
; Kernel info:
; codeLenInByte = 11492
; TotalNumSgprs: 36
; NumVgprs: 132
; ScratchSize: 0
; MemoryBound: 0
; FloatMode: 240
; IeeeMode: 1
; LDSByteSize: 0 bytes/workgroup (compile time only)
; SGPRBlocks: 4
; VGPRBlocks: 32
; NumSGPRsForWavesPerEU: 36
; NumVGPRsForWavesPerEU: 132
; Occupancy: 1
; WaveLimiterHint : 0
; COMPUTE_PGM_RSRC2:SCRATCH_EN: 0
; COMPUTE_PGM_RSRC2:USER_SGPR: 6
; COMPUTE_PGM_RSRC2:TRAP_HANDLER: 0
; COMPUTE_PGM_RSRC2:TGID_X_EN: 1
; COMPUTE_PGM_RSRC2:TGID_Y_EN: 1
; COMPUTE_PGM_RSRC2:TGID_Z_EN: 1
; COMPUTE_PGM_RSRC2:TIDIG_COMP_CNT: 1
	.section	.text._ZL13mul_mat_vec_qIL9ggml_type40ELi6ELb0ELb0EEvPKvS2_PKi31ggml_cuda_mm_fusion_args_devicePfj15HIP_vector_typeIjLj3EEjjjS8_jjjS8_jjjj,"axG",@progbits,_ZL13mul_mat_vec_qIL9ggml_type40ELi6ELb0ELb0EEvPKvS2_PKi31ggml_cuda_mm_fusion_args_devicePfj15HIP_vector_typeIjLj3EEjjjS8_jjjS8_jjjj,comdat
	.globl	_ZL13mul_mat_vec_qIL9ggml_type40ELi6ELb0ELb0EEvPKvS2_PKi31ggml_cuda_mm_fusion_args_devicePfj15HIP_vector_typeIjLj3EEjjjS8_jjjS8_jjjj ; -- Begin function _ZL13mul_mat_vec_qIL9ggml_type40ELi6ELb0ELb0EEvPKvS2_PKi31ggml_cuda_mm_fusion_args_devicePfj15HIP_vector_typeIjLj3EEjjjS8_jjjS8_jjjj
	.p2align	8
	.type	_ZL13mul_mat_vec_qIL9ggml_type40ELi6ELb0ELb0EEvPKvS2_PKi31ggml_cuda_mm_fusion_args_devicePfj15HIP_vector_typeIjLj3EEjjjS8_jjjS8_jjjj,@function
_ZL13mul_mat_vec_qIL9ggml_type40ELi6ELb0ELb0EEvPKvS2_PKi31ggml_cuda_mm_fusion_args_devicePfj15HIP_vector_typeIjLj3EEjjjS8_jjjS8_jjjj: ; @_ZL13mul_mat_vec_qIL9ggml_type40ELi6ELb0ELb0EEvPKvS2_PKi31ggml_cuda_mm_fusion_args_devicePfj15HIP_vector_typeIjLj3EEjjjS8_jjjS8_jjjj
; %bb.0:
	s_load_dword s9, s[4:5], 0x40
	s_load_dwordx4 s[12:15], s[4:5], 0x50
	s_load_dword s25, s[4:5], 0x60
	s_load_dwordx4 s[0:3], s[4:5], 0x68
	;; [unrolled: 2-line block ×3, first 2 shown]
	v_lshl_or_b32 v2, v1, 6, v0
	s_waitcnt lgkmcnt(0)
	s_lshr_b32 s9, s9, 6
	v_lshrrev_b16_e32 v116, 1, v2
	v_mov_b32_e32 v106, 0
	s_lshl_b32 s6, s6, 1
	v_cmp_gt_u32_e32 vcc, s9, v116
	v_mov_b32_e32 v107, v106
	v_mov_b32_e32 v108, v106
	;; [unrolled: 1-line block ×11, first 2 shown]
	s_and_saveexec_b64 s[10:11], vcc
	s_cbranch_execz .LBB93_148
; %bb.1:
	s_load_dwordx4 s[20:23], s[4:5], 0x0
	s_mul_i32 s17, s17, s8
	s_mul_i32 s26, s17, 36
	;; [unrolled: 1-line block ×3, first 2 shown]
	s_mul_hi_u32 s19, s17, 36
	s_waitcnt lgkmcnt(0)
	s_add_u32 s28, s22, s26
	s_addc_u32 s19, s23, s19
	s_mul_i32 s26, s1, 36
	s_mul_hi_u32 s27, s1, 36
	s_add_u32 s28, s28, s26
	s_mul_hi_u32 s1, s15, s7
	s_addc_u32 s29, s19, s27
	s_add_i32 s1, s7, s1
	s_lshr_b32 s1, s1, s25
	s_mul_i32 s1, s1, s0
	s_mul_hi_u32 s0, s3, s8
	s_add_i32 s0, s8, s0
	s_lshr_b32 s0, s0, s24
	v_lshlrev_b32_e32 v3, 2, v0
	s_mul_i32 s0, s0, s16
	v_and_b32_e32 v119, 4, v3
	v_and_b32_e32 v4, 1, v0
	s_add_i32 s16, s0, s1
	v_or_b32_e32 v3, 2, v119
	v_mad_u64_u32 v[50:51], s[0:1], v4, 36, s[28:29]
	v_lshrrev_b32_e32 v121, 1, v3
	s_mul_i32 s0, s6, s12
	v_lshrrev_b32_e32 v5, 1, v2
	v_mov_b32_e32 v2, s26
	s_add_i32 s3, s16, s0
	s_movk_i32 s0, 0x48
	v_mov_b32_e32 v3, s27
	v_mad_u64_u32 v[2:3], s[0:1], v5, s0, v[2:3]
	s_add_i32 s19, s6, 1
	v_mov_b32_e32 v106, 0
	v_mad_u64_u32 v[2:3], s[0:1], s17, 36, v[2:3]
	s_mul_i32 s0, s12, s19
	s_add_i32 s12, s16, s0
	v_mad_u64_u32 v[2:3], s[0:1], v4, 36, v[2:3]
	v_mov_b32_e32 v4, s23
	v_lshrrev_b32_e32 v120, 1, v119
	v_add_co_u32_e32 v52, vcc, s22, v2
	s_lshl_b32 s15, s13, 1
	v_lshlrev_b32_e32 v122, 1, v116
	v_addc_co_u32_e32 v53, vcc, v4, v3, vcc
	s_mul_i32 s19, s13, 3
	s_lshl_b32 s24, s13, 2
	s_mul_i32 s25, s13, 5
	s_mov_b64 s[16:17], 0
	s_movk_i32 s26, 0x7e
	s_movk_i32 s27, 0x7f
	s_mov_b32 s28, 0x3e000000
	s_mov_b32 s29, 0xf4f8fafc
	;; [unrolled: 1-line block ×3, first 2 shown]
	v_mov_b32_e32 v123, 0xfdfeff00
	v_mov_b32_e32 v124, 0x3020100
	;; [unrolled: 1-line block ×13, first 2 shown]
	s_branch .LBB93_3
.LBB93_2:                               ;   in Loop: Header=BB93_3 Depth=1
	s_or_b64 exec, exec, s[22:23]
	v_ashrrev_i32_e32 v84, 4, v81
	v_and_b32_e32 v85, 0x7070707, v84
	v_lshrrev_b32_e32 v84, 1, v84
	v_and_b32_e32 v84, 0x4040404, v84
	v_perm_b32 v153, s29, v123, v85
	v_perm_b32 v85, s30, v124, v85
	v_or_b32_e32 v84, 0x3020100, v84
	v_perm_b32 v84, v153, v85, v84
	v_and_b32_e32 v85, 0x7070707, v81
	v_lshrrev_b32_e32 v81, 1, v81
	v_and_b32_e32 v81, 0x4040404, v81
	v_perm_b32 v153, s29, v123, v85
	v_perm_b32 v85, s30, v124, v85
	v_or_b32_e32 v81, 0x3020100, v81
	v_perm_b32 v81, v153, v85, v81
	v_ashrrev_i32_e32 v85, 4, v80
	v_and_b32_e32 v153, 0x7070707, v85
	v_lshrrev_b32_e32 v85, 1, v85
	v_and_b32_e32 v85, 0x4040404, v85
	v_perm_b32 v154, s29, v123, v153
	v_perm_b32 v153, s30, v124, v153
	v_or_b32_e32 v85, 0x3020100, v85
	v_perm_b32 v85, v154, v153, v85
	v_and_b32_e32 v153, 0x7070707, v80
	v_lshrrev_b32_e32 v80, 1, v80
	v_and_b32_e32 v80, 0x4040404, v80
	v_perm_b32 v154, s29, v123, v153
	v_perm_b32 v153, s30, v124, v153
	v_or_b32_e32 v80, 0x3020100, v80
	v_perm_b32 v80, v154, v153, v80
	v_dot4_i32_i8 v80, v80, v27, 0
	v_dot4_i32_i8 v80, v85, v29, v80
	;; [unrolled: 1-line block ×3, first 2 shown]
	v_ashrrev_i32_e32 v81, 4, v105
	v_and_b32_e32 v85, 0x7070707, v81
	v_lshrrev_b32_e32 v81, 1, v81
	v_and_b32_e32 v81, 0x4040404, v81
	v_perm_b32 v153, s29, v123, v85
	v_perm_b32 v85, s30, v124, v85
	v_or_b32_e32 v81, 0x3020100, v81
	v_perm_b32 v81, v153, v85, v81
	v_and_b32_e32 v85, 0x7070707, v105
	v_lshrrev_b32_e32 v105, 1, v105
	v_and_b32_e32 v105, 0x4040404, v105
	v_perm_b32 v153, s29, v123, v85
	v_perm_b32 v85, s30, v124, v85
	v_or_b32_e32 v105, 0x3020100, v105
	v_perm_b32 v85, v153, v85, v105
	v_ashrrev_i32_e32 v105, 4, v104
	v_and_b32_e32 v153, 0x7070707, v105
	v_lshrrev_b32_e32 v105, 1, v105
	v_and_b32_e32 v105, 0x4040404, v105
	v_perm_b32 v154, s29, v123, v153
	v_perm_b32 v153, s30, v124, v153
	v_or_b32_e32 v105, 0x3020100, v105
	v_perm_b32 v105, v154, v153, v105
	v_and_b32_e32 v153, 0x7070707, v104
	v_lshrrev_b32_e32 v104, 1, v104
	v_and_b32_e32 v104, 0x4040404, v104
	v_perm_b32 v154, s29, v123, v153
	v_perm_b32 v153, s30, v124, v153
	v_or_b32_e32 v104, 0x3020100, v104
	v_perm_b32 v104, v154, v153, v104
	v_dot4_i32_i8 v104, v104, v31, 0
	v_dot4_i32_i8 v104, v105, v33, v104
	;; [unrolled: 1-line block ×3, first 2 shown]
	v_cvt_f32_f16_e32 v30, v30
	v_dot4_i32_i8 v81, v81, v26, v85
	v_cvt_f32_i32_e32 v81, v81
	v_dot4_i32_i8 v80, v84, v140, v80
	v_cvt_f32_i32_e32 v80, v80
	v_mul_f32_e32 v84, v151, v30
	v_fma_f32 v81, v84, v81, 0
	v_mul_f32_e32 v84, v152, v30
	v_fmac_f32_e32 v81, v84, v80
	v_ashrrev_i32_e32 v80, 4, v103
	v_add_f32_e32 v107, v107, v81
	v_and_b32_e32 v81, 0x7070707, v80
	v_lshrrev_b32_e32 v80, 1, v80
	v_and_b32_e32 v80, 0x4040404, v80
	v_perm_b32 v84, s29, v123, v81
	v_perm_b32 v81, s30, v124, v81
	v_or_b32_e32 v80, 0x3020100, v80
	v_lshrrev_b32_e32 v85, 1, v103
	v_perm_b32 v80, v84, v81, v80
	v_and_b32_e32 v81, 0x7070707, v103
	v_and_b32_e32 v85, 0x4040404, v85
	v_perm_b32 v84, s29, v123, v81
	v_perm_b32 v81, s30, v124, v81
	v_or_b32_e32 v85, 0x3020100, v85
	v_perm_b32 v81, v84, v81, v85
	v_ashrrev_i32_e32 v84, 4, v102
	v_and_b32_e32 v85, 0x7070707, v84
	v_lshrrev_b32_e32 v84, 1, v84
	v_and_b32_e32 v84, 0x4040404, v84
	v_perm_b32 v103, s29, v123, v85
	v_perm_b32 v85, s30, v124, v85
	v_or_b32_e32 v84, 0x3020100, v84
	v_perm_b32 v84, v103, v85, v84
	v_and_b32_e32 v85, 0x7070707, v102
	v_lshrrev_b32_e32 v102, 1, v102
	v_and_b32_e32 v102, 0x4040404, v102
	v_perm_b32 v103, s29, v123, v85
	v_perm_b32 v85, s30, v124, v85
	v_or_b32_e32 v102, 0x3020100, v102
	v_perm_b32 v85, v103, v85, v102
	v_dot4_i32_i8 v85, v85, v43, 0
	v_dot4_i32_i8 v84, v84, v45, v85
	v_dot4_i32_i8 v81, v81, v44, v84
	v_ashrrev_i32_e32 v84, 4, v101
	v_and_b32_e32 v85, 0x7070707, v84
	v_lshrrev_b32_e32 v84, 1, v84
	v_and_b32_e32 v84, 0x4040404, v84
	v_perm_b32 v102, s29, v123, v85
	v_perm_b32 v85, s30, v124, v85
	v_or_b32_e32 v84, 0x3020100, v84
	v_perm_b32 v84, v102, v85, v84
	v_and_b32_e32 v85, 0x7070707, v101
	v_lshrrev_b32_e32 v101, 1, v101
	v_and_b32_e32 v101, 0x4040404, v101
	v_perm_b32 v102, s29, v123, v85
	v_perm_b32 v85, s30, v124, v85
	v_or_b32_e32 v101, 0x3020100, v101
	v_perm_b32 v85, v102, v85, v101
	v_ashrrev_i32_e32 v101, 4, v100
	v_and_b32_e32 v102, 0x7070707, v101
	v_lshrrev_b32_e32 v101, 1, v101
	v_and_b32_e32 v101, 0x4040404, v101
	v_perm_b32 v103, s29, v123, v102
	v_perm_b32 v102, s30, v124, v102
	v_or_b32_e32 v101, 0x3020100, v101
	v_perm_b32 v101, v103, v102, v101
	v_and_b32_e32 v102, 0x7070707, v100
	v_lshrrev_b32_e32 v100, 1, v100
	v_and_b32_e32 v100, 0x4040404, v100
	v_perm_b32 v103, s29, v123, v102
	v_perm_b32 v102, s30, v124, v102
	v_or_b32_e32 v100, 0x3020100, v100
	v_perm_b32 v100, v103, v102, v100
	v_dot4_i32_i8 v100, v100, v47, 0
	v_dot4_i32_i8 v100, v101, v49, v100
	;; [unrolled: 1-line block ×3, first 2 shown]
	v_cvt_f32_f16_e32 v46, v46
	v_dot4_i32_i8 v84, v84, v42, v85
	v_cvt_f32_i32_e32 v84, v84
	v_dot4_i32_i8 v80, v80, v146, v81
	v_cvt_f32_i32_e32 v80, v80
	v_mul_f32_e32 v81, v149, v46
	v_fma_f32 v81, v81, v84, 0
	v_mul_f32_e32 v84, v150, v46
	v_fmac_f32_e32 v81, v84, v80
	v_ashrrev_i32_e32 v80, 4, v99
	v_add_f32_e32 v108, v108, v81
	v_and_b32_e32 v81, 0x7070707, v80
	v_lshrrev_b32_e32 v80, 1, v80
	v_and_b32_e32 v80, 0x4040404, v80
	v_perm_b32 v84, s29, v123, v81
	v_perm_b32 v81, s30, v124, v81
	v_or_b32_e32 v80, 0x3020100, v80
	v_lshrrev_b32_e32 v85, 1, v99
	v_perm_b32 v80, v84, v81, v80
	v_and_b32_e32 v81, 0x7070707, v99
	v_and_b32_e32 v85, 0x4040404, v85
	v_perm_b32 v84, s29, v123, v81
	v_perm_b32 v81, s30, v124, v81
	v_or_b32_e32 v85, 0x3020100, v85
	v_perm_b32 v81, v84, v81, v85
	v_ashrrev_i32_e32 v84, 4, v98
	v_and_b32_e32 v85, 0x7070707, v84
	v_lshrrev_b32_e32 v84, 1, v84
	v_and_b32_e32 v84, 0x4040404, v84
	v_perm_b32 v99, s29, v123, v85
	v_perm_b32 v85, s30, v124, v85
	v_or_b32_e32 v84, 0x3020100, v84
	v_perm_b32 v84, v99, v85, v84
	v_and_b32_e32 v85, 0x7070707, v98
	v_lshrrev_b32_e32 v98, 1, v98
	v_and_b32_e32 v98, 0x4040404, v98
	v_perm_b32 v99, s29, v123, v85
	v_perm_b32 v85, s30, v124, v85
	v_or_b32_e32 v98, 0x3020100, v98
	v_perm_b32 v85, v99, v85, v98
	v_dot4_i32_i8 v43, v85, v43, 0
	v_dot4_i32_i8 v43, v84, v45, v43
	v_dot4_i32_i8 v43, v81, v44, v43
	v_ashrrev_i32_e32 v44, 4, v97
	v_and_b32_e32 v45, 0x7070707, v44
	v_lshrrev_b32_e32 v44, 1, v44
	v_and_b32_e32 v44, 0x4040404, v44
	v_perm_b32 v81, s29, v123, v45
	v_perm_b32 v45, s30, v124, v45
	v_or_b32_e32 v44, 0x3020100, v44
	v_lshrrev_b32_e32 v84, 1, v97
	v_perm_b32 v44, v81, v45, v44
	v_and_b32_e32 v45, 0x7070707, v97
	v_and_b32_e32 v84, 0x4040404, v84
	v_perm_b32 v81, s29, v123, v45
	v_perm_b32 v45, s30, v124, v45
	v_or_b32_e32 v84, 0x3020100, v84
	v_perm_b32 v45, v81, v45, v84
	v_ashrrev_i32_e32 v81, 4, v96
	v_and_b32_e32 v84, 0x7070707, v81
	v_lshrrev_b32_e32 v81, 1, v81
	v_and_b32_e32 v81, 0x4040404, v81
	v_perm_b32 v85, s29, v123, v84
	v_perm_b32 v84, s30, v124, v84
	v_or_b32_e32 v81, 0x3020100, v81
	v_perm_b32 v81, v85, v84, v81
	v_and_b32_e32 v84, 0x7070707, v96
	v_lshrrev_b32_e32 v96, 1, v96
	v_and_b32_e32 v96, 0x4040404, v96
	v_perm_b32 v85, s29, v123, v84
	v_perm_b32 v84, s30, v124, v84
	v_or_b32_e32 v96, 0x3020100, v96
	v_perm_b32 v84, v85, v84, v96
	v_dot4_i32_i8 v47, v84, v47, 0
	v_dot4_i32_i8 v47, v81, v49, v47
	;; [unrolled: 1-line block ×4, first 2 shown]
	v_cvt_f32_i32_e32 v42, v42
	v_dot4_i32_i8 v43, v80, v146, v43
	v_cvt_f32_i32_e32 v43, v43
	v_mul_f32_e32 v44, v147, v46
	v_fma_f32 v42, v44, v42, 0
	v_mul_f32_e32 v44, v148, v46
	v_fmac_f32_e32 v42, v44, v43
	v_add_f32_e32 v109, v109, v42
	v_ashrrev_i32_e32 v42, 4, v95
	v_and_b32_e32 v43, 0x7070707, v42
	v_lshrrev_b32_e32 v42, 1, v42
	v_and_b32_e32 v42, 0x4040404, v42
	v_perm_b32 v44, s29, v123, v43
	v_perm_b32 v43, s30, v124, v43
	v_or_b32_e32 v42, 0x3020100, v42
	v_lshrrev_b32_e32 v45, 1, v95
	v_perm_b32 v42, v44, v43, v42
	v_and_b32_e32 v43, 0x7070707, v95
	v_and_b32_e32 v45, 0x4040404, v45
	v_perm_b32 v44, s29, v123, v43
	v_perm_b32 v43, s30, v124, v43
	v_or_b32_e32 v45, 0x3020100, v45
	v_perm_b32 v43, v44, v43, v45
	v_ashrrev_i32_e32 v44, 4, v94
	v_and_b32_e32 v45, 0x7070707, v44
	v_lshrrev_b32_e32 v44, 1, v44
	v_and_b32_e32 v44, 0x4040404, v44
	v_perm_b32 v46, s29, v123, v45
	v_perm_b32 v45, s30, v124, v45
	v_or_b32_e32 v44, 0x3020100, v44
	v_lshrrev_b32_e32 v47, 1, v94
	v_perm_b32 v44, v46, v45, v44
	v_and_b32_e32 v45, 0x7070707, v94
	v_and_b32_e32 v47, 0x4040404, v47
	v_perm_b32 v46, s29, v123, v45
	v_perm_b32 v45, s30, v124, v45
	v_or_b32_e32 v47, 0x3020100, v47
	v_perm_b32 v45, v46, v45, v47
	v_dot4_i32_i8 v45, v45, v35, 0
	v_dot4_i32_i8 v44, v44, v37, v45
	;; [unrolled: 1-line block ×3, first 2 shown]
	v_ashrrev_i32_e32 v44, 4, v93
	v_and_b32_e32 v45, 0x7070707, v44
	v_lshrrev_b32_e32 v44, 1, v44
	v_and_b32_e32 v44, 0x4040404, v44
	v_perm_b32 v46, s29, v123, v45
	v_perm_b32 v45, s30, v124, v45
	v_or_b32_e32 v44, 0x3020100, v44
	v_lshrrev_b32_e32 v47, 1, v93
	v_perm_b32 v44, v46, v45, v44
	v_and_b32_e32 v45, 0x7070707, v93
	v_and_b32_e32 v47, 0x4040404, v47
	v_perm_b32 v46, s29, v123, v45
	v_perm_b32 v45, s30, v124, v45
	v_or_b32_e32 v47, 0x3020100, v47
	v_perm_b32 v45, v46, v45, v47
	v_ashrrev_i32_e32 v46, 4, v92
	v_and_b32_e32 v47, 0x7070707, v46
	v_lshrrev_b32_e32 v46, 1, v46
	v_and_b32_e32 v46, 0x4040404, v46
	v_perm_b32 v48, s29, v123, v47
	v_perm_b32 v47, s30, v124, v47
	v_or_b32_e32 v46, 0x3020100, v46
	v_lshrrev_b32_e32 v49, 1, v92
	v_perm_b32 v46, v48, v47, v46
	v_and_b32_e32 v47, 0x7070707, v92
	v_and_b32_e32 v49, 0x4040404, v49
	v_perm_b32 v48, s29, v123, v47
	v_perm_b32 v47, s30, v124, v47
	v_or_b32_e32 v49, 0x3020100, v49
	v_perm_b32 v47, v48, v47, v49
	v_dot4_i32_i8 v47, v47, v39, 0
	v_dot4_i32_i8 v46, v46, v41, v47
	;; [unrolled: 1-line block ×3, first 2 shown]
	v_cvt_f32_f16_e32 v38, v38
	v_dot4_i32_i8 v44, v44, v34, v45
	v_cvt_f32_i32_e32 v44, v44
	v_dot4_i32_i8 v42, v42, v141, v43
	v_cvt_f32_i32_e32 v42, v42
	v_mul_f32_e32 v43, v144, v38
	v_fma_f32 v43, v43, v44, 0
	v_mul_f32_e32 v44, v145, v38
	v_fmac_f32_e32 v43, v44, v42
	v_ashrrev_i32_e32 v42, 4, v91
	v_add_f32_e32 v110, v110, v43
	v_and_b32_e32 v43, 0x7070707, v42
	v_lshrrev_b32_e32 v42, 1, v42
	v_and_b32_e32 v42, 0x4040404, v42
	v_perm_b32 v44, s29, v123, v43
	v_perm_b32 v43, s30, v124, v43
	v_or_b32_e32 v42, 0x3020100, v42
	v_lshrrev_b32_e32 v45, 1, v91
	v_perm_b32 v42, v44, v43, v42
	v_and_b32_e32 v43, 0x7070707, v91
	v_and_b32_e32 v45, 0x4040404, v45
	v_perm_b32 v44, s29, v123, v43
	v_perm_b32 v43, s30, v124, v43
	v_or_b32_e32 v45, 0x3020100, v45
	v_perm_b32 v43, v44, v43, v45
	v_ashrrev_i32_e32 v44, 4, v90
	v_and_b32_e32 v45, 0x7070707, v44
	v_lshrrev_b32_e32 v44, 1, v44
	v_and_b32_e32 v44, 0x4040404, v44
	v_perm_b32 v46, s29, v123, v45
	v_perm_b32 v45, s30, v124, v45
	v_or_b32_e32 v44, 0x3020100, v44
	v_lshrrev_b32_e32 v47, 1, v90
	v_perm_b32 v44, v46, v45, v44
	v_and_b32_e32 v45, 0x7070707, v90
	v_and_b32_e32 v47, 0x4040404, v47
	v_perm_b32 v46, s29, v123, v45
	v_perm_b32 v45, s30, v124, v45
	v_or_b32_e32 v47, 0x3020100, v47
	v_perm_b32 v45, v46, v45, v47
	v_dot4_i32_i8 v35, v45, v35, 0
	v_dot4_i32_i8 v35, v44, v37, v35
	;; [unrolled: 1-line block ×3, first 2 shown]
	v_ashrrev_i32_e32 v36, 4, v89
	v_and_b32_e32 v37, 0x7070707, v36
	v_lshrrev_b32_e32 v36, 1, v36
	v_and_b32_e32 v36, 0x4040404, v36
	v_perm_b32 v43, s29, v123, v37
	v_perm_b32 v37, s30, v124, v37
	v_or_b32_e32 v36, 0x3020100, v36
	v_lshrrev_b32_e32 v44, 1, v89
	v_perm_b32 v36, v43, v37, v36
	v_and_b32_e32 v37, 0x7070707, v89
	v_and_b32_e32 v44, 0x4040404, v44
	v_perm_b32 v43, s29, v123, v37
	v_perm_b32 v37, s30, v124, v37
	v_or_b32_e32 v44, 0x3020100, v44
	v_perm_b32 v37, v43, v37, v44
	v_ashrrev_i32_e32 v43, 4, v88
	v_and_b32_e32 v44, 0x7070707, v43
	v_lshrrev_b32_e32 v43, 1, v43
	v_and_b32_e32 v43, 0x4040404, v43
	v_perm_b32 v45, s29, v123, v44
	v_perm_b32 v44, s30, v124, v44
	v_or_b32_e32 v43, 0x3020100, v43
	v_lshrrev_b32_e32 v46, 1, v88
	v_perm_b32 v43, v45, v44, v43
	v_and_b32_e32 v44, 0x7070707, v88
	v_and_b32_e32 v46, 0x4040404, v46
	v_perm_b32 v45, s29, v123, v44
	v_perm_b32 v44, s30, v124, v44
	v_or_b32_e32 v46, 0x3020100, v46
	v_perm_b32 v44, v45, v44, v46
	v_dot4_i32_i8 v39, v44, v39, 0
	v_dot4_i32_i8 v39, v43, v41, v39
	;; [unrolled: 1-line block ×4, first 2 shown]
	v_cvt_f32_i32_e32 v34, v34
	v_dot4_i32_i8 v35, v42, v141, v35
	v_cvt_f32_i32_e32 v35, v35
	v_mul_f32_e32 v36, v142, v38
	v_fma_f32 v34, v36, v34, 0
	v_mul_f32_e32 v36, v143, v38
	v_fmac_f32_e32 v34, v36, v35
	v_add_f32_e32 v111, v111, v34
	v_ashrrev_i32_e32 v34, 4, v87
	v_and_b32_e32 v35, 0x7070707, v34
	v_lshrrev_b32_e32 v34, 1, v34
	v_and_b32_e32 v34, 0x4040404, v34
	v_perm_b32 v36, s29, v123, v35
	v_perm_b32 v35, s30, v124, v35
	v_or_b32_e32 v34, 0x3020100, v34
	v_lshrrev_b32_e32 v37, 1, v87
	v_perm_b32 v34, v36, v35, v34
	v_and_b32_e32 v35, 0x7070707, v87
	v_and_b32_e32 v37, 0x4040404, v37
	v_perm_b32 v36, s29, v123, v35
	v_perm_b32 v35, s30, v124, v35
	v_or_b32_e32 v37, 0x3020100, v37
	v_perm_b32 v35, v36, v35, v37
	v_ashrrev_i32_e32 v36, 4, v86
	v_and_b32_e32 v37, 0x7070707, v36
	v_lshrrev_b32_e32 v36, 1, v36
	v_and_b32_e32 v36, 0x4040404, v36
	v_perm_b32 v38, s29, v123, v37
	v_perm_b32 v37, s30, v124, v37
	v_or_b32_e32 v36, 0x3020100, v36
	v_lshrrev_b32_e32 v39, 1, v86
	v_perm_b32 v36, v38, v37, v36
	v_and_b32_e32 v37, 0x7070707, v86
	v_and_b32_e32 v39, 0x4040404, v39
	v_perm_b32 v38, s29, v123, v37
	v_perm_b32 v37, s30, v124, v37
	v_or_b32_e32 v39, 0x3020100, v39
	v_perm_b32 v37, v38, v37, v39
	v_dot4_i32_i8 v37, v37, v19, 0
	v_dot4_i32_i8 v36, v36, v21, v37
	;; [unrolled: 1-line block ×3, first 2 shown]
	v_ashrrev_i32_e32 v36, 4, v75
	v_and_b32_e32 v37, 0x7070707, v36
	v_lshrrev_b32_e32 v36, 1, v36
	v_and_b32_e32 v36, 0x4040404, v36
	v_perm_b32 v38, s29, v123, v37
	v_perm_b32 v37, s30, v124, v37
	v_or_b32_e32 v36, 0x3020100, v36
	v_lshrrev_b32_e32 v39, 1, v75
	v_perm_b32 v36, v38, v37, v36
	v_and_b32_e32 v37, 0x7070707, v75
	v_and_b32_e32 v39, 0x4040404, v39
	v_perm_b32 v38, s29, v123, v37
	v_perm_b32 v37, s30, v124, v37
	v_or_b32_e32 v39, 0x3020100, v39
	v_perm_b32 v37, v38, v37, v39
	v_ashrrev_i32_e32 v38, 4, v74
	v_and_b32_e32 v39, 0x7070707, v38
	v_lshrrev_b32_e32 v38, 1, v38
	v_and_b32_e32 v38, 0x4040404, v38
	v_perm_b32 v40, s29, v123, v39
	v_perm_b32 v39, s30, v124, v39
	v_or_b32_e32 v38, 0x3020100, v38
	v_lshrrev_b32_e32 v41, 1, v74
	v_perm_b32 v38, v40, v39, v38
	v_and_b32_e32 v39, 0x7070707, v74
	v_and_b32_e32 v41, 0x4040404, v41
	v_perm_b32 v40, s29, v123, v39
	v_perm_b32 v39, s30, v124, v39
	v_or_b32_e32 v41, 0x3020100, v41
	v_perm_b32 v39, v40, v39, v41
	v_dot4_i32_i8 v39, v39, v23, 0
	v_dot4_i32_i8 v38, v38, v25, v39
	;; [unrolled: 1-line block ×3, first 2 shown]
	v_cvt_f32_f16_e32 v22, v22
	v_dot4_i32_i8 v36, v36, v18, v37
	v_cvt_f32_i32_e32 v36, v36
	v_dot4_i32_i8 v34, v34, v135, v35
	v_cvt_f32_i32_e32 v34, v34
	v_mul_f32_e32 v35, v138, v22
	v_fma_f32 v35, v35, v36, 0
	v_mul_f32_e32 v36, v139, v22
	v_fmac_f32_e32 v35, v36, v34
	v_ashrrev_i32_e32 v34, 4, v73
	v_add_f32_e32 v112, v112, v35
	v_and_b32_e32 v35, 0x7070707, v34
	v_lshrrev_b32_e32 v34, 1, v34
	v_and_b32_e32 v34, 0x4040404, v34
	v_perm_b32 v36, s29, v123, v35
	v_perm_b32 v35, s30, v124, v35
	v_or_b32_e32 v34, 0x3020100, v34
	v_lshrrev_b32_e32 v37, 1, v73
	v_perm_b32 v34, v36, v35, v34
	v_and_b32_e32 v35, 0x7070707, v73
	v_and_b32_e32 v37, 0x4040404, v37
	v_perm_b32 v36, s29, v123, v35
	v_perm_b32 v35, s30, v124, v35
	v_or_b32_e32 v37, 0x3020100, v37
	v_perm_b32 v35, v36, v35, v37
	v_ashrrev_i32_e32 v36, 4, v72
	v_and_b32_e32 v37, 0x7070707, v36
	v_lshrrev_b32_e32 v36, 1, v36
	v_and_b32_e32 v36, 0x4040404, v36
	v_perm_b32 v38, s29, v123, v37
	v_perm_b32 v37, s30, v124, v37
	v_or_b32_e32 v36, 0x3020100, v36
	v_lshrrev_b32_e32 v39, 1, v72
	v_perm_b32 v36, v38, v37, v36
	v_and_b32_e32 v37, 0x7070707, v72
	v_and_b32_e32 v39, 0x4040404, v39
	v_perm_b32 v38, s29, v123, v37
	v_perm_b32 v37, s30, v124, v37
	v_or_b32_e32 v39, 0x3020100, v39
	v_perm_b32 v37, v38, v37, v39
	v_dot4_i32_i8 v19, v37, v19, 0
	v_dot4_i32_i8 v19, v36, v21, v19
	;; [unrolled: 1-line block ×3, first 2 shown]
	v_ashrrev_i32_e32 v20, 4, v71
	v_and_b32_e32 v21, 0x7070707, v20
	v_lshrrev_b32_e32 v20, 1, v20
	v_and_b32_e32 v20, 0x4040404, v20
	v_perm_b32 v35, s29, v123, v21
	v_perm_b32 v21, s30, v124, v21
	v_or_b32_e32 v20, 0x3020100, v20
	v_lshrrev_b32_e32 v36, 1, v71
	v_perm_b32 v20, v35, v21, v20
	v_and_b32_e32 v21, 0x7070707, v71
	v_and_b32_e32 v36, 0x4040404, v36
	v_perm_b32 v35, s29, v123, v21
	v_perm_b32 v21, s30, v124, v21
	v_or_b32_e32 v36, 0x3020100, v36
	v_perm_b32 v21, v35, v21, v36
	v_ashrrev_i32_e32 v35, 4, v70
	v_and_b32_e32 v36, 0x7070707, v35
	v_lshrrev_b32_e32 v35, 1, v35
	v_and_b32_e32 v35, 0x4040404, v35
	v_perm_b32 v37, s29, v123, v36
	v_perm_b32 v36, s30, v124, v36
	v_or_b32_e32 v35, 0x3020100, v35
	v_lshrrev_b32_e32 v38, 1, v70
	v_perm_b32 v35, v37, v36, v35
	v_and_b32_e32 v36, 0x7070707, v70
	v_and_b32_e32 v38, 0x4040404, v38
	v_perm_b32 v37, s29, v123, v36
	v_perm_b32 v36, s30, v124, v36
	v_or_b32_e32 v38, 0x3020100, v38
	v_perm_b32 v36, v37, v36, v38
	v_dot4_i32_i8 v23, v36, v23, 0
	v_dot4_i32_i8 v23, v35, v25, v23
	;; [unrolled: 1-line block ×4, first 2 shown]
	v_cvt_f32_i32_e32 v18, v18
	v_dot4_i32_i8 v19, v34, v135, v19
	v_cvt_f32_i32_e32 v19, v19
	v_mul_f32_e32 v20, v136, v22
	v_fma_f32 v18, v20, v18, 0
	v_mul_f32_e32 v20, v137, v22
	v_fmac_f32_e32 v18, v20, v19
	v_add_f32_e32 v113, v113, v18
	v_ashrrev_i32_e32 v18, 4, v69
	v_and_b32_e32 v19, 0x7070707, v18
	v_lshrrev_b32_e32 v18, 1, v18
	v_and_b32_e32 v18, 0x4040404, v18
	v_perm_b32 v20, s29, v123, v19
	v_perm_b32 v19, s30, v124, v19
	v_or_b32_e32 v18, 0x3020100, v18
	v_lshrrev_b32_e32 v21, 1, v69
	v_perm_b32 v18, v20, v19, v18
	v_and_b32_e32 v19, 0x7070707, v69
	v_and_b32_e32 v21, 0x4040404, v21
	v_perm_b32 v20, s29, v123, v19
	v_perm_b32 v19, s30, v124, v19
	v_or_b32_e32 v21, 0x3020100, v21
	v_perm_b32 v19, v20, v19, v21
	v_ashrrev_i32_e32 v20, 4, v68
	v_and_b32_e32 v21, 0x7070707, v20
	v_lshrrev_b32_e32 v20, 1, v20
	v_and_b32_e32 v20, 0x4040404, v20
	v_perm_b32 v22, s29, v123, v21
	v_perm_b32 v21, s30, v124, v21
	v_or_b32_e32 v20, 0x3020100, v20
	v_lshrrev_b32_e32 v23, 1, v68
	v_perm_b32 v20, v22, v21, v20
	v_and_b32_e32 v21, 0x7070707, v68
	v_and_b32_e32 v23, 0x4040404, v23
	v_perm_b32 v22, s29, v123, v21
	v_perm_b32 v21, s30, v124, v21
	v_or_b32_e32 v23, 0x3020100, v23
	v_perm_b32 v21, v22, v21, v23
	v_dot4_i32_i8 v21, v21, v11, 0
	v_dot4_i32_i8 v20, v20, v13, v21
	v_dot4_i32_i8 v19, v19, v12, v20
	v_ashrrev_i32_e32 v20, 4, v67
	v_and_b32_e32 v21, 0x7070707, v20
	v_lshrrev_b32_e32 v20, 1, v20
	v_and_b32_e32 v20, 0x4040404, v20
	v_perm_b32 v22, s29, v123, v21
	v_perm_b32 v21, s30, v124, v21
	v_or_b32_e32 v20, 0x3020100, v20
	v_lshrrev_b32_e32 v23, 1, v67
	v_perm_b32 v20, v22, v21, v20
	v_and_b32_e32 v21, 0x7070707, v67
	v_and_b32_e32 v23, 0x4040404, v23
	v_perm_b32 v22, s29, v123, v21
	v_perm_b32 v21, s30, v124, v21
	v_or_b32_e32 v23, 0x3020100, v23
	v_perm_b32 v21, v22, v21, v23
	v_ashrrev_i32_e32 v22, 4, v66
	v_and_b32_e32 v23, 0x7070707, v22
	v_lshrrev_b32_e32 v22, 1, v22
	v_and_b32_e32 v22, 0x4040404, v22
	v_perm_b32 v24, s29, v123, v23
	v_perm_b32 v23, s30, v124, v23
	v_or_b32_e32 v22, 0x3020100, v22
	v_lshrrev_b32_e32 v25, 1, v66
	v_perm_b32 v22, v24, v23, v22
	v_and_b32_e32 v23, 0x7070707, v66
	v_and_b32_e32 v25, 0x4040404, v25
	v_perm_b32 v24, s29, v123, v23
	v_perm_b32 v23, s30, v124, v23
	v_or_b32_e32 v25, 0x3020100, v25
	v_perm_b32 v23, v24, v23, v25
	v_dot4_i32_i8 v23, v23, v15, 0
	v_dot4_i32_i8 v22, v22, v17, v23
	;; [unrolled: 1-line block ×3, first 2 shown]
	v_cvt_f32_f16_e32 v14, v14
	v_dot4_i32_i8 v20, v20, v10, v21
	v_cvt_f32_i32_e32 v20, v20
	v_dot4_i32_i8 v18, v18, v130, v19
	v_cvt_f32_i32_e32 v18, v18
	v_mul_f32_e32 v19, v133, v14
	v_fma_f32 v19, v19, v20, 0
	v_mul_f32_e32 v20, v134, v14
	v_fmac_f32_e32 v19, v20, v18
	v_ashrrev_i32_e32 v18, 4, v65
	v_add_f32_e32 v114, v114, v19
	v_and_b32_e32 v19, 0x7070707, v18
	v_lshrrev_b32_e32 v18, 1, v18
	v_and_b32_e32 v18, 0x4040404, v18
	v_perm_b32 v20, s29, v123, v19
	v_perm_b32 v19, s30, v124, v19
	v_or_b32_e32 v18, 0x3020100, v18
	v_lshrrev_b32_e32 v21, 1, v65
	v_perm_b32 v18, v20, v19, v18
	v_and_b32_e32 v19, 0x7070707, v65
	v_and_b32_e32 v21, 0x4040404, v21
	v_perm_b32 v20, s29, v123, v19
	v_perm_b32 v19, s30, v124, v19
	v_or_b32_e32 v21, 0x3020100, v21
	v_perm_b32 v19, v20, v19, v21
	v_ashrrev_i32_e32 v20, 4, v64
	v_and_b32_e32 v21, 0x7070707, v20
	v_lshrrev_b32_e32 v20, 1, v20
	v_and_b32_e32 v20, 0x4040404, v20
	v_perm_b32 v22, s29, v123, v21
	v_perm_b32 v21, s30, v124, v21
	v_or_b32_e32 v20, 0x3020100, v20
	v_lshrrev_b32_e32 v23, 1, v64
	v_perm_b32 v20, v22, v21, v20
	v_and_b32_e32 v21, 0x7070707, v64
	v_and_b32_e32 v23, 0x4040404, v23
	v_perm_b32 v22, s29, v123, v21
	v_perm_b32 v21, s30, v124, v21
	v_or_b32_e32 v23, 0x3020100, v23
	v_perm_b32 v21, v22, v21, v23
	v_dot4_i32_i8 v11, v21, v11, 0
	v_dot4_i32_i8 v11, v20, v13, v11
	;; [unrolled: 1-line block ×3, first 2 shown]
	v_ashrrev_i32_e32 v12, 4, v63
	v_and_b32_e32 v13, 0x7070707, v12
	v_lshrrev_b32_e32 v12, 1, v12
	v_and_b32_e32 v12, 0x4040404, v12
	v_perm_b32 v19, s29, v123, v13
	v_perm_b32 v13, s30, v124, v13
	v_or_b32_e32 v12, 0x3020100, v12
	v_lshrrev_b32_e32 v20, 1, v63
	v_perm_b32 v12, v19, v13, v12
	v_and_b32_e32 v13, 0x7070707, v63
	v_and_b32_e32 v20, 0x4040404, v20
	v_perm_b32 v19, s29, v123, v13
	v_perm_b32 v13, s30, v124, v13
	v_or_b32_e32 v20, 0x3020100, v20
	v_perm_b32 v13, v19, v13, v20
	v_ashrrev_i32_e32 v19, 4, v62
	v_and_b32_e32 v20, 0x7070707, v19
	v_lshrrev_b32_e32 v19, 1, v19
	v_and_b32_e32 v19, 0x4040404, v19
	v_perm_b32 v21, s29, v123, v20
	v_perm_b32 v20, s30, v124, v20
	v_or_b32_e32 v19, 0x3020100, v19
	v_lshrrev_b32_e32 v22, 1, v62
	v_perm_b32 v19, v21, v20, v19
	v_and_b32_e32 v20, 0x7070707, v62
	v_and_b32_e32 v22, 0x4040404, v22
	v_perm_b32 v21, s29, v123, v20
	v_perm_b32 v20, s30, v124, v20
	v_or_b32_e32 v22, 0x3020100, v22
	v_perm_b32 v20, v21, v20, v22
	v_dot4_i32_i8 v15, v20, v15, 0
	v_dot4_i32_i8 v15, v19, v17, v15
	;; [unrolled: 1-line block ×4, first 2 shown]
	v_cvt_f32_i32_e32 v10, v10
	v_dot4_i32_i8 v11, v18, v130, v11
	v_cvt_f32_i32_e32 v11, v11
	v_mul_f32_e32 v12, v131, v14
	v_fma_f32 v10, v12, v10, 0
	v_mul_f32_e32 v12, v132, v14
	v_fmac_f32_e32 v10, v12, v11
	v_add_f32_e32 v115, v115, v10
	v_ashrrev_i32_e32 v10, 4, v61
	v_and_b32_e32 v11, 0x7070707, v10
	v_lshrrev_b32_e32 v10, 1, v10
	v_and_b32_e32 v10, 0x4040404, v10
	v_perm_b32 v12, s29, v123, v11
	v_perm_b32 v11, s30, v124, v11
	v_or_b32_e32 v10, 0x3020100, v10
	v_lshrrev_b32_e32 v13, 1, v61
	v_perm_b32 v10, v12, v11, v10
	v_and_b32_e32 v11, 0x7070707, v61
	v_and_b32_e32 v13, 0x4040404, v13
	v_perm_b32 v12, s29, v123, v11
	v_perm_b32 v11, s30, v124, v11
	v_or_b32_e32 v13, 0x3020100, v13
	v_perm_b32 v11, v12, v11, v13
	v_ashrrev_i32_e32 v12, 4, v60
	v_and_b32_e32 v13, 0x7070707, v12
	v_lshrrev_b32_e32 v12, 1, v12
	v_and_b32_e32 v12, 0x4040404, v12
	v_perm_b32 v14, s29, v123, v13
	v_perm_b32 v13, s30, v124, v13
	v_or_b32_e32 v12, 0x3020100, v12
	v_lshrrev_b32_e32 v15, 1, v60
	v_perm_b32 v12, v14, v13, v12
	v_and_b32_e32 v13, 0x7070707, v60
	v_and_b32_e32 v15, 0x4040404, v15
	v_perm_b32 v14, s29, v123, v13
	v_perm_b32 v13, s30, v124, v13
	v_or_b32_e32 v15, 0x3020100, v15
	v_perm_b32 v13, v14, v13, v15
	v_dot4_i32_i8 v13, v13, v3, 0
	v_dot4_i32_i8 v12, v12, v5, v13
	;; [unrolled: 1-line block ×3, first 2 shown]
	v_ashrrev_i32_e32 v12, 4, v59
	v_and_b32_e32 v13, 0x7070707, v12
	v_lshrrev_b32_e32 v12, 1, v12
	v_and_b32_e32 v12, 0x4040404, v12
	v_perm_b32 v14, s29, v123, v13
	v_perm_b32 v13, s30, v124, v13
	v_or_b32_e32 v12, 0x3020100, v12
	v_lshrrev_b32_e32 v15, 1, v59
	v_perm_b32 v12, v14, v13, v12
	v_and_b32_e32 v13, 0x7070707, v59
	v_and_b32_e32 v15, 0x4040404, v15
	v_perm_b32 v14, s29, v123, v13
	v_perm_b32 v13, s30, v124, v13
	v_or_b32_e32 v15, 0x3020100, v15
	v_perm_b32 v13, v14, v13, v15
	v_ashrrev_i32_e32 v14, 4, v58
	v_and_b32_e32 v15, 0x7070707, v14
	v_lshrrev_b32_e32 v14, 1, v14
	v_and_b32_e32 v14, 0x4040404, v14
	v_perm_b32 v16, s29, v123, v15
	v_perm_b32 v15, s30, v124, v15
	v_or_b32_e32 v14, 0x3020100, v14
	v_lshrrev_b32_e32 v17, 1, v58
	v_perm_b32 v14, v16, v15, v14
	v_and_b32_e32 v15, 0x7070707, v58
	v_and_b32_e32 v17, 0x4040404, v17
	v_perm_b32 v16, s29, v123, v15
	v_perm_b32 v15, s30, v124, v15
	v_or_b32_e32 v17, 0x3020100, v17
	v_perm_b32 v15, v16, v15, v17
	v_dot4_i32_i8 v15, v15, v7, 0
	v_dot4_i32_i8 v14, v14, v9, v15
	;; [unrolled: 1-line block ×3, first 2 shown]
	v_cvt_f32_f16_e32 v6, v6
	v_dot4_i32_i8 v12, v12, v2, v13
	v_cvt_f32_i32_e32 v12, v12
	v_dot4_i32_i8 v10, v10, v125, v11
	v_cvt_f32_i32_e32 v10, v10
	v_mul_f32_e32 v11, v128, v6
	v_fma_f32 v11, v11, v12, 0
	v_mul_f32_e32 v12, v129, v6
	v_fmac_f32_e32 v11, v12, v10
	v_ashrrev_i32_e32 v10, 4, v57
	v_add_f32_e32 v117, v117, v11
	v_and_b32_e32 v11, 0x7070707, v10
	v_lshrrev_b32_e32 v10, 1, v10
	v_and_b32_e32 v10, 0x4040404, v10
	v_perm_b32 v12, s29, v123, v11
	v_perm_b32 v11, s30, v124, v11
	v_or_b32_e32 v10, 0x3020100, v10
	v_lshrrev_b32_e32 v13, 1, v57
	v_perm_b32 v10, v12, v11, v10
	v_and_b32_e32 v11, 0x7070707, v57
	v_and_b32_e32 v13, 0x4040404, v13
	v_perm_b32 v12, s29, v123, v11
	v_perm_b32 v11, s30, v124, v11
	v_or_b32_e32 v13, 0x3020100, v13
	v_perm_b32 v11, v12, v11, v13
	v_ashrrev_i32_e32 v12, 4, v56
	v_and_b32_e32 v13, 0x7070707, v12
	v_lshrrev_b32_e32 v12, 1, v12
	v_and_b32_e32 v12, 0x4040404, v12
	v_perm_b32 v14, s29, v123, v13
	v_perm_b32 v13, s30, v124, v13
	v_or_b32_e32 v12, 0x3020100, v12
	v_lshrrev_b32_e32 v15, 1, v56
	v_perm_b32 v12, v14, v13, v12
	v_and_b32_e32 v13, 0x7070707, v56
	v_and_b32_e32 v15, 0x4040404, v15
	v_perm_b32 v14, s29, v123, v13
	v_perm_b32 v13, s30, v124, v13
	v_or_b32_e32 v15, 0x3020100, v15
	v_perm_b32 v13, v14, v13, v15
	v_dot4_i32_i8 v3, v13, v3, 0
	v_dot4_i32_i8 v3, v12, v5, v3
	;; [unrolled: 1-line block ×3, first 2 shown]
	v_ashrrev_i32_e32 v4, 4, v55
	v_and_b32_e32 v5, 0x7070707, v4
	v_lshrrev_b32_e32 v4, 1, v4
	v_and_b32_e32 v4, 0x4040404, v4
	v_perm_b32 v11, s29, v123, v5
	v_perm_b32 v5, s30, v124, v5
	v_or_b32_e32 v4, 0x3020100, v4
	v_lshrrev_b32_e32 v12, 1, v55
	v_perm_b32 v4, v11, v5, v4
	v_and_b32_e32 v5, 0x7070707, v55
	v_and_b32_e32 v12, 0x4040404, v12
	v_perm_b32 v11, s29, v123, v5
	v_perm_b32 v5, s30, v124, v5
	v_or_b32_e32 v12, 0x3020100, v12
	v_perm_b32 v5, v11, v5, v12
	v_ashrrev_i32_e32 v11, 4, v54
	v_and_b32_e32 v12, 0x7070707, v11
	v_lshrrev_b32_e32 v11, 1, v11
	v_and_b32_e32 v11, 0x4040404, v11
	v_perm_b32 v13, s29, v123, v12
	v_perm_b32 v12, s30, v124, v12
	v_or_b32_e32 v11, 0x3020100, v11
	v_lshrrev_b32_e32 v14, 1, v54
	v_perm_b32 v11, v13, v12, v11
	v_and_b32_e32 v12, 0x7070707, v54
	v_and_b32_e32 v14, 0x4040404, v14
	v_perm_b32 v13, s29, v123, v12
	v_perm_b32 v12, s30, v124, v12
	v_or_b32_e32 v14, 0x3020100, v14
	v_perm_b32 v12, v13, v12, v14
	v_dot4_i32_i8 v7, v12, v7, 0
	v_dot4_i32_i8 v7, v11, v9, v7
	;; [unrolled: 1-line block ×4, first 2 shown]
	v_cvt_f32_i32_e32 v2, v2
	v_dot4_i32_i8 v3, v10, v125, v3
	v_cvt_f32_i32_e32 v3, v3
	v_mul_f32_e32 v4, v126, v6
	v_fma_f32 v2, v4, v2, 0
	v_mul_f32_e32 v4, v127, v6
	v_fmac_f32_e32 v2, v4, v3
	v_add_f32_e32 v118, v118, v2
	s_waitcnt vmcnt(0)
	v_ashrrev_i32_e32 v2, 4, v79
	v_and_b32_e32 v3, 0x7070707, v2
	v_lshrrev_b32_e32 v2, 1, v2
	v_and_b32_e32 v2, 0x4040404, v2
	v_perm_b32 v4, s29, v123, v3
	v_perm_b32 v3, s30, v124, v3
	v_or_b32_e32 v2, 0x3020100, v2
	v_lshrrev_b32_e32 v5, 1, v79
	v_perm_b32 v2, v4, v3, v2
	v_and_b32_e32 v3, 0x7070707, v79
	v_and_b32_e32 v5, 0x4040404, v5
	v_perm_b32 v4, s29, v123, v3
	v_perm_b32 v3, s30, v124, v3
	v_or_b32_e32 v5, 0x3020100, v5
	v_perm_b32 v3, v4, v3, v5
	v_ashrrev_i32_e32 v4, 4, v78
	v_and_b32_e32 v5, 0x7070707, v4
	v_lshrrev_b32_e32 v4, 1, v4
	v_and_b32_e32 v4, 0x4040404, v4
	v_perm_b32 v6, s29, v123, v5
	v_perm_b32 v5, s30, v124, v5
	v_or_b32_e32 v4, 0x3020100, v4
	v_lshrrev_b32_e32 v7, 1, v78
	v_perm_b32 v4, v6, v5, v4
	v_and_b32_e32 v5, 0x7070707, v78
	v_and_b32_e32 v7, 0x4040404, v7
	v_perm_b32 v6, s29, v123, v5
	v_perm_b32 v5, s30, v124, v5
	v_or_b32_e32 v7, 0x3020100, v7
	v_perm_b32 v5, v6, v5, v7
	v_dot4_i32_i8 v5, v5, v27, 0
	v_dot4_i32_i8 v4, v4, v29, v5
	;; [unrolled: 1-line block ×3, first 2 shown]
	v_ashrrev_i32_e32 v4, 4, v77
	v_and_b32_e32 v5, 0x7070707, v4
	v_lshrrev_b32_e32 v4, 1, v4
	v_and_b32_e32 v4, 0x4040404, v4
	v_perm_b32 v6, s29, v123, v5
	v_perm_b32 v5, s30, v124, v5
	v_or_b32_e32 v4, 0x3020100, v4
	v_lshrrev_b32_e32 v7, 1, v77
	v_perm_b32 v4, v6, v5, v4
	v_and_b32_e32 v5, 0x7070707, v77
	v_and_b32_e32 v7, 0x4040404, v7
	v_perm_b32 v6, s29, v123, v5
	v_perm_b32 v5, s30, v124, v5
	v_or_b32_e32 v7, 0x3020100, v7
	v_perm_b32 v5, v6, v5, v7
	v_ashrrev_i32_e32 v6, 4, v76
	v_and_b32_e32 v7, 0x7070707, v6
	v_lshrrev_b32_e32 v6, 1, v6
	v_and_b32_e32 v6, 0x4040404, v6
	v_perm_b32 v8, s29, v123, v7
	v_perm_b32 v7, s30, v124, v7
	v_or_b32_e32 v6, 0x3020100, v6
	v_lshrrev_b32_e32 v9, 1, v76
	v_perm_b32 v6, v8, v7, v6
	v_and_b32_e32 v7, 0x7070707, v76
	v_and_b32_e32 v9, 0x4040404, v9
	v_perm_b32 v8, s29, v123, v7
	v_perm_b32 v7, s30, v124, v7
	v_or_b32_e32 v9, 0x3020100, v9
	v_perm_b32 v7, v8, v7, v9
	v_dot4_i32_i8 v7, v7, v31, 0
	v_dot4_i32_i8 v6, v6, v33, v7
	;; [unrolled: 1-line block ×4, first 2 shown]
	v_cvt_f32_i32_e32 v4, v4
	v_dot4_i32_i8 v2, v2, v140, v3
	v_cvt_f32_i32_e32 v2, v2
	v_mul_f32_e32 v3, v82, v30
	v_fma_f32 v3, v3, v4, 0
	v_mul_f32_e32 v4, v83, v30
	v_add_u32_e32 v116, 32, v116
	v_fmac_f32_e32 v3, v4, v2
	s_add_i32 s15, s15, 64
	s_add_i32 s13, s13, 64
	v_add_co_u32_e32 v52, vcc, 0x900, v52
	s_add_i32 s19, s19, 64
	s_add_i32 s24, s24, 64
	;; [unrolled: 1-line block ×3, first 2 shown]
	v_cmp_le_u32_e64 s[0:1], s9, v116
	v_add_f32_e32 v106, v106, v3
	s_or_b64 s[16:17], s[0:1], s[16:17]
	v_addc_co_u32_e32 v53, vcc, 0, v53, vcc
	s_andn2_b64 exec, exec, s[16:17]
	s_cbranch_execz .LBB93_147
.LBB93_3:                               ; =>This Inner Loop Header: Depth=1
	v_add_u32_e32 v2, s3, v116
	v_mad_i64_i32 v[10:11], s[0:1], v2, 36, s[20:21]
	v_lshlrev_b32_e32 v12, 2, v119
	global_load_dword v125, v[52:53], off offset:32
	v_add_co_u32_e32 v76, vcc, v10, v12
	v_addc_co_u32_e32 v77, vcc, 0, v11, vcc
	v_add_co_u32_e32 v26, vcc, v10, v120
	v_addc_co_u32_e32 v27, vcc, 0, v11, vcc
	global_load_dwordx2 v[54:55], v[76:77], off offset:4
	global_load_ubyte v13, v[26:27], off
	global_load_dwordx4 v[2:5], v[52:53], off offset:16
	global_load_dwordx4 v[6:9], v[52:53], off
	s_mov_b64 s[0:1], 0
	s_waitcnt vmcnt(2)
	v_cmp_lt_i16_e32 vcc, s26, v13
	s_and_saveexec_b64 s[22:23], vcc
	s_xor_b64 s[22:23], exec, s[22:23]
	s_cbranch_execnz .LBB93_98
; %bb.4:                                ;   in Loop: Header=BB93_3 Depth=1
	s_andn2_saveexec_b64 s[22:23], s[22:23]
	s_cbranch_execnz .LBB93_99
.LBB93_5:                               ;   in Loop: Header=BB93_3 Depth=1
	s_or_b64 exec, exec, s[22:23]
	v_mov_b32_e32 v126, 0
	s_and_saveexec_b64 s[22:23], s[0:1]
	s_cbranch_execz .LBB93_7
.LBB93_6:                               ;   in Loop: Header=BB93_3 Depth=1
	v_and_b32_e32 v13, 0xffff, v13
	v_bfe_u32 v14, v13, 3, 4
	v_and_b32_e32 v13, 7, v13
	v_cvt_f32_ubyte0_e32 v13, v13
	v_fma_f32 v15, v13, s28, 1.0
	v_add_u32_e32 v16, -7, v14
	v_cmp_eq_u32_e32 vcc, 0, v14
	v_cndmask_b32_e32 v13, v15, v13, vcc
	v_cndmask_b32_e64 v14, v16, -9, vcc
	v_ldexp_f32 v13, v13, v14
	v_mul_f32_e32 v126, 0.5, v13
.LBB93_7:                               ;   in Loop: Header=BB93_3 Depth=1
	s_or_b64 exec, exec, s[22:23]
	v_add_co_u32_e32 v80, vcc, v10, v121
	v_addc_co_u32_e32 v81, vcc, 0, v11, vcc
	global_load_ubyte v10, v[80:81], off
	global_load_dwordx2 v[56:57], v[76:77], off offset:12
	s_mov_b64 s[0:1], 0
	s_waitcnt vmcnt(1)
	v_cmp_lt_i16_e32 vcc, s26, v10
	s_and_saveexec_b64 s[22:23], vcc
	s_xor_b64 s[22:23], exec, s[22:23]
	s_cbranch_execnz .LBB93_100
; %bb.8:                                ;   in Loop: Header=BB93_3 Depth=1
	s_andn2_saveexec_b64 s[22:23], s[22:23]
	s_cbranch_execnz .LBB93_101
.LBB93_9:                               ;   in Loop: Header=BB93_3 Depth=1
	s_or_b64 exec, exec, s[22:23]
	v_mov_b32_e32 v127, 0
	s_and_saveexec_b64 s[22:23], s[0:1]
	s_cbranch_execz .LBB93_11
.LBB93_10:                              ;   in Loop: Header=BB93_3 Depth=1
	v_and_b32_e32 v10, 0xffff, v10
	v_bfe_u32 v11, v10, 3, 4
	v_and_b32_e32 v10, 7, v10
	v_cvt_f32_ubyte0_e32 v10, v10
	v_fma_f32 v13, v10, s28, 1.0
	v_add_u32_e32 v14, -7, v11
	v_cmp_eq_u32_e32 vcc, 0, v11
	v_cndmask_b32_e32 v10, v13, v10, vcc
	v_cndmask_b32_e64 v11, v14, -9, vcc
	v_ldexp_f32 v10, v10, v11
	v_mul_f32_e32 v127, 0.5, v10
.LBB93_11:                              ;   in Loop: Header=BB93_3 Depth=1
	s_or_b64 exec, exec, s[22:23]
	v_add_u32_e32 v10, s12, v116
	v_mad_i64_i32 v[10:11], s[0:1], v10, 36, s[20:21]
	s_mov_b64 s[0:1], 0
	v_add_co_u32_e32 v82, vcc, v10, v120
	v_addc_co_u32_e32 v83, vcc, 0, v11, vcc
	v_add_co_u32_e32 v78, vcc, v10, v12
	global_load_ubyte v13, v[82:83], off
	v_addc_co_u32_e32 v79, vcc, 0, v11, vcc
	global_load_dwordx2 v[58:59], v[78:79], off offset:4
	s_waitcnt vmcnt(1)
	v_cmp_lt_i16_e32 vcc, s26, v13
	s_and_saveexec_b64 s[22:23], vcc
	s_xor_b64 s[22:23], exec, s[22:23]
	s_cbranch_execnz .LBB93_102
; %bb.12:                               ;   in Loop: Header=BB93_3 Depth=1
	s_andn2_saveexec_b64 s[22:23], s[22:23]
	s_cbranch_execnz .LBB93_103
.LBB93_13:                              ;   in Loop: Header=BB93_3 Depth=1
	s_or_b64 exec, exec, s[22:23]
	v_mov_b32_e32 v128, 0
	s_and_saveexec_b64 s[22:23], s[0:1]
	s_cbranch_execz .LBB93_15
.LBB93_14:                              ;   in Loop: Header=BB93_3 Depth=1
	v_and_b32_e32 v12, 0xffff, v13
	v_bfe_u32 v13, v12, 3, 4
	v_and_b32_e32 v12, 7, v12
	v_cvt_f32_ubyte0_e32 v12, v12
	v_fma_f32 v14, v12, s28, 1.0
	v_add_u32_e32 v15, -7, v13
	v_cmp_eq_u32_e32 vcc, 0, v13
	v_cndmask_b32_e32 v12, v14, v12, vcc
	v_cndmask_b32_e64 v13, v15, -9, vcc
	v_ldexp_f32 v12, v12, v13
	v_mul_f32_e32 v128, 0.5, v12
.LBB93_15:                              ;   in Loop: Header=BB93_3 Depth=1
	s_or_b64 exec, exec, s[22:23]
	v_add_co_u32_e32 v84, vcc, v10, v121
	v_addc_co_u32_e32 v85, vcc, 0, v11, vcc
	global_load_ubyte v10, v[84:85], off
	global_load_dwordx2 v[60:61], v[78:79], off offset:12
	s_mov_b64 s[0:1], 0
	s_waitcnt vmcnt(1)
	v_cmp_lt_i16_e32 vcc, s26, v10
	s_and_saveexec_b64 s[22:23], vcc
	s_xor_b64 s[22:23], exec, s[22:23]
	s_cbranch_execnz .LBB93_104
; %bb.16:                               ;   in Loop: Header=BB93_3 Depth=1
	s_andn2_saveexec_b64 s[22:23], s[22:23]
	s_cbranch_execnz .LBB93_105
.LBB93_17:                              ;   in Loop: Header=BB93_3 Depth=1
	s_or_b64 exec, exec, s[22:23]
	v_mov_b32_e32 v129, 0
	s_and_saveexec_b64 s[22:23], s[0:1]
	s_cbranch_execz .LBB93_19
.LBB93_18:                              ;   in Loop: Header=BB93_3 Depth=1
	v_and_b32_e32 v10, 0xffff, v10
	v_bfe_u32 v11, v10, 3, 4
	v_and_b32_e32 v10, 7, v10
	v_cvt_f32_ubyte0_e32 v10, v10
	v_fma_f32 v12, v10, s28, 1.0
	v_add_u32_e32 v13, -7, v11
	v_cmp_eq_u32_e32 vcc, 0, v11
	v_cndmask_b32_e32 v10, v12, v10, vcc
	v_cndmask_b32_e64 v11, v13, -9, vcc
	v_ldexp_f32 v10, v10, v11
	v_mul_f32_e32 v129, 0.5, v10
.LBB93_19:                              ;   in Loop: Header=BB93_3 Depth=1
	s_or_b64 exec, exec, s[22:23]
	v_add_u32_e32 v10, s13, v122
	v_mad_u64_u32 v[19:20], s[0:1], v10, 36, v[50:51]
	global_load_dwordx2 v[62:63], v[76:77], off offset:4
	global_load_ubyte v18, v[26:27], off
	global_load_dword v130, v[19:20], off offset:32
	global_load_dwordx4 v[10:13], v[19:20], off offset:16
	global_load_dwordx4 v[14:17], v[19:20], off
	s_mov_b64 s[0:1], 0
	s_waitcnt vmcnt(3)
	v_cmp_lt_i16_e32 vcc, s26, v18
	s_and_saveexec_b64 s[22:23], vcc
	s_xor_b64 s[22:23], exec, s[22:23]
	s_cbranch_execnz .LBB93_106
; %bb.20:                               ;   in Loop: Header=BB93_3 Depth=1
	s_andn2_saveexec_b64 s[22:23], s[22:23]
	s_cbranch_execnz .LBB93_107
.LBB93_21:                              ;   in Loop: Header=BB93_3 Depth=1
	s_or_b64 exec, exec, s[22:23]
	v_mov_b32_e32 v131, 0
	s_and_saveexec_b64 s[22:23], s[0:1]
	s_cbranch_execz .LBB93_23
.LBB93_22:                              ;   in Loop: Header=BB93_3 Depth=1
	v_and_b32_e32 v18, 0xffff, v18
	v_bfe_u32 v19, v18, 3, 4
	v_and_b32_e32 v18, 7, v18
	v_cvt_f32_ubyte0_e32 v18, v18
	v_fma_f32 v20, v18, s28, 1.0
	v_add_u32_e32 v21, -7, v19
	v_cmp_eq_u32_e32 vcc, 0, v19
	v_cndmask_b32_e32 v18, v20, v18, vcc
	v_cndmask_b32_e64 v19, v21, -9, vcc
	v_ldexp_f32 v18, v18, v19
	v_mul_f32_e32 v131, 0.5, v18
.LBB93_23:                              ;   in Loop: Header=BB93_3 Depth=1
	s_or_b64 exec, exec, s[22:23]
	global_load_ubyte v18, v[80:81], off
	global_load_dwordx2 v[64:65], v[76:77], off offset:12
	s_mov_b64 s[0:1], 0
	s_waitcnt vmcnt(1)
	v_cmp_lt_i16_e32 vcc, s26, v18
	s_and_saveexec_b64 s[22:23], vcc
	s_xor_b64 s[22:23], exec, s[22:23]
	s_cbranch_execnz .LBB93_108
; %bb.24:                               ;   in Loop: Header=BB93_3 Depth=1
	s_andn2_saveexec_b64 s[22:23], s[22:23]
	s_cbranch_execnz .LBB93_109
.LBB93_25:                              ;   in Loop: Header=BB93_3 Depth=1
	s_or_b64 exec, exec, s[22:23]
	v_mov_b32_e32 v132, 0
	s_and_saveexec_b64 s[22:23], s[0:1]
	s_cbranch_execz .LBB93_27
.LBB93_26:                              ;   in Loop: Header=BB93_3 Depth=1
	v_and_b32_e32 v18, 0xffff, v18
	v_bfe_u32 v19, v18, 3, 4
	v_and_b32_e32 v18, 7, v18
	v_cvt_f32_ubyte0_e32 v18, v18
	v_fma_f32 v20, v18, s28, 1.0
	v_add_u32_e32 v21, -7, v19
	v_cmp_eq_u32_e32 vcc, 0, v19
	v_cndmask_b32_e32 v18, v20, v18, vcc
	v_cndmask_b32_e64 v19, v21, -9, vcc
	v_ldexp_f32 v18, v18, v19
	v_mul_f32_e32 v132, 0.5, v18
.LBB93_27:                              ;   in Loop: Header=BB93_3 Depth=1
	s_or_b64 exec, exec, s[22:23]
	global_load_ubyte v18, v[82:83], off
	global_load_dwordx2 v[66:67], v[78:79], off offset:4
	s_mov_b64 s[0:1], 0
	s_waitcnt vmcnt(1)
	v_cmp_lt_i16_e32 vcc, s26, v18
	s_and_saveexec_b64 s[22:23], vcc
	s_xor_b64 s[22:23], exec, s[22:23]
	s_cbranch_execnz .LBB93_110
; %bb.28:                               ;   in Loop: Header=BB93_3 Depth=1
	s_andn2_saveexec_b64 s[22:23], s[22:23]
	s_cbranch_execnz .LBB93_111
.LBB93_29:                              ;   in Loop: Header=BB93_3 Depth=1
	s_or_b64 exec, exec, s[22:23]
	v_mov_b32_e32 v133, 0
	s_and_saveexec_b64 s[22:23], s[0:1]
	s_cbranch_execz .LBB93_31
.LBB93_30:                              ;   in Loop: Header=BB93_3 Depth=1
	v_and_b32_e32 v18, 0xffff, v18
	v_bfe_u32 v19, v18, 3, 4
	v_and_b32_e32 v18, 7, v18
	v_cvt_f32_ubyte0_e32 v18, v18
	v_fma_f32 v20, v18, s28, 1.0
	v_add_u32_e32 v21, -7, v19
	v_cmp_eq_u32_e32 vcc, 0, v19
	v_cndmask_b32_e32 v18, v20, v18, vcc
	v_cndmask_b32_e64 v19, v21, -9, vcc
	v_ldexp_f32 v18, v18, v19
	v_mul_f32_e32 v133, 0.5, v18
.LBB93_31:                              ;   in Loop: Header=BB93_3 Depth=1
	s_or_b64 exec, exec, s[22:23]
	global_load_ubyte v18, v[84:85], off
	global_load_dwordx2 v[68:69], v[78:79], off offset:12
	s_mov_b64 s[0:1], 0
	s_waitcnt vmcnt(1)
	v_cmp_lt_i16_e32 vcc, s26, v18
	s_and_saveexec_b64 s[22:23], vcc
	s_xor_b64 s[22:23], exec, s[22:23]
	s_cbranch_execnz .LBB93_112
; %bb.32:                               ;   in Loop: Header=BB93_3 Depth=1
	s_andn2_saveexec_b64 s[22:23], s[22:23]
	s_cbranch_execnz .LBB93_113
.LBB93_33:                              ;   in Loop: Header=BB93_3 Depth=1
	s_or_b64 exec, exec, s[22:23]
	v_mov_b32_e32 v134, 0
	s_and_saveexec_b64 s[22:23], s[0:1]
	s_cbranch_execz .LBB93_35
.LBB93_34:                              ;   in Loop: Header=BB93_3 Depth=1
	v_and_b32_e32 v18, 0xffff, v18
	v_bfe_u32 v19, v18, 3, 4
	v_and_b32_e32 v18, 7, v18
	v_cvt_f32_ubyte0_e32 v18, v18
	v_fma_f32 v20, v18, s28, 1.0
	v_add_u32_e32 v21, -7, v19
	v_cmp_eq_u32_e32 vcc, 0, v19
	v_cndmask_b32_e32 v18, v20, v18, vcc
	v_cndmask_b32_e64 v19, v21, -9, vcc
	v_ldexp_f32 v18, v18, v19
	v_mul_f32_e32 v134, 0.5, v18
.LBB93_35:                              ;   in Loop: Header=BB93_3 Depth=1
	s_or_b64 exec, exec, s[22:23]
	v_add_u32_e32 v18, s15, v122
	v_mad_u64_u32 v[29:30], s[0:1], v18, 36, v[50:51]
	global_load_dwordx2 v[70:71], v[76:77], off offset:4
	global_load_ubyte v28, v[26:27], off
	global_load_dword v135, v[29:30], off offset:32
	global_load_dwordx4 v[18:21], v[29:30], off offset:16
	global_load_dwordx4 v[22:25], v[29:30], off
	s_mov_b64 s[0:1], 0
	s_waitcnt vmcnt(3)
	v_cmp_lt_i16_e32 vcc, s26, v28
	s_and_saveexec_b64 s[22:23], vcc
	s_xor_b64 s[22:23], exec, s[22:23]
	s_cbranch_execnz .LBB93_114
; %bb.36:                               ;   in Loop: Header=BB93_3 Depth=1
	s_andn2_saveexec_b64 s[22:23], s[22:23]
	s_cbranch_execnz .LBB93_115
.LBB93_37:                              ;   in Loop: Header=BB93_3 Depth=1
	s_or_b64 exec, exec, s[22:23]
	v_mov_b32_e32 v136, 0
	s_and_saveexec_b64 s[22:23], s[0:1]
	s_cbranch_execz .LBB93_39
.LBB93_38:                              ;   in Loop: Header=BB93_3 Depth=1
	v_and_b32_e32 v28, 0xffff, v28
	v_bfe_u32 v29, v28, 3, 4
	v_and_b32_e32 v28, 7, v28
	v_cvt_f32_ubyte0_e32 v28, v28
	v_fma_f32 v30, v28, s28, 1.0
	v_add_u32_e32 v31, -7, v29
	v_cmp_eq_u32_e32 vcc, 0, v29
	v_cndmask_b32_e32 v28, v30, v28, vcc
	v_cndmask_b32_e64 v29, v31, -9, vcc
	v_ldexp_f32 v28, v28, v29
	v_mul_f32_e32 v136, 0.5, v28
.LBB93_39:                              ;   in Loop: Header=BB93_3 Depth=1
	s_or_b64 exec, exec, s[22:23]
	global_load_ubyte v28, v[80:81], off
	global_load_dwordx2 v[72:73], v[76:77], off offset:12
	s_mov_b64 s[0:1], 0
	s_waitcnt vmcnt(1)
	v_cmp_lt_i16_e32 vcc, s26, v28
	s_and_saveexec_b64 s[22:23], vcc
	s_xor_b64 s[22:23], exec, s[22:23]
	s_cbranch_execnz .LBB93_116
; %bb.40:                               ;   in Loop: Header=BB93_3 Depth=1
	s_andn2_saveexec_b64 s[22:23], s[22:23]
	s_cbranch_execnz .LBB93_117
.LBB93_41:                              ;   in Loop: Header=BB93_3 Depth=1
	s_or_b64 exec, exec, s[22:23]
	v_mov_b32_e32 v137, 0
	s_and_saveexec_b64 s[22:23], s[0:1]
	s_cbranch_execz .LBB93_43
.LBB93_42:                              ;   in Loop: Header=BB93_3 Depth=1
	v_and_b32_e32 v28, 0xffff, v28
	v_bfe_u32 v29, v28, 3, 4
	v_and_b32_e32 v28, 7, v28
	v_cvt_f32_ubyte0_e32 v28, v28
	v_fma_f32 v30, v28, s28, 1.0
	v_add_u32_e32 v31, -7, v29
	v_cmp_eq_u32_e32 vcc, 0, v29
	v_cndmask_b32_e32 v28, v30, v28, vcc
	v_cndmask_b32_e64 v29, v31, -9, vcc
	v_ldexp_f32 v28, v28, v29
	v_mul_f32_e32 v137, 0.5, v28
.LBB93_43:                              ;   in Loop: Header=BB93_3 Depth=1
	s_or_b64 exec, exec, s[22:23]
	global_load_ubyte v28, v[82:83], off
	global_load_dwordx2 v[74:75], v[78:79], off offset:4
	s_mov_b64 s[0:1], 0
	s_waitcnt vmcnt(1)
	v_cmp_lt_i16_e32 vcc, s26, v28
	s_and_saveexec_b64 s[22:23], vcc
	s_xor_b64 s[22:23], exec, s[22:23]
	s_cbranch_execnz .LBB93_118
; %bb.44:                               ;   in Loop: Header=BB93_3 Depth=1
	s_andn2_saveexec_b64 s[22:23], s[22:23]
	s_cbranch_execnz .LBB93_119
.LBB93_45:                              ;   in Loop: Header=BB93_3 Depth=1
	s_or_b64 exec, exec, s[22:23]
	v_mov_b32_e32 v138, 0
	s_and_saveexec_b64 s[22:23], s[0:1]
	s_cbranch_execz .LBB93_47
.LBB93_46:                              ;   in Loop: Header=BB93_3 Depth=1
	v_and_b32_e32 v28, 0xffff, v28
	v_bfe_u32 v29, v28, 3, 4
	v_and_b32_e32 v28, 7, v28
	v_cvt_f32_ubyte0_e32 v28, v28
	v_fma_f32 v30, v28, s28, 1.0
	v_add_u32_e32 v31, -7, v29
	v_cmp_eq_u32_e32 vcc, 0, v29
	v_cndmask_b32_e32 v28, v30, v28, vcc
	v_cndmask_b32_e64 v29, v31, -9, vcc
	v_ldexp_f32 v28, v28, v29
	v_mul_f32_e32 v138, 0.5, v28
.LBB93_47:                              ;   in Loop: Header=BB93_3 Depth=1
	s_or_b64 exec, exec, s[22:23]
	global_load_ubyte v28, v[84:85], off
	global_load_dwordx2 v[86:87], v[78:79], off offset:12
	s_mov_b64 s[0:1], 0
	s_waitcnt vmcnt(1)
	v_cmp_lt_i16_e32 vcc, s26, v28
	s_and_saveexec_b64 s[22:23], vcc
	s_xor_b64 s[22:23], exec, s[22:23]
	s_cbranch_execnz .LBB93_120
; %bb.48:                               ;   in Loop: Header=BB93_3 Depth=1
	s_andn2_saveexec_b64 s[22:23], s[22:23]
	s_cbranch_execnz .LBB93_121
.LBB93_49:                              ;   in Loop: Header=BB93_3 Depth=1
	s_or_b64 exec, exec, s[22:23]
	v_mov_b32_e32 v139, 0
	s_and_saveexec_b64 s[22:23], s[0:1]
	s_cbranch_execz .LBB93_51
.LBB93_50:                              ;   in Loop: Header=BB93_3 Depth=1
	v_and_b32_e32 v28, 0xffff, v28
	v_bfe_u32 v29, v28, 3, 4
	v_and_b32_e32 v28, 7, v28
	v_cvt_f32_ubyte0_e32 v28, v28
	v_fma_f32 v30, v28, s28, 1.0
	v_add_u32_e32 v31, -7, v29
	v_cmp_eq_u32_e32 vcc, 0, v29
	v_cndmask_b32_e32 v28, v30, v28, vcc
	v_cndmask_b32_e64 v29, v31, -9, vcc
	v_ldexp_f32 v28, v28, v29
	v_mul_f32_e32 v139, 0.5, v28
.LBB93_51:                              ;   in Loop: Header=BB93_3 Depth=1
	s_or_b64 exec, exec, s[22:23]
	v_add_u32_e32 v28, s19, v122
	v_mad_u64_u32 v[29:30], s[0:1], v28, 36, v[50:51]
	global_load_dwordx2 v[88:89], v[76:77], off offset:4
	global_load_ubyte v28, v[26:27], off
	global_load_dword v141, v[29:30], off offset:32
	global_load_dwordx4 v[34:37], v[29:30], off offset:16
	global_load_dwordx4 v[38:41], v[29:30], off
	s_mov_b64 s[0:1], 0
	s_waitcnt vmcnt(3)
	v_cmp_lt_i16_e32 vcc, s26, v28
	s_and_saveexec_b64 s[22:23], vcc
	s_xor_b64 s[22:23], exec, s[22:23]
	s_cbranch_execnz .LBB93_122
; %bb.52:                               ;   in Loop: Header=BB93_3 Depth=1
	s_andn2_saveexec_b64 s[22:23], s[22:23]
	s_cbranch_execnz .LBB93_123
.LBB93_53:                              ;   in Loop: Header=BB93_3 Depth=1
	s_or_b64 exec, exec, s[22:23]
	v_mov_b32_e32 v142, 0
	s_and_saveexec_b64 s[22:23], s[0:1]
	s_cbranch_execz .LBB93_55
.LBB93_54:                              ;   in Loop: Header=BB93_3 Depth=1
	v_and_b32_e32 v28, 0xffff, v28
	v_bfe_u32 v29, v28, 3, 4
	v_and_b32_e32 v28, 7, v28
	v_cvt_f32_ubyte0_e32 v28, v28
	v_fma_f32 v30, v28, s28, 1.0
	v_add_u32_e32 v31, -7, v29
	v_cmp_eq_u32_e32 vcc, 0, v29
	v_cndmask_b32_e32 v28, v30, v28, vcc
	v_cndmask_b32_e64 v29, v31, -9, vcc
	v_ldexp_f32 v28, v28, v29
	v_mul_f32_e32 v142, 0.5, v28
.LBB93_55:                              ;   in Loop: Header=BB93_3 Depth=1
	s_or_b64 exec, exec, s[22:23]
	global_load_ubyte v28, v[80:81], off
	global_load_dwordx2 v[90:91], v[76:77], off offset:12
	s_mov_b64 s[0:1], 0
	s_waitcnt vmcnt(1)
	v_cmp_lt_i16_e32 vcc, s26, v28
	s_and_saveexec_b64 s[22:23], vcc
	s_xor_b64 s[22:23], exec, s[22:23]
	s_cbranch_execnz .LBB93_124
; %bb.56:                               ;   in Loop: Header=BB93_3 Depth=1
	s_andn2_saveexec_b64 s[22:23], s[22:23]
	s_cbranch_execnz .LBB93_125
.LBB93_57:                              ;   in Loop: Header=BB93_3 Depth=1
	s_or_b64 exec, exec, s[22:23]
	v_mov_b32_e32 v143, 0
	s_and_saveexec_b64 s[22:23], s[0:1]
	s_cbranch_execz .LBB93_59
.LBB93_58:                              ;   in Loop: Header=BB93_3 Depth=1
	v_and_b32_e32 v28, 0xffff, v28
	v_bfe_u32 v29, v28, 3, 4
	v_and_b32_e32 v28, 7, v28
	v_cvt_f32_ubyte0_e32 v28, v28
	v_fma_f32 v30, v28, s28, 1.0
	v_add_u32_e32 v31, -7, v29
	v_cmp_eq_u32_e32 vcc, 0, v29
	v_cndmask_b32_e32 v28, v30, v28, vcc
	v_cndmask_b32_e64 v29, v31, -9, vcc
	v_ldexp_f32 v28, v28, v29
	v_mul_f32_e32 v143, 0.5, v28
.LBB93_59:                              ;   in Loop: Header=BB93_3 Depth=1
	s_or_b64 exec, exec, s[22:23]
	global_load_ubyte v28, v[82:83], off
	global_load_dwordx2 v[92:93], v[78:79], off offset:4
	s_mov_b64 s[0:1], 0
	s_waitcnt vmcnt(1)
	v_cmp_lt_i16_e32 vcc, s26, v28
	s_and_saveexec_b64 s[22:23], vcc
	s_xor_b64 s[22:23], exec, s[22:23]
	s_cbranch_execnz .LBB93_126
; %bb.60:                               ;   in Loop: Header=BB93_3 Depth=1
	s_andn2_saveexec_b64 s[22:23], s[22:23]
	s_cbranch_execnz .LBB93_127
.LBB93_61:                              ;   in Loop: Header=BB93_3 Depth=1
	s_or_b64 exec, exec, s[22:23]
	v_mov_b32_e32 v144, 0
	s_and_saveexec_b64 s[22:23], s[0:1]
	s_cbranch_execz .LBB93_63
.LBB93_62:                              ;   in Loop: Header=BB93_3 Depth=1
	v_and_b32_e32 v28, 0xffff, v28
	v_bfe_u32 v29, v28, 3, 4
	v_and_b32_e32 v28, 7, v28
	v_cvt_f32_ubyte0_e32 v28, v28
	v_fma_f32 v30, v28, s28, 1.0
	v_add_u32_e32 v31, -7, v29
	v_cmp_eq_u32_e32 vcc, 0, v29
	v_cndmask_b32_e32 v28, v30, v28, vcc
	v_cndmask_b32_e64 v29, v31, -9, vcc
	v_ldexp_f32 v28, v28, v29
	v_mul_f32_e32 v144, 0.5, v28
.LBB93_63:                              ;   in Loop: Header=BB93_3 Depth=1
	s_or_b64 exec, exec, s[22:23]
	global_load_ubyte v28, v[84:85], off
	global_load_dwordx2 v[94:95], v[78:79], off offset:12
	s_mov_b64 s[0:1], 0
	s_waitcnt vmcnt(1)
	v_cmp_lt_i16_e32 vcc, s26, v28
	s_and_saveexec_b64 s[22:23], vcc
	s_xor_b64 s[22:23], exec, s[22:23]
	s_cbranch_execnz .LBB93_128
; %bb.64:                               ;   in Loop: Header=BB93_3 Depth=1
	s_andn2_saveexec_b64 s[22:23], s[22:23]
	s_cbranch_execnz .LBB93_129
.LBB93_65:                              ;   in Loop: Header=BB93_3 Depth=1
	s_or_b64 exec, exec, s[22:23]
	v_mov_b32_e32 v145, 0
	s_and_saveexec_b64 s[22:23], s[0:1]
	s_cbranch_execz .LBB93_67
.LBB93_66:                              ;   in Loop: Header=BB93_3 Depth=1
	v_and_b32_e32 v28, 0xffff, v28
	v_bfe_u32 v29, v28, 3, 4
	v_and_b32_e32 v28, 7, v28
	v_cvt_f32_ubyte0_e32 v28, v28
	v_fma_f32 v30, v28, s28, 1.0
	v_add_u32_e32 v31, -7, v29
	v_cmp_eq_u32_e32 vcc, 0, v29
	v_cndmask_b32_e32 v28, v30, v28, vcc
	v_cndmask_b32_e64 v29, v31, -9, vcc
	v_ldexp_f32 v28, v28, v29
	v_mul_f32_e32 v145, 0.5, v28
.LBB93_67:                              ;   in Loop: Header=BB93_3 Depth=1
	s_or_b64 exec, exec, s[22:23]
	v_add_u32_e32 v28, s24, v122
	v_mad_u64_u32 v[29:30], s[0:1], v28, 36, v[50:51]
	global_load_dwordx2 v[96:97], v[76:77], off offset:4
	global_load_ubyte v28, v[26:27], off
	global_load_dword v146, v[29:30], off offset:32
	global_load_dwordx4 v[42:45], v[29:30], off offset:16
	global_load_dwordx4 v[46:49], v[29:30], off
	s_mov_b64 s[0:1], 0
	s_waitcnt vmcnt(3)
	v_cmp_lt_i16_e32 vcc, s26, v28
	s_and_saveexec_b64 s[22:23], vcc
	s_xor_b64 s[22:23], exec, s[22:23]
	s_cbranch_execnz .LBB93_130
; %bb.68:                               ;   in Loop: Header=BB93_3 Depth=1
	s_andn2_saveexec_b64 s[22:23], s[22:23]
	s_cbranch_execnz .LBB93_131
.LBB93_69:                              ;   in Loop: Header=BB93_3 Depth=1
	s_or_b64 exec, exec, s[22:23]
	v_mov_b32_e32 v147, 0
	s_and_saveexec_b64 s[22:23], s[0:1]
	s_cbranch_execz .LBB93_71
.LBB93_70:                              ;   in Loop: Header=BB93_3 Depth=1
	v_and_b32_e32 v28, 0xffff, v28
	v_bfe_u32 v29, v28, 3, 4
	v_and_b32_e32 v28, 7, v28
	v_cvt_f32_ubyte0_e32 v28, v28
	v_fma_f32 v30, v28, s28, 1.0
	v_add_u32_e32 v31, -7, v29
	v_cmp_eq_u32_e32 vcc, 0, v29
	v_cndmask_b32_e32 v28, v30, v28, vcc
	v_cndmask_b32_e64 v29, v31, -9, vcc
	v_ldexp_f32 v28, v28, v29
	v_mul_f32_e32 v147, 0.5, v28
.LBB93_71:                              ;   in Loop: Header=BB93_3 Depth=1
	s_or_b64 exec, exec, s[22:23]
	global_load_ubyte v28, v[80:81], off
	global_load_dwordx2 v[98:99], v[76:77], off offset:12
	s_mov_b64 s[0:1], 0
	s_waitcnt vmcnt(1)
	v_cmp_lt_i16_e32 vcc, s26, v28
	s_and_saveexec_b64 s[22:23], vcc
	s_xor_b64 s[22:23], exec, s[22:23]
	s_cbranch_execnz .LBB93_132
; %bb.72:                               ;   in Loop: Header=BB93_3 Depth=1
	s_andn2_saveexec_b64 s[22:23], s[22:23]
	s_cbranch_execnz .LBB93_133
.LBB93_73:                              ;   in Loop: Header=BB93_3 Depth=1
	s_or_b64 exec, exec, s[22:23]
	v_mov_b32_e32 v148, 0
	s_and_saveexec_b64 s[22:23], s[0:1]
	s_cbranch_execz .LBB93_75
.LBB93_74:                              ;   in Loop: Header=BB93_3 Depth=1
	v_and_b32_e32 v28, 0xffff, v28
	v_bfe_u32 v29, v28, 3, 4
	v_and_b32_e32 v28, 7, v28
	v_cvt_f32_ubyte0_e32 v28, v28
	v_fma_f32 v30, v28, s28, 1.0
	v_add_u32_e32 v31, -7, v29
	v_cmp_eq_u32_e32 vcc, 0, v29
	v_cndmask_b32_e32 v28, v30, v28, vcc
	v_cndmask_b32_e64 v29, v31, -9, vcc
	v_ldexp_f32 v28, v28, v29
	v_mul_f32_e32 v148, 0.5, v28
.LBB93_75:                              ;   in Loop: Header=BB93_3 Depth=1
	s_or_b64 exec, exec, s[22:23]
	global_load_ubyte v28, v[82:83], off
	global_load_dwordx2 v[100:101], v[78:79], off offset:4
	s_mov_b64 s[0:1], 0
	s_waitcnt vmcnt(1)
	v_cmp_lt_i16_e32 vcc, s26, v28
	s_and_saveexec_b64 s[22:23], vcc
	s_xor_b64 s[22:23], exec, s[22:23]
	s_cbranch_execnz .LBB93_134
; %bb.76:                               ;   in Loop: Header=BB93_3 Depth=1
	s_andn2_saveexec_b64 s[22:23], s[22:23]
	s_cbranch_execnz .LBB93_135
.LBB93_77:                              ;   in Loop: Header=BB93_3 Depth=1
	s_or_b64 exec, exec, s[22:23]
	v_mov_b32_e32 v149, 0
	s_and_saveexec_b64 s[22:23], s[0:1]
	s_cbranch_execz .LBB93_79
.LBB93_78:                              ;   in Loop: Header=BB93_3 Depth=1
	v_and_b32_e32 v28, 0xffff, v28
	v_bfe_u32 v29, v28, 3, 4
	v_and_b32_e32 v28, 7, v28
	v_cvt_f32_ubyte0_e32 v28, v28
	v_fma_f32 v30, v28, s28, 1.0
	v_add_u32_e32 v31, -7, v29
	v_cmp_eq_u32_e32 vcc, 0, v29
	v_cndmask_b32_e32 v28, v30, v28, vcc
	v_cndmask_b32_e64 v29, v31, -9, vcc
	v_ldexp_f32 v28, v28, v29
	v_mul_f32_e32 v149, 0.5, v28
.LBB93_79:                              ;   in Loop: Header=BB93_3 Depth=1
	s_or_b64 exec, exec, s[22:23]
	global_load_ubyte v28, v[84:85], off
	global_load_dwordx2 v[102:103], v[78:79], off offset:12
	s_mov_b64 s[0:1], 0
	s_waitcnt vmcnt(1)
	v_cmp_lt_i16_e32 vcc, s26, v28
	s_and_saveexec_b64 s[22:23], vcc
	s_xor_b64 s[22:23], exec, s[22:23]
	s_cbranch_execnz .LBB93_136
; %bb.80:                               ;   in Loop: Header=BB93_3 Depth=1
	s_andn2_saveexec_b64 s[22:23], s[22:23]
	s_cbranch_execnz .LBB93_137
.LBB93_81:                              ;   in Loop: Header=BB93_3 Depth=1
	s_or_b64 exec, exec, s[22:23]
	v_mov_b32_e32 v150, 0
	s_and_saveexec_b64 s[22:23], s[0:1]
	s_cbranch_execz .LBB93_83
.LBB93_82:                              ;   in Loop: Header=BB93_3 Depth=1
	v_and_b32_e32 v28, 0xffff, v28
	v_bfe_u32 v29, v28, 3, 4
	v_and_b32_e32 v28, 7, v28
	v_cvt_f32_ubyte0_e32 v28, v28
	v_fma_f32 v30, v28, s28, 1.0
	v_add_u32_e32 v31, -7, v29
	v_cmp_eq_u32_e32 vcc, 0, v29
	v_cndmask_b32_e32 v28, v30, v28, vcc
	v_cndmask_b32_e64 v29, v31, -9, vcc
	v_ldexp_f32 v28, v28, v29
	v_mul_f32_e32 v150, 0.5, v28
.LBB93_83:                              ;   in Loop: Header=BB93_3 Depth=1
	s_or_b64 exec, exec, s[22:23]
	v_add_u32_e32 v28, s25, v122
	v_mad_u64_u32 v[30:31], s[0:1], v28, 36, v[50:51]
	global_load_dwordx2 v[104:105], v[76:77], off offset:4
	global_load_ubyte v152, v[26:27], off
	global_load_dword v140, v[30:31], off offset:32
	s_nop 0
	global_load_dwordx4 v[26:29], v[30:31], off offset:16
	s_nop 0
	global_load_dwordx4 v[30:33], v[30:31], off
	s_mov_b64 s[0:1], 0
	s_waitcnt vmcnt(3)
	v_cmp_lt_i16_e32 vcc, s26, v152
	s_and_saveexec_b64 s[22:23], vcc
	s_xor_b64 s[22:23], exec, s[22:23]
	s_cbranch_execnz .LBB93_138
; %bb.84:                               ;   in Loop: Header=BB93_3 Depth=1
	s_andn2_saveexec_b64 s[22:23], s[22:23]
	s_cbranch_execnz .LBB93_139
.LBB93_85:                              ;   in Loop: Header=BB93_3 Depth=1
	s_or_b64 exec, exec, s[22:23]
	v_mov_b32_e32 v151, 0
	s_and_saveexec_b64 s[22:23], s[0:1]
	s_cbranch_execz .LBB93_87
.LBB93_86:                              ;   in Loop: Header=BB93_3 Depth=1
	v_and_b32_e32 v151, 0xffff, v152
	v_bfe_u32 v152, v151, 3, 4
	v_and_b32_e32 v151, 7, v151
	v_cvt_f32_ubyte0_e32 v151, v151
	v_fma_f32 v153, v151, s28, 1.0
	v_add_u32_e32 v154, -7, v152
	v_cmp_eq_u32_e32 vcc, 0, v152
	v_cndmask_b32_e32 v151, v153, v151, vcc
	v_cndmask_b32_e64 v152, v154, -9, vcc
	v_ldexp_f32 v151, v151, v152
	v_mul_f32_e32 v151, 0.5, v151
.LBB93_87:                              ;   in Loop: Header=BB93_3 Depth=1
	s_or_b64 exec, exec, s[22:23]
	global_load_ubyte v153, v[80:81], off
	s_nop 0
	global_load_dwordx2 v[80:81], v[76:77], off offset:12
	s_mov_b64 s[0:1], 0
	s_waitcnt vmcnt(1)
	v_cmp_lt_i16_e32 vcc, s26, v153
	s_and_saveexec_b64 s[22:23], vcc
	s_xor_b64 s[22:23], exec, s[22:23]
	s_cbranch_execnz .LBB93_140
; %bb.88:                               ;   in Loop: Header=BB93_3 Depth=1
	s_andn2_saveexec_b64 s[22:23], s[22:23]
	s_cbranch_execnz .LBB93_141
.LBB93_89:                              ;   in Loop: Header=BB93_3 Depth=1
	s_or_b64 exec, exec, s[22:23]
	v_mov_b32_e32 v152, 0
	s_and_saveexec_b64 s[22:23], s[0:1]
	s_cbranch_execz .LBB93_91
.LBB93_90:                              ;   in Loop: Header=BB93_3 Depth=1
	v_and_b32_e32 v76, 0xffff, v153
	v_bfe_u32 v77, v76, 3, 4
	v_and_b32_e32 v76, 7, v76
	v_cvt_f32_ubyte0_e32 v76, v76
	v_fma_f32 v152, v76, s28, 1.0
	v_add_u32_e32 v153, -7, v77
	v_cmp_eq_u32_e32 vcc, 0, v77
	v_cndmask_b32_e32 v76, v152, v76, vcc
	v_cndmask_b32_e64 v77, v153, -9, vcc
	v_ldexp_f32 v76, v76, v77
	v_mul_f32_e32 v152, 0.5, v76
.LBB93_91:                              ;   in Loop: Header=BB93_3 Depth=1
	s_or_b64 exec, exec, s[22:23]
	global_load_ubyte v83, v[82:83], off
	s_nop 0
	global_load_dwordx2 v[76:77], v[78:79], off offset:4
	s_mov_b64 s[0:1], 0
	s_waitcnt vmcnt(1)
	v_cmp_lt_i16_e32 vcc, s26, v83
	s_and_saveexec_b64 s[22:23], vcc
	s_xor_b64 s[22:23], exec, s[22:23]
	s_cbranch_execnz .LBB93_142
; %bb.92:                               ;   in Loop: Header=BB93_3 Depth=1
	s_andn2_saveexec_b64 s[22:23], s[22:23]
	s_cbranch_execnz .LBB93_143
.LBB93_93:                              ;   in Loop: Header=BB93_3 Depth=1
	s_or_b64 exec, exec, s[22:23]
	v_mov_b32_e32 v82, 0
	s_and_saveexec_b64 s[22:23], s[0:1]
	s_cbranch_execz .LBB93_95
.LBB93_94:                              ;   in Loop: Header=BB93_3 Depth=1
	v_and_b32_e32 v82, 0xffff, v83
	v_bfe_u32 v83, v82, 3, 4
	v_and_b32_e32 v82, 7, v82
	v_cvt_f32_ubyte0_e32 v82, v82
	v_fma_f32 v153, v82, s28, 1.0
	v_add_u32_e32 v154, -7, v83
	v_cmp_eq_u32_e32 vcc, 0, v83
	v_cndmask_b32_e32 v82, v153, v82, vcc
	v_cndmask_b32_e64 v83, v154, -9, vcc
	v_ldexp_f32 v82, v82, v83
	v_mul_f32_e32 v82, 0.5, v82
.LBB93_95:                              ;   in Loop: Header=BB93_3 Depth=1
	s_or_b64 exec, exec, s[22:23]
	global_load_ubyte v84, v[84:85], off
	s_nop 0
	global_load_dwordx2 v[78:79], v[78:79], off offset:12
	s_mov_b64 s[0:1], 0
	s_waitcnt vmcnt(1)
	v_cmp_lt_i16_e32 vcc, s26, v84
	s_and_saveexec_b64 s[22:23], vcc
	s_xor_b64 s[22:23], exec, s[22:23]
	s_cbranch_execnz .LBB93_144
; %bb.96:                               ;   in Loop: Header=BB93_3 Depth=1
	s_andn2_saveexec_b64 s[22:23], s[22:23]
	s_cbranch_execnz .LBB93_145
.LBB93_97:                              ;   in Loop: Header=BB93_3 Depth=1
	s_or_b64 exec, exec, s[22:23]
	v_mov_b32_e32 v83, 0
	s_and_saveexec_b64 s[22:23], s[0:1]
	s_cbranch_execz .LBB93_2
	s_branch .LBB93_146
.LBB93_98:                              ;   in Loop: Header=BB93_3 Depth=1
	v_cmp_ne_u16_e32 vcc, s27, v13
	s_and_b64 s[0:1], vcc, exec
	s_andn2_saveexec_b64 s[22:23], s[22:23]
	s_cbranch_execz .LBB93_5
.LBB93_99:                              ;   in Loop: Header=BB93_3 Depth=1
	v_cmp_ne_u16_e32 vcc, 0, v13
	s_andn2_b64 s[0:1], s[0:1], exec
	s_and_b64 s[34:35], vcc, exec
	s_or_b64 s[0:1], s[0:1], s[34:35]
	s_or_b64 exec, exec, s[22:23]
	v_mov_b32_e32 v126, 0
	s_and_saveexec_b64 s[22:23], s[0:1]
	s_cbranch_execnz .LBB93_6
	s_branch .LBB93_7
.LBB93_100:                             ;   in Loop: Header=BB93_3 Depth=1
	v_cmp_ne_u16_e32 vcc, s27, v10
	s_and_b64 s[0:1], vcc, exec
	s_andn2_saveexec_b64 s[22:23], s[22:23]
	s_cbranch_execz .LBB93_9
.LBB93_101:                             ;   in Loop: Header=BB93_3 Depth=1
	v_cmp_ne_u16_e32 vcc, 0, v10
	s_andn2_b64 s[0:1], s[0:1], exec
	s_and_b64 s[34:35], vcc, exec
	s_or_b64 s[0:1], s[0:1], s[34:35]
	s_or_b64 exec, exec, s[22:23]
	v_mov_b32_e32 v127, 0
	s_and_saveexec_b64 s[22:23], s[0:1]
	s_cbranch_execnz .LBB93_10
	s_branch .LBB93_11
.LBB93_102:                             ;   in Loop: Header=BB93_3 Depth=1
	v_cmp_ne_u16_e32 vcc, s27, v13
	s_and_b64 s[0:1], vcc, exec
	s_andn2_saveexec_b64 s[22:23], s[22:23]
	s_cbranch_execz .LBB93_13
.LBB93_103:                             ;   in Loop: Header=BB93_3 Depth=1
	v_cmp_ne_u16_e32 vcc, 0, v13
	s_andn2_b64 s[0:1], s[0:1], exec
	s_and_b64 s[34:35], vcc, exec
	s_or_b64 s[0:1], s[0:1], s[34:35]
	s_or_b64 exec, exec, s[22:23]
	v_mov_b32_e32 v128, 0
	s_and_saveexec_b64 s[22:23], s[0:1]
	s_cbranch_execnz .LBB93_14
	s_branch .LBB93_15
.LBB93_104:                             ;   in Loop: Header=BB93_3 Depth=1
	v_cmp_ne_u16_e32 vcc, s27, v10
	s_and_b64 s[0:1], vcc, exec
	s_andn2_saveexec_b64 s[22:23], s[22:23]
	s_cbranch_execz .LBB93_17
.LBB93_105:                             ;   in Loop: Header=BB93_3 Depth=1
	v_cmp_ne_u16_e32 vcc, 0, v10
	s_andn2_b64 s[0:1], s[0:1], exec
	s_and_b64 s[34:35], vcc, exec
	s_or_b64 s[0:1], s[0:1], s[34:35]
	s_or_b64 exec, exec, s[22:23]
	v_mov_b32_e32 v129, 0
	s_and_saveexec_b64 s[22:23], s[0:1]
	s_cbranch_execnz .LBB93_18
	s_branch .LBB93_19
.LBB93_106:                             ;   in Loop: Header=BB93_3 Depth=1
	v_cmp_ne_u16_e32 vcc, s27, v18
	s_and_b64 s[0:1], vcc, exec
	s_andn2_saveexec_b64 s[22:23], s[22:23]
	s_cbranch_execz .LBB93_21
.LBB93_107:                             ;   in Loop: Header=BB93_3 Depth=1
	v_cmp_ne_u16_e32 vcc, 0, v18
	s_andn2_b64 s[0:1], s[0:1], exec
	s_and_b64 s[34:35], vcc, exec
	s_or_b64 s[0:1], s[0:1], s[34:35]
	s_or_b64 exec, exec, s[22:23]
	v_mov_b32_e32 v131, 0
	s_and_saveexec_b64 s[22:23], s[0:1]
	s_cbranch_execnz .LBB93_22
	s_branch .LBB93_23
.LBB93_108:                             ;   in Loop: Header=BB93_3 Depth=1
	v_cmp_ne_u16_e32 vcc, s27, v18
	s_and_b64 s[0:1], vcc, exec
	s_andn2_saveexec_b64 s[22:23], s[22:23]
	s_cbranch_execz .LBB93_25
.LBB93_109:                             ;   in Loop: Header=BB93_3 Depth=1
	v_cmp_ne_u16_e32 vcc, 0, v18
	s_andn2_b64 s[0:1], s[0:1], exec
	s_and_b64 s[34:35], vcc, exec
	s_or_b64 s[0:1], s[0:1], s[34:35]
	s_or_b64 exec, exec, s[22:23]
	v_mov_b32_e32 v132, 0
	s_and_saveexec_b64 s[22:23], s[0:1]
	s_cbranch_execnz .LBB93_26
	s_branch .LBB93_27
.LBB93_110:                             ;   in Loop: Header=BB93_3 Depth=1
	v_cmp_ne_u16_e32 vcc, s27, v18
	s_and_b64 s[0:1], vcc, exec
	s_andn2_saveexec_b64 s[22:23], s[22:23]
	s_cbranch_execz .LBB93_29
.LBB93_111:                             ;   in Loop: Header=BB93_3 Depth=1
	v_cmp_ne_u16_e32 vcc, 0, v18
	s_andn2_b64 s[0:1], s[0:1], exec
	s_and_b64 s[34:35], vcc, exec
	s_or_b64 s[0:1], s[0:1], s[34:35]
	s_or_b64 exec, exec, s[22:23]
	v_mov_b32_e32 v133, 0
	s_and_saveexec_b64 s[22:23], s[0:1]
	s_cbranch_execnz .LBB93_30
	s_branch .LBB93_31
.LBB93_112:                             ;   in Loop: Header=BB93_3 Depth=1
	v_cmp_ne_u16_e32 vcc, s27, v18
	s_and_b64 s[0:1], vcc, exec
	s_andn2_saveexec_b64 s[22:23], s[22:23]
	s_cbranch_execz .LBB93_33
.LBB93_113:                             ;   in Loop: Header=BB93_3 Depth=1
	v_cmp_ne_u16_e32 vcc, 0, v18
	s_andn2_b64 s[0:1], s[0:1], exec
	s_and_b64 s[34:35], vcc, exec
	s_or_b64 s[0:1], s[0:1], s[34:35]
	s_or_b64 exec, exec, s[22:23]
	v_mov_b32_e32 v134, 0
	s_and_saveexec_b64 s[22:23], s[0:1]
	s_cbranch_execnz .LBB93_34
	s_branch .LBB93_35
.LBB93_114:                             ;   in Loop: Header=BB93_3 Depth=1
	v_cmp_ne_u16_e32 vcc, s27, v28
	s_and_b64 s[0:1], vcc, exec
	s_andn2_saveexec_b64 s[22:23], s[22:23]
	s_cbranch_execz .LBB93_37
.LBB93_115:                             ;   in Loop: Header=BB93_3 Depth=1
	v_cmp_ne_u16_e32 vcc, 0, v28
	s_andn2_b64 s[0:1], s[0:1], exec
	s_and_b64 s[34:35], vcc, exec
	s_or_b64 s[0:1], s[0:1], s[34:35]
	s_or_b64 exec, exec, s[22:23]
	v_mov_b32_e32 v136, 0
	s_and_saveexec_b64 s[22:23], s[0:1]
	s_cbranch_execnz .LBB93_38
	s_branch .LBB93_39
.LBB93_116:                             ;   in Loop: Header=BB93_3 Depth=1
	v_cmp_ne_u16_e32 vcc, s27, v28
	s_and_b64 s[0:1], vcc, exec
	s_andn2_saveexec_b64 s[22:23], s[22:23]
	s_cbranch_execz .LBB93_41
.LBB93_117:                             ;   in Loop: Header=BB93_3 Depth=1
	v_cmp_ne_u16_e32 vcc, 0, v28
	s_andn2_b64 s[0:1], s[0:1], exec
	s_and_b64 s[34:35], vcc, exec
	s_or_b64 s[0:1], s[0:1], s[34:35]
	s_or_b64 exec, exec, s[22:23]
	v_mov_b32_e32 v137, 0
	s_and_saveexec_b64 s[22:23], s[0:1]
	s_cbranch_execnz .LBB93_42
	s_branch .LBB93_43
.LBB93_118:                             ;   in Loop: Header=BB93_3 Depth=1
	v_cmp_ne_u16_e32 vcc, s27, v28
	s_and_b64 s[0:1], vcc, exec
	s_andn2_saveexec_b64 s[22:23], s[22:23]
	s_cbranch_execz .LBB93_45
.LBB93_119:                             ;   in Loop: Header=BB93_3 Depth=1
	v_cmp_ne_u16_e32 vcc, 0, v28
	s_andn2_b64 s[0:1], s[0:1], exec
	s_and_b64 s[34:35], vcc, exec
	s_or_b64 s[0:1], s[0:1], s[34:35]
	s_or_b64 exec, exec, s[22:23]
	v_mov_b32_e32 v138, 0
	s_and_saveexec_b64 s[22:23], s[0:1]
	s_cbranch_execnz .LBB93_46
	s_branch .LBB93_47
.LBB93_120:                             ;   in Loop: Header=BB93_3 Depth=1
	v_cmp_ne_u16_e32 vcc, s27, v28
	s_and_b64 s[0:1], vcc, exec
	s_andn2_saveexec_b64 s[22:23], s[22:23]
	s_cbranch_execz .LBB93_49
.LBB93_121:                             ;   in Loop: Header=BB93_3 Depth=1
	v_cmp_ne_u16_e32 vcc, 0, v28
	s_andn2_b64 s[0:1], s[0:1], exec
	s_and_b64 s[34:35], vcc, exec
	s_or_b64 s[0:1], s[0:1], s[34:35]
	s_or_b64 exec, exec, s[22:23]
	v_mov_b32_e32 v139, 0
	s_and_saveexec_b64 s[22:23], s[0:1]
	s_cbranch_execnz .LBB93_50
	s_branch .LBB93_51
.LBB93_122:                             ;   in Loop: Header=BB93_3 Depth=1
	v_cmp_ne_u16_e32 vcc, s27, v28
	s_and_b64 s[0:1], vcc, exec
	s_andn2_saveexec_b64 s[22:23], s[22:23]
	s_cbranch_execz .LBB93_53
.LBB93_123:                             ;   in Loop: Header=BB93_3 Depth=1
	v_cmp_ne_u16_e32 vcc, 0, v28
	s_andn2_b64 s[0:1], s[0:1], exec
	s_and_b64 s[34:35], vcc, exec
	s_or_b64 s[0:1], s[0:1], s[34:35]
	s_or_b64 exec, exec, s[22:23]
	v_mov_b32_e32 v142, 0
	s_and_saveexec_b64 s[22:23], s[0:1]
	s_cbranch_execnz .LBB93_54
	s_branch .LBB93_55
.LBB93_124:                             ;   in Loop: Header=BB93_3 Depth=1
	v_cmp_ne_u16_e32 vcc, s27, v28
	s_and_b64 s[0:1], vcc, exec
	s_andn2_saveexec_b64 s[22:23], s[22:23]
	s_cbranch_execz .LBB93_57
.LBB93_125:                             ;   in Loop: Header=BB93_3 Depth=1
	v_cmp_ne_u16_e32 vcc, 0, v28
	s_andn2_b64 s[0:1], s[0:1], exec
	s_and_b64 s[34:35], vcc, exec
	s_or_b64 s[0:1], s[0:1], s[34:35]
	s_or_b64 exec, exec, s[22:23]
	v_mov_b32_e32 v143, 0
	s_and_saveexec_b64 s[22:23], s[0:1]
	s_cbranch_execnz .LBB93_58
	s_branch .LBB93_59
.LBB93_126:                             ;   in Loop: Header=BB93_3 Depth=1
	v_cmp_ne_u16_e32 vcc, s27, v28
	s_and_b64 s[0:1], vcc, exec
	s_andn2_saveexec_b64 s[22:23], s[22:23]
	s_cbranch_execz .LBB93_61
.LBB93_127:                             ;   in Loop: Header=BB93_3 Depth=1
	v_cmp_ne_u16_e32 vcc, 0, v28
	s_andn2_b64 s[0:1], s[0:1], exec
	s_and_b64 s[34:35], vcc, exec
	s_or_b64 s[0:1], s[0:1], s[34:35]
	s_or_b64 exec, exec, s[22:23]
	v_mov_b32_e32 v144, 0
	s_and_saveexec_b64 s[22:23], s[0:1]
	s_cbranch_execnz .LBB93_62
	s_branch .LBB93_63
.LBB93_128:                             ;   in Loop: Header=BB93_3 Depth=1
	v_cmp_ne_u16_e32 vcc, s27, v28
	s_and_b64 s[0:1], vcc, exec
	s_andn2_saveexec_b64 s[22:23], s[22:23]
	s_cbranch_execz .LBB93_65
.LBB93_129:                             ;   in Loop: Header=BB93_3 Depth=1
	v_cmp_ne_u16_e32 vcc, 0, v28
	s_andn2_b64 s[0:1], s[0:1], exec
	s_and_b64 s[34:35], vcc, exec
	s_or_b64 s[0:1], s[0:1], s[34:35]
	s_or_b64 exec, exec, s[22:23]
	v_mov_b32_e32 v145, 0
	s_and_saveexec_b64 s[22:23], s[0:1]
	s_cbranch_execnz .LBB93_66
	s_branch .LBB93_67
.LBB93_130:                             ;   in Loop: Header=BB93_3 Depth=1
	v_cmp_ne_u16_e32 vcc, s27, v28
	s_and_b64 s[0:1], vcc, exec
	s_andn2_saveexec_b64 s[22:23], s[22:23]
	s_cbranch_execz .LBB93_69
.LBB93_131:                             ;   in Loop: Header=BB93_3 Depth=1
	v_cmp_ne_u16_e32 vcc, 0, v28
	s_andn2_b64 s[0:1], s[0:1], exec
	s_and_b64 s[34:35], vcc, exec
	s_or_b64 s[0:1], s[0:1], s[34:35]
	s_or_b64 exec, exec, s[22:23]
	v_mov_b32_e32 v147, 0
	s_and_saveexec_b64 s[22:23], s[0:1]
	s_cbranch_execnz .LBB93_70
	s_branch .LBB93_71
.LBB93_132:                             ;   in Loop: Header=BB93_3 Depth=1
	v_cmp_ne_u16_e32 vcc, s27, v28
	s_and_b64 s[0:1], vcc, exec
	s_andn2_saveexec_b64 s[22:23], s[22:23]
	s_cbranch_execz .LBB93_73
.LBB93_133:                             ;   in Loop: Header=BB93_3 Depth=1
	v_cmp_ne_u16_e32 vcc, 0, v28
	s_andn2_b64 s[0:1], s[0:1], exec
	s_and_b64 s[34:35], vcc, exec
	s_or_b64 s[0:1], s[0:1], s[34:35]
	s_or_b64 exec, exec, s[22:23]
	v_mov_b32_e32 v148, 0
	s_and_saveexec_b64 s[22:23], s[0:1]
	s_cbranch_execnz .LBB93_74
	s_branch .LBB93_75
.LBB93_134:                             ;   in Loop: Header=BB93_3 Depth=1
	v_cmp_ne_u16_e32 vcc, s27, v28
	s_and_b64 s[0:1], vcc, exec
	s_andn2_saveexec_b64 s[22:23], s[22:23]
	s_cbranch_execz .LBB93_77
.LBB93_135:                             ;   in Loop: Header=BB93_3 Depth=1
	v_cmp_ne_u16_e32 vcc, 0, v28
	s_andn2_b64 s[0:1], s[0:1], exec
	s_and_b64 s[34:35], vcc, exec
	s_or_b64 s[0:1], s[0:1], s[34:35]
	s_or_b64 exec, exec, s[22:23]
	v_mov_b32_e32 v149, 0
	s_and_saveexec_b64 s[22:23], s[0:1]
	s_cbranch_execnz .LBB93_78
	s_branch .LBB93_79
.LBB93_136:                             ;   in Loop: Header=BB93_3 Depth=1
	v_cmp_ne_u16_e32 vcc, s27, v28
	s_and_b64 s[0:1], vcc, exec
	s_andn2_saveexec_b64 s[22:23], s[22:23]
	s_cbranch_execz .LBB93_81
.LBB93_137:                             ;   in Loop: Header=BB93_3 Depth=1
	v_cmp_ne_u16_e32 vcc, 0, v28
	s_andn2_b64 s[0:1], s[0:1], exec
	s_and_b64 s[34:35], vcc, exec
	s_or_b64 s[0:1], s[0:1], s[34:35]
	s_or_b64 exec, exec, s[22:23]
	v_mov_b32_e32 v150, 0
	s_and_saveexec_b64 s[22:23], s[0:1]
	s_cbranch_execnz .LBB93_82
	s_branch .LBB93_83
.LBB93_138:                             ;   in Loop: Header=BB93_3 Depth=1
	v_cmp_ne_u16_e32 vcc, s27, v152
	s_and_b64 s[0:1], vcc, exec
	s_andn2_saveexec_b64 s[22:23], s[22:23]
	s_cbranch_execz .LBB93_85
.LBB93_139:                             ;   in Loop: Header=BB93_3 Depth=1
	v_cmp_ne_u16_e32 vcc, 0, v152
	s_andn2_b64 s[0:1], s[0:1], exec
	s_and_b64 s[34:35], vcc, exec
	s_or_b64 s[0:1], s[0:1], s[34:35]
	s_or_b64 exec, exec, s[22:23]
	v_mov_b32_e32 v151, 0
	s_and_saveexec_b64 s[22:23], s[0:1]
	s_cbranch_execnz .LBB93_86
	s_branch .LBB93_87
.LBB93_140:                             ;   in Loop: Header=BB93_3 Depth=1
	v_cmp_ne_u16_e32 vcc, s27, v153
	s_and_b64 s[0:1], vcc, exec
	s_andn2_saveexec_b64 s[22:23], s[22:23]
	s_cbranch_execz .LBB93_89
.LBB93_141:                             ;   in Loop: Header=BB93_3 Depth=1
	v_cmp_ne_u16_e32 vcc, 0, v153
	s_andn2_b64 s[0:1], s[0:1], exec
	s_and_b64 s[34:35], vcc, exec
	s_or_b64 s[0:1], s[0:1], s[34:35]
	s_or_b64 exec, exec, s[22:23]
	v_mov_b32_e32 v152, 0
	s_and_saveexec_b64 s[22:23], s[0:1]
	s_cbranch_execnz .LBB93_90
	s_branch .LBB93_91
.LBB93_142:                             ;   in Loop: Header=BB93_3 Depth=1
	v_cmp_ne_u16_e32 vcc, s27, v83
	s_and_b64 s[0:1], vcc, exec
	s_andn2_saveexec_b64 s[22:23], s[22:23]
	s_cbranch_execz .LBB93_93
.LBB93_143:                             ;   in Loop: Header=BB93_3 Depth=1
	v_cmp_ne_u16_e32 vcc, 0, v83
	s_andn2_b64 s[0:1], s[0:1], exec
	s_and_b64 s[34:35], vcc, exec
	s_or_b64 s[0:1], s[0:1], s[34:35]
	s_or_b64 exec, exec, s[22:23]
	v_mov_b32_e32 v82, 0
	s_and_saveexec_b64 s[22:23], s[0:1]
	s_cbranch_execnz .LBB93_94
	s_branch .LBB93_95
.LBB93_144:                             ;   in Loop: Header=BB93_3 Depth=1
	v_cmp_ne_u16_e32 vcc, s27, v84
	s_and_b64 s[0:1], vcc, exec
	s_andn2_saveexec_b64 s[22:23], s[22:23]
	s_cbranch_execz .LBB93_97
.LBB93_145:                             ;   in Loop: Header=BB93_3 Depth=1
	v_cmp_ne_u16_e32 vcc, 0, v84
	s_andn2_b64 s[0:1], s[0:1], exec
	s_and_b64 s[34:35], vcc, exec
	s_or_b64 s[0:1], s[0:1], s[34:35]
	s_or_b64 exec, exec, s[22:23]
	v_mov_b32_e32 v83, 0
	s_and_saveexec_b64 s[22:23], s[0:1]
	s_cbranch_execz .LBB93_2
.LBB93_146:                             ;   in Loop: Header=BB93_3 Depth=1
	v_and_b32_e32 v83, 0xffff, v84
	v_bfe_u32 v84, v83, 3, 4
	v_and_b32_e32 v83, 7, v83
	v_cvt_f32_ubyte0_e32 v83, v83
	v_fma_f32 v85, v83, s28, 1.0
	v_add_u32_e32 v153, -7, v84
	v_cmp_eq_u32_e32 vcc, 0, v84
	v_cndmask_b32_e32 v83, v85, v83, vcc
	v_cndmask_b32_e64 v84, v153, -9, vcc
	v_ldexp_f32 v83, v83, v84
	v_mul_f32_e32 v83, 0.5, v83
	s_branch .LBB93_2
.LBB93_147:
	s_or_b64 exec, exec, s[16:17]
.LBB93_148:
	s_or_b64 exec, exec, s[10:11]
	s_mov_b32 s1, 0
	v_cmp_eq_u32_e32 vcc, 0, v1
	; wave barrier
	s_and_saveexec_b64 s[10:11], vcc
	s_cbranch_execz .LBB93_161
; %bb.149:
	v_mbcnt_lo_u32_b32 v1, -1, 0
	v_mbcnt_hi_u32_b32 v6, -1, v1
	v_and_b32_e32 v1, 64, v6
	v_add_u32_e32 v7, 64, v1
	v_xor_b32_e32 v1, 32, v6
	v_cmp_lt_i32_e32 vcc, v1, v7
	v_cndmask_b32_e32 v1, v6, v1, vcc
	v_lshlrev_b32_e32 v1, 2, v1
	ds_bpermute_b32 v5, v1, v118
	ds_bpermute_b32 v8, v1, v117
	v_xor_b32_e32 v2, 16, v6
	v_cmp_lt_i32_e32 vcc, v2, v7
	v_cndmask_b32_e32 v2, v6, v2, vcc
	v_lshlrev_b32_e32 v2, 2, v2
	s_waitcnt lgkmcnt(1)
	v_add_f32_e32 v5, v118, v5
	s_waitcnt lgkmcnt(0)
	v_add_f32_e32 v8, v117, v8
	ds_bpermute_b32 v10, v2, v5
	ds_bpermute_b32 v11, v2, v8
	v_xor_b32_e32 v3, 8, v6
	v_cmp_lt_i32_e32 vcc, v3, v7
	v_cndmask_b32_e32 v3, v6, v3, vcc
	v_lshlrev_b32_e32 v3, 2, v3
	s_waitcnt lgkmcnt(1)
	v_add_f32_e32 v10, v5, v10
	s_waitcnt lgkmcnt(0)
	v_add_f32_e32 v8, v8, v11
	;; [unrolled: 10-line block ×3, first 2 shown]
	ds_bpermute_b32 v12, v4, v10
	ds_bpermute_b32 v11, v4, v8
	v_xor_b32_e32 v9, 2, v6
	v_cmp_lt_i32_e32 vcc, v9, v7
	v_cndmask_b32_e32 v9, v6, v9, vcc
	v_lshlrev_b32_e32 v5, 2, v9
	v_xor_b32_e32 v9, 1, v6
	v_cmp_lt_i32_e32 vcc, v9, v7
	s_waitcnt lgkmcnt(1)
	v_add_f32_e32 v7, v10, v12
	s_waitcnt lgkmcnt(0)
	v_add_f32_e32 v10, v8, v11
	v_cndmask_b32_e32 v6, v6, v9, vcc
	ds_bpermute_b32 v9, v5, v7
	ds_bpermute_b32 v11, v5, v10
	s_load_dwordx2 s[4:5], s[4:5], 0x38
	s_mul_i32 s2, s2, s7
	v_lshlrev_b32_e32 v8, 2, v6
	s_waitcnt lgkmcnt(0)
	v_add_f32_e32 v6, v7, v9
	v_add_f32_e32 v9, v10, v11
	s_mul_i32 s0, s18, s8
	s_add_i32 s2, s2, s6
	ds_bpermute_b32 v7, v8, v6
	ds_bpermute_b32 v10, v8, v9
	s_add_i32 s0, s2, s0
	s_lshl_b64 s[0:1], s[0:1], 2
	s_add_u32 s2, s4, s0
	v_add_u32_e32 v11, s6, v0
	s_addc_u32 s3, s5, s1
	v_cmp_gt_u32_e32 vcc, 2, v0
	v_cmp_gt_u32_e64 s[0:1], s14, v11
	s_and_b64 s[0:1], vcc, s[0:1]
	s_waitcnt lgkmcnt(1)
	v_add_f32_e32 v6, v6, v7
	s_waitcnt lgkmcnt(0)
	v_add_f32_e32 v7, v9, v10
	s_and_saveexec_b64 s[4:5], s[0:1]
	s_cbranch_execz .LBB93_151
; %bb.150:
	v_cmp_eq_u32_e32 vcc, 1, v0
	v_cndmask_b32_e32 v9, v6, v7, vcc
	v_cmp_eq_u32_e32 vcc, 2, v0
	v_cndmask_b32_e32 v9, v9, v115, vcc
	v_cmp_eq_u32_e32 vcc, 3, v0
	v_cndmask_b32_e32 v9, v9, v114, vcc
	v_cmp_eq_u32_e32 vcc, 4, v0
	v_cndmask_b32_e32 v9, v9, v113, vcc
	v_cmp_eq_u32_e32 vcc, 5, v0
	v_cndmask_b32_e32 v9, v9, v112, vcc
	v_cmp_eq_u32_e32 vcc, 6, v0
	v_cndmask_b32_e32 v9, v9, v111, vcc
	v_cmp_eq_u32_e32 vcc, 7, v0
	v_cndmask_b32_e32 v9, v9, v110, vcc
	v_cmp_eq_u32_e32 vcc, 8, v0
	v_cndmask_b32_e32 v9, v9, v109, vcc
	v_cmp_eq_u32_e32 vcc, 9, v0
	v_cndmask_b32_e32 v9, v9, v108, vcc
	v_cmp_eq_u32_e32 vcc, 10, v0
	v_cndmask_b32_e32 v9, v9, v107, vcc
	v_cmp_eq_u32_e32 vcc, 11, v0
	v_cndmask_b32_e32 v9, v9, v106, vcc
	v_lshlrev_b32_e32 v10, 2, v0
	global_store_dword v10, v9, s[2:3]
.LBB93_151:
	s_or_b64 exec, exec, s[4:5]
	ds_bpermute_b32 v9, v1, v115
	ds_bpermute_b32 v10, v1, v114
	s_waitcnt lgkmcnt(1)
	v_add_f32_e32 v9, v115, v9
	s_waitcnt lgkmcnt(0)
	v_add_f32_e32 v10, v114, v10
	ds_bpermute_b32 v11, v2, v9
	ds_bpermute_b32 v12, v2, v10
	s_waitcnt lgkmcnt(1)
	v_add_f32_e32 v9, v9, v11
	s_waitcnt lgkmcnt(0)
	v_add_f32_e32 v10, v10, v12
	;; [unrolled: 6-line block ×6, first 2 shown]
	s_and_saveexec_b64 s[4:5], s[0:1]
	s_cbranch_execz .LBB93_153
; %bb.152:
	v_add_u32_e32 v11, 2, v0
	v_cmp_eq_u32_e32 vcc, 1, v11
	v_cndmask_b32_e32 v12, v6, v7, vcc
	v_cmp_eq_u32_e32 vcc, 2, v11
	v_cndmask_b32_e32 v12, v12, v10, vcc
	v_cmp_eq_u32_e32 vcc, 3, v11
	v_cndmask_b32_e32 v12, v12, v9, vcc
	v_cmp_eq_u32_e32 vcc, 4, v11
	v_cndmask_b32_e32 v12, v12, v113, vcc
	v_cmp_eq_u32_e32 vcc, 5, v11
	v_cndmask_b32_e32 v12, v12, v112, vcc
	v_cmp_eq_u32_e32 vcc, 6, v11
	v_cndmask_b32_e32 v12, v12, v111, vcc
	v_cmp_eq_u32_e32 vcc, 7, v11
	v_cndmask_b32_e32 v12, v12, v110, vcc
	v_cmp_eq_u32_e32 vcc, 8, v11
	v_cndmask_b32_e32 v12, v12, v109, vcc
	v_cmp_eq_u32_e32 vcc, 9, v11
	v_cndmask_b32_e32 v12, v12, v108, vcc
	v_cmp_eq_u32_e32 vcc, 10, v11
	v_cndmask_b32_e32 v12, v12, v107, vcc
	v_cmp_eq_u32_e32 vcc, 11, v11
	v_cndmask_b32_e32 v13, v12, v106, vcc
	v_add_u32_e32 v11, s14, v0
	v_mov_b32_e32 v12, 0
	v_lshlrev_b64 v[11:12], 2, v[11:12]
	v_mov_b32_e32 v14, s3
	v_add_co_u32_e32 v11, vcc, s2, v11
	v_addc_co_u32_e32 v12, vcc, v14, v12, vcc
	global_store_dword v[11:12], v13, off
.LBB93_153:
	s_or_b64 exec, exec, s[4:5]
	ds_bpermute_b32 v11, v1, v113
	ds_bpermute_b32 v12, v1, v112
	s_waitcnt lgkmcnt(1)
	v_add_f32_e32 v11, v113, v11
	s_waitcnt lgkmcnt(0)
	v_add_f32_e32 v12, v112, v12
	ds_bpermute_b32 v13, v2, v11
	ds_bpermute_b32 v14, v2, v12
	s_waitcnt lgkmcnt(1)
	v_add_f32_e32 v11, v11, v13
	s_waitcnt lgkmcnt(0)
	v_add_f32_e32 v12, v12, v14
	ds_bpermute_b32 v13, v3, v11
	ds_bpermute_b32 v14, v3, v12
	s_waitcnt lgkmcnt(1)
	v_add_f32_e32 v11, v11, v13
	s_waitcnt lgkmcnt(0)
	v_add_f32_e32 v12, v12, v14
	ds_bpermute_b32 v13, v4, v11
	ds_bpermute_b32 v14, v4, v12
	s_waitcnt lgkmcnt(1)
	v_add_f32_e32 v11, v11, v13
	s_waitcnt lgkmcnt(0)
	v_add_f32_e32 v12, v12, v14
	ds_bpermute_b32 v13, v5, v11
	ds_bpermute_b32 v14, v5, v12
	s_waitcnt lgkmcnt(1)
	v_add_f32_e32 v11, v11, v13
	s_waitcnt lgkmcnt(0)
	v_add_f32_e32 v13, v12, v14
	ds_bpermute_b32 v12, v8, v11
	ds_bpermute_b32 v14, v8, v13
	s_waitcnt lgkmcnt(1)
	v_add_f32_e32 v12, v11, v12
	s_waitcnt lgkmcnt(0)
	v_add_f32_e32 v11, v13, v14
	s_and_saveexec_b64 s[4:5], s[0:1]
	s_cbranch_execz .LBB93_155
; %bb.154:
	v_add_u32_e32 v13, 4, v0
	v_cmp_eq_u32_e32 vcc, 1, v13
	v_cndmask_b32_e32 v14, v6, v7, vcc
	v_cmp_eq_u32_e32 vcc, 2, v13
	v_cndmask_b32_e32 v14, v14, v10, vcc
	v_cmp_eq_u32_e32 vcc, 3, v13
	v_cndmask_b32_e32 v14, v14, v9, vcc
	v_cmp_eq_u32_e32 vcc, 4, v13
	v_cndmask_b32_e32 v14, v14, v12, vcc
	v_cmp_eq_u32_e32 vcc, 5, v13
	v_cndmask_b32_e32 v14, v14, v11, vcc
	v_cmp_eq_u32_e32 vcc, 6, v13
	v_cndmask_b32_e32 v14, v14, v111, vcc
	v_cmp_eq_u32_e32 vcc, 7, v13
	v_cndmask_b32_e32 v14, v14, v110, vcc
	v_cmp_eq_u32_e32 vcc, 8, v13
	v_cndmask_b32_e32 v14, v14, v109, vcc
	v_cmp_eq_u32_e32 vcc, 9, v13
	v_cndmask_b32_e32 v14, v14, v108, vcc
	v_cmp_eq_u32_e32 vcc, 10, v13
	v_cndmask_b32_e32 v14, v14, v107, vcc
	v_cmp_eq_u32_e32 vcc, 11, v13
	v_cndmask_b32_e32 v15, v14, v106, vcc
	v_lshl_or_b32 v13, s14, 1, v0
	v_mov_b32_e32 v14, 0
	v_lshlrev_b64 v[13:14], 2, v[13:14]
	v_mov_b32_e32 v16, s3
	v_add_co_u32_e32 v13, vcc, s2, v13
	v_addc_co_u32_e32 v14, vcc, v16, v14, vcc
	global_store_dword v[13:14], v15, off
.LBB93_155:
	s_or_b64 exec, exec, s[4:5]
	ds_bpermute_b32 v13, v1, v111
	ds_bpermute_b32 v14, v1, v110
	s_waitcnt lgkmcnt(1)
	v_add_f32_e32 v13, v111, v13
	s_waitcnt lgkmcnt(0)
	v_add_f32_e32 v14, v110, v14
	ds_bpermute_b32 v15, v2, v13
	ds_bpermute_b32 v16, v2, v14
	s_waitcnt lgkmcnt(1)
	v_add_f32_e32 v13, v13, v15
	s_waitcnt lgkmcnt(0)
	v_add_f32_e32 v14, v14, v16
	;; [unrolled: 6-line block ×6, first 2 shown]
	s_and_saveexec_b64 s[4:5], s[0:1]
	s_cbranch_execz .LBB93_157
; %bb.156:
	v_add_u32_e32 v17, 6, v0
	v_cmp_eq_u32_e32 vcc, 1, v17
	v_cndmask_b32_e32 v15, v6, v7, vcc
	v_cmp_eq_u32_e32 vcc, 2, v17
	v_cndmask_b32_e32 v15, v15, v10, vcc
	;; [unrolled: 2-line block ×10, first 2 shown]
	v_mad_u64_u32 v[15:16], s[6:7], s14, 3, v[0:1]
	v_mov_b32_e32 v16, 0
	v_cmp_eq_u32_e32 vcc, 11, v17
	v_lshlrev_b64 v[15:16], 2, v[15:16]
	v_cndmask_b32_e32 v17, v18, v106, vcc
	v_mov_b32_e32 v18, s3
	v_add_co_u32_e32 v15, vcc, s2, v15
	v_addc_co_u32_e32 v16, vcc, v18, v16, vcc
	global_store_dword v[15:16], v17, off
.LBB93_157:
	s_or_b64 exec, exec, s[4:5]
	ds_bpermute_b32 v15, v1, v109
	ds_bpermute_b32 v16, v1, v108
	s_waitcnt lgkmcnt(1)
	v_add_f32_e32 v15, v109, v15
	s_waitcnt lgkmcnt(0)
	v_add_f32_e32 v16, v108, v16
	ds_bpermute_b32 v17, v2, v15
	ds_bpermute_b32 v18, v2, v16
	s_waitcnt lgkmcnt(1)
	v_add_f32_e32 v15, v15, v17
	s_waitcnt lgkmcnt(0)
	v_add_f32_e32 v16, v16, v18
	;; [unrolled: 6-line block ×6, first 2 shown]
	s_and_saveexec_b64 s[4:5], s[0:1]
	s_cbranch_execz .LBB93_159
; %bb.158:
	v_add_u32_e32 v17, 8, v0
	v_cmp_eq_u32_e32 vcc, 1, v17
	v_cndmask_b32_e32 v18, v6, v7, vcc
	v_cmp_eq_u32_e32 vcc, 2, v17
	v_cndmask_b32_e32 v18, v18, v10, vcc
	;; [unrolled: 2-line block ×11, first 2 shown]
	v_lshl_or_b32 v17, s14, 2, v0
	v_mov_b32_e32 v18, 0
	v_lshlrev_b64 v[17:18], 2, v[17:18]
	v_mov_b32_e32 v20, s3
	v_add_co_u32_e32 v17, vcc, s2, v17
	v_addc_co_u32_e32 v18, vcc, v20, v18, vcc
	global_store_dword v[17:18], v19, off
.LBB93_159:
	s_or_b64 exec, exec, s[4:5]
	ds_bpermute_b32 v17, v1, v107
	ds_bpermute_b32 v1, v1, v106
	s_waitcnt lgkmcnt(1)
	v_add_f32_e32 v17, v107, v17
	s_waitcnt lgkmcnt(0)
	v_add_f32_e32 v1, v106, v1
	ds_bpermute_b32 v18, v2, v17
	ds_bpermute_b32 v2, v2, v1
	s_waitcnt lgkmcnt(1)
	v_add_f32_e32 v17, v17, v18
	s_waitcnt lgkmcnt(0)
	v_add_f32_e32 v1, v1, v2
	;; [unrolled: 6-line block ×5, first 2 shown]
	ds_bpermute_b32 v3, v8, v1
	ds_bpermute_b32 v4, v8, v2
	s_and_b64 exec, exec, s[0:1]
	s_cbranch_execz .LBB93_161
; %bb.160:
	s_waitcnt lgkmcnt(1)
	v_add_f32_e32 v1, v1, v3
	v_add_u32_e32 v3, 10, v0
	v_cmp_eq_u32_e32 vcc, 1, v3
	s_waitcnt lgkmcnt(0)
	v_add_f32_e32 v2, v2, v4
	v_cndmask_b32_e32 v4, v6, v7, vcc
	v_cmp_eq_u32_e32 vcc, 2, v3
	v_cndmask_b32_e32 v4, v4, v10, vcc
	v_cmp_eq_u32_e32 vcc, 3, v3
	;; [unrolled: 2-line block ×9, first 2 shown]
	v_cndmask_b32_e32 v4, v4, v1, vcc
	v_mad_u64_u32 v[0:1], s[0:1], s14, 5, v[0:1]
	v_mov_b32_e32 v1, 0
	v_cmp_eq_u32_e32 vcc, 11, v3
	v_lshlrev_b64 v[0:1], 2, v[0:1]
	v_cndmask_b32_e32 v2, v4, v2, vcc
	v_mov_b32_e32 v3, s3
	v_add_co_u32_e32 v0, vcc, s2, v0
	v_addc_co_u32_e32 v1, vcc, v3, v1, vcc
	global_store_dword v[0:1], v2, off
.LBB93_161:
	s_endpgm
	.section	.rodata,"a",@progbits
	.p2align	6, 0x0
	.amdhsa_kernel _ZL13mul_mat_vec_qIL9ggml_type40ELi6ELb0ELb0EEvPKvS2_PKi31ggml_cuda_mm_fusion_args_devicePfj15HIP_vector_typeIjLj3EEjjjS8_jjjS8_jjjj
		.amdhsa_group_segment_fixed_size 0
		.amdhsa_private_segment_fixed_size 0
		.amdhsa_kernarg_size 144
		.amdhsa_user_sgpr_count 6
		.amdhsa_user_sgpr_private_segment_buffer 1
		.amdhsa_user_sgpr_dispatch_ptr 0
		.amdhsa_user_sgpr_queue_ptr 0
		.amdhsa_user_sgpr_kernarg_segment_ptr 1
		.amdhsa_user_sgpr_dispatch_id 0
		.amdhsa_user_sgpr_flat_scratch_init 0
		.amdhsa_user_sgpr_private_segment_size 0
		.amdhsa_uses_dynamic_stack 0
		.amdhsa_system_sgpr_private_segment_wavefront_offset 0
		.amdhsa_system_sgpr_workgroup_id_x 1
		.amdhsa_system_sgpr_workgroup_id_y 1
		.amdhsa_system_sgpr_workgroup_id_z 1
		.amdhsa_system_sgpr_workgroup_info 0
		.amdhsa_system_vgpr_workitem_id 1
		.amdhsa_next_free_vgpr 155
		.amdhsa_next_free_sgpr 36
		.amdhsa_reserve_vcc 1
		.amdhsa_reserve_flat_scratch 0
		.amdhsa_float_round_mode_32 0
		.amdhsa_float_round_mode_16_64 0
		.amdhsa_float_denorm_mode_32 3
		.amdhsa_float_denorm_mode_16_64 3
		.amdhsa_dx10_clamp 1
		.amdhsa_ieee_mode 1
		.amdhsa_fp16_overflow 0
		.amdhsa_exception_fp_ieee_invalid_op 0
		.amdhsa_exception_fp_denorm_src 0
		.amdhsa_exception_fp_ieee_div_zero 0
		.amdhsa_exception_fp_ieee_overflow 0
		.amdhsa_exception_fp_ieee_underflow 0
		.amdhsa_exception_fp_ieee_inexact 0
		.amdhsa_exception_int_div_zero 0
	.end_amdhsa_kernel
	.section	.text._ZL13mul_mat_vec_qIL9ggml_type40ELi6ELb0ELb0EEvPKvS2_PKi31ggml_cuda_mm_fusion_args_devicePfj15HIP_vector_typeIjLj3EEjjjS8_jjjS8_jjjj,"axG",@progbits,_ZL13mul_mat_vec_qIL9ggml_type40ELi6ELb0ELb0EEvPKvS2_PKi31ggml_cuda_mm_fusion_args_devicePfj15HIP_vector_typeIjLj3EEjjjS8_jjjS8_jjjj,comdat
.Lfunc_end93:
	.size	_ZL13mul_mat_vec_qIL9ggml_type40ELi6ELb0ELb0EEvPKvS2_PKi31ggml_cuda_mm_fusion_args_devicePfj15HIP_vector_typeIjLj3EEjjjS8_jjjS8_jjjj, .Lfunc_end93-_ZL13mul_mat_vec_qIL9ggml_type40ELi6ELb0ELb0EEvPKvS2_PKi31ggml_cuda_mm_fusion_args_devicePfj15HIP_vector_typeIjLj3EEjjjS8_jjjS8_jjjj
                                        ; -- End function
	.set _ZL13mul_mat_vec_qIL9ggml_type40ELi6ELb0ELb0EEvPKvS2_PKi31ggml_cuda_mm_fusion_args_devicePfj15HIP_vector_typeIjLj3EEjjjS8_jjjS8_jjjj.num_vgpr, 155
	.set _ZL13mul_mat_vec_qIL9ggml_type40ELi6ELb0ELb0EEvPKvS2_PKi31ggml_cuda_mm_fusion_args_devicePfj15HIP_vector_typeIjLj3EEjjjS8_jjjS8_jjjj.num_agpr, 0
	.set _ZL13mul_mat_vec_qIL9ggml_type40ELi6ELb0ELb0EEvPKvS2_PKi31ggml_cuda_mm_fusion_args_devicePfj15HIP_vector_typeIjLj3EEjjjS8_jjjS8_jjjj.numbered_sgpr, 36
	.set _ZL13mul_mat_vec_qIL9ggml_type40ELi6ELb0ELb0EEvPKvS2_PKi31ggml_cuda_mm_fusion_args_devicePfj15HIP_vector_typeIjLj3EEjjjS8_jjjS8_jjjj.num_named_barrier, 0
	.set _ZL13mul_mat_vec_qIL9ggml_type40ELi6ELb0ELb0EEvPKvS2_PKi31ggml_cuda_mm_fusion_args_devicePfj15HIP_vector_typeIjLj3EEjjjS8_jjjS8_jjjj.private_seg_size, 0
	.set _ZL13mul_mat_vec_qIL9ggml_type40ELi6ELb0ELb0EEvPKvS2_PKi31ggml_cuda_mm_fusion_args_devicePfj15HIP_vector_typeIjLj3EEjjjS8_jjjS8_jjjj.uses_vcc, 1
	.set _ZL13mul_mat_vec_qIL9ggml_type40ELi6ELb0ELb0EEvPKvS2_PKi31ggml_cuda_mm_fusion_args_devicePfj15HIP_vector_typeIjLj3EEjjjS8_jjjS8_jjjj.uses_flat_scratch, 0
	.set _ZL13mul_mat_vec_qIL9ggml_type40ELi6ELb0ELb0EEvPKvS2_PKi31ggml_cuda_mm_fusion_args_devicePfj15HIP_vector_typeIjLj3EEjjjS8_jjjS8_jjjj.has_dyn_sized_stack, 0
	.set _ZL13mul_mat_vec_qIL9ggml_type40ELi6ELb0ELb0EEvPKvS2_PKi31ggml_cuda_mm_fusion_args_devicePfj15HIP_vector_typeIjLj3EEjjjS8_jjjS8_jjjj.has_recursion, 0
	.set _ZL13mul_mat_vec_qIL9ggml_type40ELi6ELb0ELb0EEvPKvS2_PKi31ggml_cuda_mm_fusion_args_devicePfj15HIP_vector_typeIjLj3EEjjjS8_jjjS8_jjjj.has_indirect_call, 0
	.section	.AMDGPU.csdata,"",@progbits
; Kernel info:
; codeLenInByte = 13764
; TotalNumSgprs: 40
; NumVgprs: 155
; ScratchSize: 0
; MemoryBound: 0
; FloatMode: 240
; IeeeMode: 1
; LDSByteSize: 0 bytes/workgroup (compile time only)
; SGPRBlocks: 4
; VGPRBlocks: 38
; NumSGPRsForWavesPerEU: 40
; NumVGPRsForWavesPerEU: 155
; Occupancy: 1
; WaveLimiterHint : 0
; COMPUTE_PGM_RSRC2:SCRATCH_EN: 0
; COMPUTE_PGM_RSRC2:USER_SGPR: 6
; COMPUTE_PGM_RSRC2:TRAP_HANDLER: 0
; COMPUTE_PGM_RSRC2:TGID_X_EN: 1
; COMPUTE_PGM_RSRC2:TGID_Y_EN: 1
; COMPUTE_PGM_RSRC2:TGID_Z_EN: 1
; COMPUTE_PGM_RSRC2:TIDIG_COMP_CNT: 1
	.section	.text._ZL13mul_mat_vec_qIL9ggml_type40ELi7ELb0ELb0EEvPKvS2_PKi31ggml_cuda_mm_fusion_args_devicePfj15HIP_vector_typeIjLj3EEjjjS8_jjjS8_jjjj,"axG",@progbits,_ZL13mul_mat_vec_qIL9ggml_type40ELi7ELb0ELb0EEvPKvS2_PKi31ggml_cuda_mm_fusion_args_devicePfj15HIP_vector_typeIjLj3EEjjjS8_jjjS8_jjjj,comdat
	.globl	_ZL13mul_mat_vec_qIL9ggml_type40ELi7ELb0ELb0EEvPKvS2_PKi31ggml_cuda_mm_fusion_args_devicePfj15HIP_vector_typeIjLj3EEjjjS8_jjjS8_jjjj ; -- Begin function _ZL13mul_mat_vec_qIL9ggml_type40ELi7ELb0ELb0EEvPKvS2_PKi31ggml_cuda_mm_fusion_args_devicePfj15HIP_vector_typeIjLj3EEjjjS8_jjjS8_jjjj
	.p2align	8
	.type	_ZL13mul_mat_vec_qIL9ggml_type40ELi7ELb0ELb0EEvPKvS2_PKi31ggml_cuda_mm_fusion_args_devicePfj15HIP_vector_typeIjLj3EEjjjS8_jjjS8_jjjj,@function
_ZL13mul_mat_vec_qIL9ggml_type40ELi7ELb0ELb0EEvPKvS2_PKi31ggml_cuda_mm_fusion_args_devicePfj15HIP_vector_typeIjLj3EEjjjS8_jjjS8_jjjj: ; @_ZL13mul_mat_vec_qIL9ggml_type40ELi7ELb0ELb0EEvPKvS2_PKi31ggml_cuda_mm_fusion_args_devicePfj15HIP_vector_typeIjLj3EEjjjS8_jjjS8_jjjj
; %bb.0:
	s_load_dword s9, s[4:5], 0x40
	s_load_dwordx4 s[12:15], s[4:5], 0x50
	s_load_dword s25, s[4:5], 0x60
	s_load_dwordx4 s[0:3], s[4:5], 0x68
	;; [unrolled: 2-line block ×3, first 2 shown]
	v_lshl_or_b32 v2, v1, 6, v0
	s_waitcnt lgkmcnt(0)
	s_lshr_b32 s9, s9, 6
	v_lshrrev_b16_e32 v134, 1, v2
	s_lshl_b32 s6, s6, 1
	v_cmp_gt_u32_e32 vcc, s9, v134
	v_mov_b32_e32 v122, 0
	v_mov_b32_e32 v123, 0
	;; [unrolled: 1-line block ×14, first 2 shown]
	s_and_saveexec_b64 s[10:11], vcc
	s_cbranch_execz .LBB94_172
; %bb.1:
	s_load_dwordx4 s[20:23], s[4:5], 0x0
	s_mul_i32 s17, s17, s8
	s_mul_i32 s26, s17, 36
	;; [unrolled: 1-line block ×3, first 2 shown]
	s_mul_hi_u32 s19, s17, 36
	s_waitcnt lgkmcnt(0)
	s_add_u32 s28, s22, s26
	s_addc_u32 s19, s23, s19
	s_mul_i32 s26, s1, 36
	s_mul_hi_u32 s27, s1, 36
	s_add_u32 s28, s28, s26
	s_mul_hi_u32 s1, s15, s7
	s_addc_u32 s29, s19, s27
	s_add_i32 s1, s7, s1
	s_lshr_b32 s1, s1, s25
	s_mul_i32 s1, s1, s0
	s_mul_hi_u32 s0, s3, s8
	s_add_i32 s0, s8, s0
	s_lshr_b32 s0, s0, s24
	v_lshlrev_b32_e32 v3, 2, v0
	s_mul_i32 s0, s0, s16
	v_and_b32_e32 v137, 4, v3
	v_and_b32_e32 v4, 1, v0
	s_add_i32 s16, s0, s1
	v_or_b32_e32 v3, 2, v137
	v_mad_u64_u32 v[58:59], s[0:1], v4, 36, s[28:29]
	v_lshrrev_b32_e32 v139, 1, v3
	s_mul_i32 s0, s6, s12
	v_lshrrev_b32_e32 v5, 1, v2
	v_mov_b32_e32 v2, s26
	s_add_i32 s3, s16, s0
	s_movk_i32 s0, 0x48
	v_mov_b32_e32 v3, s27
	v_mad_u64_u32 v[2:3], s[0:1], v5, s0, v[2:3]
	s_add_i32 s19, s6, 1
	v_lshrrev_b32_e32 v138, 1, v137
	v_mad_u64_u32 v[2:3], s[0:1], s17, 36, v[2:3]
	s_mul_i32 s0, s12, s19
	s_add_i32 s12, s16, s0
	v_mad_u64_u32 v[2:3], s[0:1], v4, 36, v[2:3]
	v_mov_b32_e32 v4, s23
	v_mov_b32_e32 v122, 0
	v_add_co_u32_e32 v60, vcc, s22, v2
	s_lshl_b32 s15, s13, 1
	v_lshlrev_b32_e32 v140, 1, v134
	v_addc_co_u32_e32 v61, vcc, v4, v3, vcc
	s_mul_i32 s19, s13, 3
	s_lshl_b32 s24, s13, 2
	s_mul_i32 s25, s13, 5
	s_mul_i32 s26, s13, 6
	s_mov_b64 s[16:17], 0
	s_movk_i32 s27, 0x7e
	s_movk_i32 s28, 0x7f
	s_mov_b32 s29, 0x3e000000
	s_mov_b32 s30, 0xf4f8fafc
	;; [unrolled: 1-line block ×3, first 2 shown]
	v_mov_b32_e32 v141, 0xfdfeff00
	v_mov_b32_e32 v142, 0x3020100
	;; [unrolled: 1-line block ×15, first 2 shown]
	s_branch .LBB94_3
.LBB94_2:                               ;   in Loop: Header=BB94_3 Depth=1
	s_or_b64 exec, exec, s[22:23]
	v_ashrrev_i32_e32 v96, 4, v93
	v_and_b32_e32 v97, 0x7070707, v96
	v_lshrrev_b32_e32 v96, 1, v96
	v_and_b32_e32 v96, 0x4040404, v96
	v_perm_b32 v176, s30, v141, v97
	v_perm_b32 v97, s31, v142, v97
	v_or_b32_e32 v96, 0x3020100, v96
	v_perm_b32 v96, v176, v97, v96
	v_and_b32_e32 v97, 0x7070707, v93
	v_lshrrev_b32_e32 v93, 1, v93
	v_and_b32_e32 v93, 0x4040404, v93
	v_perm_b32 v176, s30, v141, v97
	v_perm_b32 v97, s31, v142, v97
	v_or_b32_e32 v93, 0x3020100, v93
	v_perm_b32 v93, v176, v97, v93
	v_ashrrev_i32_e32 v97, 4, v92
	v_and_b32_e32 v176, 0x7070707, v97
	v_lshrrev_b32_e32 v97, 1, v97
	v_and_b32_e32 v97, 0x4040404, v97
	v_perm_b32 v177, s30, v141, v176
	v_perm_b32 v176, s31, v142, v176
	v_or_b32_e32 v97, 0x3020100, v97
	v_perm_b32 v97, v177, v176, v97
	v_and_b32_e32 v176, 0x7070707, v92
	v_lshrrev_b32_e32 v92, 1, v92
	v_and_b32_e32 v92, 0x4040404, v92
	v_perm_b32 v177, s30, v141, v176
	v_perm_b32 v176, s31, v142, v176
	v_or_b32_e32 v92, 0x3020100, v92
	v_perm_b32 v92, v177, v176, v92
	v_dot4_i32_i8 v92, v92, v35, 0
	v_dot4_i32_i8 v92, v97, v37, v92
	;; [unrolled: 1-line block ×3, first 2 shown]
	v_ashrrev_i32_e32 v93, 4, v121
	v_and_b32_e32 v97, 0x7070707, v93
	v_lshrrev_b32_e32 v93, 1, v93
	v_and_b32_e32 v93, 0x4040404, v93
	v_perm_b32 v176, s30, v141, v97
	v_perm_b32 v97, s31, v142, v97
	v_or_b32_e32 v93, 0x3020100, v93
	v_perm_b32 v93, v176, v97, v93
	v_and_b32_e32 v97, 0x7070707, v121
	v_lshrrev_b32_e32 v121, 1, v121
	v_and_b32_e32 v121, 0x4040404, v121
	v_perm_b32 v176, s30, v141, v97
	v_perm_b32 v97, s31, v142, v97
	v_or_b32_e32 v121, 0x3020100, v121
	v_perm_b32 v97, v176, v97, v121
	v_ashrrev_i32_e32 v121, 4, v120
	v_and_b32_e32 v176, 0x7070707, v121
	v_lshrrev_b32_e32 v121, 1, v121
	v_and_b32_e32 v121, 0x4040404, v121
	v_perm_b32 v177, s30, v141, v176
	v_perm_b32 v176, s31, v142, v176
	v_or_b32_e32 v121, 0x3020100, v121
	v_perm_b32 v121, v177, v176, v121
	v_and_b32_e32 v176, 0x7070707, v120
	v_lshrrev_b32_e32 v120, 1, v120
	v_and_b32_e32 v120, 0x4040404, v120
	v_perm_b32 v177, s30, v141, v176
	v_perm_b32 v176, s31, v142, v176
	v_or_b32_e32 v120, 0x3020100, v120
	v_perm_b32 v120, v177, v176, v120
	v_dot4_i32_i8 v120, v120, v39, 0
	v_dot4_i32_i8 v120, v121, v41, v120
	v_dot4_i32_i8 v97, v97, v40, v120
	v_cvt_f32_f16_e32 v38, v38
	v_dot4_i32_i8 v93, v93, v34, v97
	v_cvt_f32_i32_e32 v93, v93
	v_dot4_i32_i8 v92, v96, v161, v92
	v_cvt_f32_i32_e32 v92, v92
	v_mul_f32_e32 v96, v174, v38
	v_fma_f32 v93, v96, v93, 0
	v_mul_f32_e32 v96, v175, v38
	v_fmac_f32_e32 v93, v96, v92
	v_ashrrev_i32_e32 v92, 4, v119
	v_add_f32_e32 v123, v123, v93
	v_and_b32_e32 v93, 0x7070707, v92
	v_lshrrev_b32_e32 v92, 1, v92
	v_and_b32_e32 v92, 0x4040404, v92
	v_perm_b32 v96, s30, v141, v93
	v_perm_b32 v93, s31, v142, v93
	v_or_b32_e32 v92, 0x3020100, v92
	v_lshrrev_b32_e32 v97, 1, v119
	v_perm_b32 v92, v96, v93, v92
	v_and_b32_e32 v93, 0x7070707, v119
	v_and_b32_e32 v97, 0x4040404, v97
	v_perm_b32 v96, s30, v141, v93
	v_perm_b32 v93, s31, v142, v93
	v_or_b32_e32 v97, 0x3020100, v97
	v_perm_b32 v93, v96, v93, v97
	v_ashrrev_i32_e32 v96, 4, v118
	v_and_b32_e32 v97, 0x7070707, v96
	v_lshrrev_b32_e32 v96, 1, v96
	v_and_b32_e32 v96, 0x4040404, v96
	v_perm_b32 v119, s30, v141, v97
	v_perm_b32 v97, s31, v142, v97
	v_or_b32_e32 v96, 0x3020100, v96
	v_perm_b32 v96, v119, v97, v96
	v_and_b32_e32 v97, 0x7070707, v118
	v_lshrrev_b32_e32 v118, 1, v118
	v_and_b32_e32 v118, 0x4040404, v118
	v_perm_b32 v119, s30, v141, v97
	v_perm_b32 v97, s31, v142, v97
	v_or_b32_e32 v118, 0x3020100, v118
	v_perm_b32 v97, v119, v97, v118
	v_dot4_i32_i8 v97, v97, v51, 0
	v_dot4_i32_i8 v96, v96, v53, v97
	;; [unrolled: 1-line block ×3, first 2 shown]
	v_ashrrev_i32_e32 v96, 4, v117
	v_and_b32_e32 v97, 0x7070707, v96
	v_lshrrev_b32_e32 v96, 1, v96
	v_and_b32_e32 v96, 0x4040404, v96
	v_perm_b32 v118, s30, v141, v97
	v_perm_b32 v97, s31, v142, v97
	v_or_b32_e32 v96, 0x3020100, v96
	v_perm_b32 v96, v118, v97, v96
	v_and_b32_e32 v97, 0x7070707, v117
	v_lshrrev_b32_e32 v117, 1, v117
	v_and_b32_e32 v117, 0x4040404, v117
	v_perm_b32 v118, s30, v141, v97
	v_perm_b32 v97, s31, v142, v97
	v_or_b32_e32 v117, 0x3020100, v117
	v_perm_b32 v97, v118, v97, v117
	v_ashrrev_i32_e32 v117, 4, v116
	v_and_b32_e32 v118, 0x7070707, v117
	v_lshrrev_b32_e32 v117, 1, v117
	v_and_b32_e32 v117, 0x4040404, v117
	v_perm_b32 v119, s30, v141, v118
	v_perm_b32 v118, s31, v142, v118
	v_or_b32_e32 v117, 0x3020100, v117
	v_perm_b32 v117, v119, v118, v117
	v_and_b32_e32 v118, 0x7070707, v116
	v_lshrrev_b32_e32 v116, 1, v116
	v_and_b32_e32 v116, 0x4040404, v116
	v_perm_b32 v119, s30, v141, v118
	v_perm_b32 v118, s31, v142, v118
	v_or_b32_e32 v116, 0x3020100, v116
	v_perm_b32 v116, v119, v118, v116
	v_dot4_i32_i8 v116, v116, v55, 0
	v_dot4_i32_i8 v116, v117, v57, v116
	;; [unrolled: 1-line block ×3, first 2 shown]
	v_cvt_f32_f16_e32 v54, v54
	v_dot4_i32_i8 v96, v96, v50, v97
	v_cvt_f32_i32_e32 v96, v96
	v_dot4_i32_i8 v92, v92, v169, v93
	v_cvt_f32_i32_e32 v92, v92
	v_mul_f32_e32 v93, v172, v54
	v_fma_f32 v93, v93, v96, 0
	v_mul_f32_e32 v96, v173, v54
	v_fmac_f32_e32 v93, v96, v92
	v_ashrrev_i32_e32 v92, 4, v115
	v_add_f32_e32 v124, v124, v93
	v_and_b32_e32 v93, 0x7070707, v92
	v_lshrrev_b32_e32 v92, 1, v92
	v_and_b32_e32 v92, 0x4040404, v92
	v_perm_b32 v96, s30, v141, v93
	v_perm_b32 v93, s31, v142, v93
	v_or_b32_e32 v92, 0x3020100, v92
	v_lshrrev_b32_e32 v97, 1, v115
	v_perm_b32 v92, v96, v93, v92
	v_and_b32_e32 v93, 0x7070707, v115
	v_and_b32_e32 v97, 0x4040404, v97
	v_perm_b32 v96, s30, v141, v93
	v_perm_b32 v93, s31, v142, v93
	v_or_b32_e32 v97, 0x3020100, v97
	v_perm_b32 v93, v96, v93, v97
	v_ashrrev_i32_e32 v96, 4, v114
	v_and_b32_e32 v97, 0x7070707, v96
	v_lshrrev_b32_e32 v96, 1, v96
	v_and_b32_e32 v96, 0x4040404, v96
	v_perm_b32 v115, s30, v141, v97
	v_perm_b32 v97, s31, v142, v97
	v_or_b32_e32 v96, 0x3020100, v96
	v_perm_b32 v96, v115, v97, v96
	v_and_b32_e32 v97, 0x7070707, v114
	v_lshrrev_b32_e32 v114, 1, v114
	v_and_b32_e32 v114, 0x4040404, v114
	v_perm_b32 v115, s30, v141, v97
	v_perm_b32 v97, s31, v142, v97
	v_or_b32_e32 v114, 0x3020100, v114
	v_perm_b32 v97, v115, v97, v114
	v_dot4_i32_i8 v51, v97, v51, 0
	v_dot4_i32_i8 v51, v96, v53, v51
	;; [unrolled: 1-line block ×3, first 2 shown]
	v_ashrrev_i32_e32 v52, 4, v113
	v_and_b32_e32 v53, 0x7070707, v52
	v_lshrrev_b32_e32 v52, 1, v52
	v_and_b32_e32 v52, 0x4040404, v52
	v_perm_b32 v93, s30, v141, v53
	v_perm_b32 v53, s31, v142, v53
	v_or_b32_e32 v52, 0x3020100, v52
	v_lshrrev_b32_e32 v96, 1, v113
	v_perm_b32 v52, v93, v53, v52
	v_and_b32_e32 v53, 0x7070707, v113
	v_and_b32_e32 v96, 0x4040404, v96
	v_perm_b32 v93, s30, v141, v53
	v_perm_b32 v53, s31, v142, v53
	v_or_b32_e32 v96, 0x3020100, v96
	v_perm_b32 v53, v93, v53, v96
	v_ashrrev_i32_e32 v93, 4, v112
	v_and_b32_e32 v96, 0x7070707, v93
	v_lshrrev_b32_e32 v93, 1, v93
	v_and_b32_e32 v93, 0x4040404, v93
	v_perm_b32 v97, s30, v141, v96
	v_perm_b32 v96, s31, v142, v96
	v_or_b32_e32 v93, 0x3020100, v93
	v_perm_b32 v93, v97, v96, v93
	v_and_b32_e32 v96, 0x7070707, v112
	v_lshrrev_b32_e32 v112, 1, v112
	v_and_b32_e32 v112, 0x4040404, v112
	v_perm_b32 v97, s30, v141, v96
	v_perm_b32 v96, s31, v142, v96
	v_or_b32_e32 v112, 0x3020100, v112
	v_perm_b32 v96, v97, v96, v112
	v_dot4_i32_i8 v55, v96, v55, 0
	v_dot4_i32_i8 v55, v93, v57, v55
	;; [unrolled: 1-line block ×4, first 2 shown]
	v_cvt_f32_i32_e32 v50, v50
	v_dot4_i32_i8 v51, v92, v169, v51
	v_cvt_f32_i32_e32 v51, v51
	v_mul_f32_e32 v52, v170, v54
	v_fma_f32 v50, v52, v50, 0
	v_mul_f32_e32 v52, v171, v54
	v_fmac_f32_e32 v50, v52, v51
	v_add_f32_e32 v125, v125, v50
	v_ashrrev_i32_e32 v50, 4, v111
	v_and_b32_e32 v51, 0x7070707, v50
	v_lshrrev_b32_e32 v50, 1, v50
	v_and_b32_e32 v50, 0x4040404, v50
	v_perm_b32 v52, s30, v141, v51
	v_perm_b32 v51, s31, v142, v51
	v_or_b32_e32 v50, 0x3020100, v50
	v_lshrrev_b32_e32 v53, 1, v111
	v_perm_b32 v50, v52, v51, v50
	v_and_b32_e32 v51, 0x7070707, v111
	v_and_b32_e32 v53, 0x4040404, v53
	v_perm_b32 v52, s30, v141, v51
	v_perm_b32 v51, s31, v142, v51
	v_or_b32_e32 v53, 0x3020100, v53
	v_perm_b32 v51, v52, v51, v53
	v_ashrrev_i32_e32 v52, 4, v110
	v_and_b32_e32 v53, 0x7070707, v52
	v_lshrrev_b32_e32 v52, 1, v52
	v_and_b32_e32 v52, 0x4040404, v52
	v_perm_b32 v54, s30, v141, v53
	v_perm_b32 v53, s31, v142, v53
	v_or_b32_e32 v52, 0x3020100, v52
	v_lshrrev_b32_e32 v55, 1, v110
	v_perm_b32 v52, v54, v53, v52
	v_and_b32_e32 v53, 0x7070707, v110
	v_and_b32_e32 v55, 0x4040404, v55
	v_perm_b32 v54, s30, v141, v53
	v_perm_b32 v53, s31, v142, v53
	v_or_b32_e32 v55, 0x3020100, v55
	v_perm_b32 v53, v54, v53, v55
	v_dot4_i32_i8 v53, v53, v43, 0
	v_dot4_i32_i8 v52, v52, v45, v53
	;; [unrolled: 1-line block ×3, first 2 shown]
	v_ashrrev_i32_e32 v52, 4, v109
	v_and_b32_e32 v53, 0x7070707, v52
	v_lshrrev_b32_e32 v52, 1, v52
	v_and_b32_e32 v52, 0x4040404, v52
	v_perm_b32 v54, s30, v141, v53
	v_perm_b32 v53, s31, v142, v53
	v_or_b32_e32 v52, 0x3020100, v52
	v_lshrrev_b32_e32 v55, 1, v109
	v_perm_b32 v52, v54, v53, v52
	v_and_b32_e32 v53, 0x7070707, v109
	v_and_b32_e32 v55, 0x4040404, v55
	v_perm_b32 v54, s30, v141, v53
	v_perm_b32 v53, s31, v142, v53
	v_or_b32_e32 v55, 0x3020100, v55
	v_perm_b32 v53, v54, v53, v55
	v_ashrrev_i32_e32 v54, 4, v108
	v_and_b32_e32 v55, 0x7070707, v54
	v_lshrrev_b32_e32 v54, 1, v54
	v_and_b32_e32 v54, 0x4040404, v54
	v_perm_b32 v56, s30, v141, v55
	v_perm_b32 v55, s31, v142, v55
	v_or_b32_e32 v54, 0x3020100, v54
	v_lshrrev_b32_e32 v57, 1, v108
	v_perm_b32 v54, v56, v55, v54
	v_and_b32_e32 v55, 0x7070707, v108
	v_and_b32_e32 v57, 0x4040404, v57
	v_perm_b32 v56, s30, v141, v55
	v_perm_b32 v55, s31, v142, v55
	v_or_b32_e32 v57, 0x3020100, v57
	v_perm_b32 v55, v56, v55, v57
	v_dot4_i32_i8 v55, v55, v47, 0
	v_dot4_i32_i8 v54, v54, v49, v55
	;; [unrolled: 1-line block ×3, first 2 shown]
	v_cvt_f32_f16_e32 v46, v46
	v_dot4_i32_i8 v52, v52, v42, v53
	v_cvt_f32_i32_e32 v52, v52
	v_dot4_i32_i8 v50, v50, v164, v51
	v_cvt_f32_i32_e32 v50, v50
	v_mul_f32_e32 v51, v167, v46
	v_fma_f32 v51, v51, v52, 0
	v_mul_f32_e32 v52, v168, v46
	v_fmac_f32_e32 v51, v52, v50
	v_ashrrev_i32_e32 v50, 4, v107
	v_add_f32_e32 v126, v126, v51
	v_and_b32_e32 v51, 0x7070707, v50
	v_lshrrev_b32_e32 v50, 1, v50
	v_and_b32_e32 v50, 0x4040404, v50
	v_perm_b32 v52, s30, v141, v51
	v_perm_b32 v51, s31, v142, v51
	v_or_b32_e32 v50, 0x3020100, v50
	v_lshrrev_b32_e32 v53, 1, v107
	v_perm_b32 v50, v52, v51, v50
	v_and_b32_e32 v51, 0x7070707, v107
	v_and_b32_e32 v53, 0x4040404, v53
	v_perm_b32 v52, s30, v141, v51
	v_perm_b32 v51, s31, v142, v51
	v_or_b32_e32 v53, 0x3020100, v53
	v_perm_b32 v51, v52, v51, v53
	v_ashrrev_i32_e32 v52, 4, v106
	v_and_b32_e32 v53, 0x7070707, v52
	v_lshrrev_b32_e32 v52, 1, v52
	v_and_b32_e32 v52, 0x4040404, v52
	v_perm_b32 v54, s30, v141, v53
	v_perm_b32 v53, s31, v142, v53
	v_or_b32_e32 v52, 0x3020100, v52
	v_lshrrev_b32_e32 v55, 1, v106
	v_perm_b32 v52, v54, v53, v52
	v_and_b32_e32 v53, 0x7070707, v106
	v_and_b32_e32 v55, 0x4040404, v55
	v_perm_b32 v54, s30, v141, v53
	v_perm_b32 v53, s31, v142, v53
	v_or_b32_e32 v55, 0x3020100, v55
	v_perm_b32 v53, v54, v53, v55
	v_dot4_i32_i8 v43, v53, v43, 0
	v_dot4_i32_i8 v43, v52, v45, v43
	;; [unrolled: 1-line block ×3, first 2 shown]
	v_ashrrev_i32_e32 v44, 4, v105
	v_and_b32_e32 v45, 0x7070707, v44
	v_lshrrev_b32_e32 v44, 1, v44
	v_and_b32_e32 v44, 0x4040404, v44
	v_perm_b32 v51, s30, v141, v45
	v_perm_b32 v45, s31, v142, v45
	v_or_b32_e32 v44, 0x3020100, v44
	v_lshrrev_b32_e32 v52, 1, v105
	v_perm_b32 v44, v51, v45, v44
	v_and_b32_e32 v45, 0x7070707, v105
	v_and_b32_e32 v52, 0x4040404, v52
	v_perm_b32 v51, s30, v141, v45
	v_perm_b32 v45, s31, v142, v45
	v_or_b32_e32 v52, 0x3020100, v52
	v_perm_b32 v45, v51, v45, v52
	v_ashrrev_i32_e32 v51, 4, v104
	v_and_b32_e32 v52, 0x7070707, v51
	v_lshrrev_b32_e32 v51, 1, v51
	v_and_b32_e32 v51, 0x4040404, v51
	v_perm_b32 v53, s30, v141, v52
	v_perm_b32 v52, s31, v142, v52
	v_or_b32_e32 v51, 0x3020100, v51
	v_lshrrev_b32_e32 v54, 1, v104
	v_perm_b32 v51, v53, v52, v51
	v_and_b32_e32 v52, 0x7070707, v104
	v_and_b32_e32 v54, 0x4040404, v54
	v_perm_b32 v53, s30, v141, v52
	v_perm_b32 v52, s31, v142, v52
	v_or_b32_e32 v54, 0x3020100, v54
	v_perm_b32 v52, v53, v52, v54
	v_dot4_i32_i8 v47, v52, v47, 0
	v_dot4_i32_i8 v47, v51, v49, v47
	;; [unrolled: 1-line block ×4, first 2 shown]
	v_cvt_f32_i32_e32 v42, v42
	v_dot4_i32_i8 v43, v50, v164, v43
	v_cvt_f32_i32_e32 v43, v43
	v_mul_f32_e32 v44, v165, v46
	v_fma_f32 v42, v44, v42, 0
	v_mul_f32_e32 v44, v166, v46
	v_fmac_f32_e32 v42, v44, v43
	v_add_f32_e32 v127, v127, v42
	v_ashrrev_i32_e32 v42, 4, v103
	v_and_b32_e32 v43, 0x7070707, v42
	v_lshrrev_b32_e32 v42, 1, v42
	v_and_b32_e32 v42, 0x4040404, v42
	v_perm_b32 v44, s30, v141, v43
	v_perm_b32 v43, s31, v142, v43
	v_or_b32_e32 v42, 0x3020100, v42
	v_lshrrev_b32_e32 v45, 1, v103
	v_perm_b32 v42, v44, v43, v42
	v_and_b32_e32 v43, 0x7070707, v103
	v_and_b32_e32 v45, 0x4040404, v45
	v_perm_b32 v44, s30, v141, v43
	v_perm_b32 v43, s31, v142, v43
	v_or_b32_e32 v45, 0x3020100, v45
	v_perm_b32 v43, v44, v43, v45
	v_ashrrev_i32_e32 v44, 4, v102
	v_and_b32_e32 v45, 0x7070707, v44
	v_lshrrev_b32_e32 v44, 1, v44
	v_and_b32_e32 v44, 0x4040404, v44
	v_perm_b32 v46, s30, v141, v45
	v_perm_b32 v45, s31, v142, v45
	v_or_b32_e32 v44, 0x3020100, v44
	v_lshrrev_b32_e32 v47, 1, v102
	v_perm_b32 v44, v46, v45, v44
	v_and_b32_e32 v45, 0x7070707, v102
	v_and_b32_e32 v47, 0x4040404, v47
	v_perm_b32 v46, s30, v141, v45
	v_perm_b32 v45, s31, v142, v45
	v_or_b32_e32 v47, 0x3020100, v47
	v_perm_b32 v45, v46, v45, v47
	v_dot4_i32_i8 v45, v45, v27, 0
	v_dot4_i32_i8 v44, v44, v29, v45
	v_dot4_i32_i8 v43, v43, v28, v44
	v_ashrrev_i32_e32 v44, 4, v101
	v_and_b32_e32 v45, 0x7070707, v44
	v_lshrrev_b32_e32 v44, 1, v44
	v_and_b32_e32 v44, 0x4040404, v44
	v_perm_b32 v46, s30, v141, v45
	v_perm_b32 v45, s31, v142, v45
	v_or_b32_e32 v44, 0x3020100, v44
	v_lshrrev_b32_e32 v47, 1, v101
	v_perm_b32 v44, v46, v45, v44
	v_and_b32_e32 v45, 0x7070707, v101
	v_and_b32_e32 v47, 0x4040404, v47
	v_perm_b32 v46, s30, v141, v45
	v_perm_b32 v45, s31, v142, v45
	v_or_b32_e32 v47, 0x3020100, v47
	v_perm_b32 v45, v46, v45, v47
	v_ashrrev_i32_e32 v46, 4, v100
	v_and_b32_e32 v47, 0x7070707, v46
	v_lshrrev_b32_e32 v46, 1, v46
	v_and_b32_e32 v46, 0x4040404, v46
	v_perm_b32 v48, s30, v141, v47
	v_perm_b32 v47, s31, v142, v47
	v_or_b32_e32 v46, 0x3020100, v46
	v_lshrrev_b32_e32 v49, 1, v100
	v_perm_b32 v46, v48, v47, v46
	v_and_b32_e32 v47, 0x7070707, v100
	v_and_b32_e32 v49, 0x4040404, v49
	v_perm_b32 v48, s30, v141, v47
	v_perm_b32 v47, s31, v142, v47
	v_or_b32_e32 v49, 0x3020100, v49
	v_perm_b32 v47, v48, v47, v49
	v_dot4_i32_i8 v47, v47, v31, 0
	v_dot4_i32_i8 v46, v46, v33, v47
	;; [unrolled: 1-line block ×3, first 2 shown]
	v_cvt_f32_f16_e32 v30, v30
	v_dot4_i32_i8 v44, v44, v26, v45
	v_cvt_f32_i32_e32 v44, v44
	v_dot4_i32_i8 v42, v42, v158, v43
	v_cvt_f32_i32_e32 v42, v42
	v_mul_f32_e32 v43, v162, v30
	v_fma_f32 v43, v43, v44, 0
	v_mul_f32_e32 v44, v163, v30
	v_fmac_f32_e32 v43, v44, v42
	v_ashrrev_i32_e32 v42, 4, v99
	v_add_f32_e32 v128, v128, v43
	v_and_b32_e32 v43, 0x7070707, v42
	v_lshrrev_b32_e32 v42, 1, v42
	v_and_b32_e32 v42, 0x4040404, v42
	v_perm_b32 v44, s30, v141, v43
	v_perm_b32 v43, s31, v142, v43
	v_or_b32_e32 v42, 0x3020100, v42
	v_lshrrev_b32_e32 v45, 1, v99
	v_perm_b32 v42, v44, v43, v42
	v_and_b32_e32 v43, 0x7070707, v99
	v_and_b32_e32 v45, 0x4040404, v45
	v_perm_b32 v44, s30, v141, v43
	v_perm_b32 v43, s31, v142, v43
	v_or_b32_e32 v45, 0x3020100, v45
	v_perm_b32 v43, v44, v43, v45
	v_ashrrev_i32_e32 v44, 4, v98
	v_and_b32_e32 v45, 0x7070707, v44
	v_lshrrev_b32_e32 v44, 1, v44
	v_and_b32_e32 v44, 0x4040404, v44
	v_perm_b32 v46, s30, v141, v45
	v_perm_b32 v45, s31, v142, v45
	v_or_b32_e32 v44, 0x3020100, v44
	v_lshrrev_b32_e32 v47, 1, v98
	v_perm_b32 v44, v46, v45, v44
	v_and_b32_e32 v45, 0x7070707, v98
	v_and_b32_e32 v47, 0x4040404, v47
	v_perm_b32 v46, s30, v141, v45
	v_perm_b32 v45, s31, v142, v45
	v_or_b32_e32 v47, 0x3020100, v47
	v_perm_b32 v45, v46, v45, v47
	v_dot4_i32_i8 v27, v45, v27, 0
	v_dot4_i32_i8 v27, v44, v29, v27
	;; [unrolled: 1-line block ×3, first 2 shown]
	v_ashrrev_i32_e32 v28, 4, v91
	v_and_b32_e32 v29, 0x7070707, v28
	v_lshrrev_b32_e32 v28, 1, v28
	v_and_b32_e32 v28, 0x4040404, v28
	v_perm_b32 v43, s30, v141, v29
	v_perm_b32 v29, s31, v142, v29
	v_or_b32_e32 v28, 0x3020100, v28
	v_lshrrev_b32_e32 v44, 1, v91
	v_perm_b32 v28, v43, v29, v28
	v_and_b32_e32 v29, 0x7070707, v91
	v_and_b32_e32 v44, 0x4040404, v44
	v_perm_b32 v43, s30, v141, v29
	v_perm_b32 v29, s31, v142, v29
	v_or_b32_e32 v44, 0x3020100, v44
	v_perm_b32 v29, v43, v29, v44
	v_ashrrev_i32_e32 v43, 4, v90
	v_and_b32_e32 v44, 0x7070707, v43
	v_lshrrev_b32_e32 v43, 1, v43
	v_and_b32_e32 v43, 0x4040404, v43
	v_perm_b32 v45, s30, v141, v44
	v_perm_b32 v44, s31, v142, v44
	v_or_b32_e32 v43, 0x3020100, v43
	v_lshrrev_b32_e32 v46, 1, v90
	v_perm_b32 v43, v45, v44, v43
	v_and_b32_e32 v44, 0x7070707, v90
	v_and_b32_e32 v46, 0x4040404, v46
	v_perm_b32 v45, s30, v141, v44
	v_perm_b32 v44, s31, v142, v44
	v_or_b32_e32 v46, 0x3020100, v46
	v_perm_b32 v44, v45, v44, v46
	v_dot4_i32_i8 v31, v44, v31, 0
	v_dot4_i32_i8 v31, v43, v33, v31
	;; [unrolled: 1-line block ×4, first 2 shown]
	v_cvt_f32_i32_e32 v26, v26
	v_dot4_i32_i8 v27, v42, v158, v27
	v_cvt_f32_i32_e32 v27, v27
	v_mul_f32_e32 v28, v159, v30
	v_fma_f32 v26, v28, v26, 0
	v_mul_f32_e32 v28, v160, v30
	v_fmac_f32_e32 v26, v28, v27
	v_add_f32_e32 v129, v129, v26
	v_ashrrev_i32_e32 v26, 4, v85
	v_and_b32_e32 v27, 0x7070707, v26
	v_lshrrev_b32_e32 v26, 1, v26
	v_and_b32_e32 v26, 0x4040404, v26
	v_perm_b32 v28, s30, v141, v27
	v_perm_b32 v27, s31, v142, v27
	v_or_b32_e32 v26, 0x3020100, v26
	v_lshrrev_b32_e32 v29, 1, v85
	v_perm_b32 v26, v28, v27, v26
	v_and_b32_e32 v27, 0x7070707, v85
	v_and_b32_e32 v29, 0x4040404, v29
	v_perm_b32 v28, s30, v141, v27
	v_perm_b32 v27, s31, v142, v27
	v_or_b32_e32 v29, 0x3020100, v29
	v_perm_b32 v27, v28, v27, v29
	v_ashrrev_i32_e32 v28, 4, v84
	v_and_b32_e32 v29, 0x7070707, v28
	v_lshrrev_b32_e32 v28, 1, v28
	v_and_b32_e32 v28, 0x4040404, v28
	v_perm_b32 v30, s30, v141, v29
	v_perm_b32 v29, s31, v142, v29
	v_or_b32_e32 v28, 0x3020100, v28
	v_lshrrev_b32_e32 v31, 1, v84
	v_perm_b32 v28, v30, v29, v28
	v_and_b32_e32 v29, 0x7070707, v84
	v_and_b32_e32 v31, 0x4040404, v31
	v_perm_b32 v30, s30, v141, v29
	v_perm_b32 v29, s31, v142, v29
	v_or_b32_e32 v31, 0x3020100, v31
	v_perm_b32 v29, v30, v29, v31
	v_dot4_i32_i8 v29, v29, v19, 0
	v_dot4_i32_i8 v28, v28, v21, v29
	;; [unrolled: 1-line block ×3, first 2 shown]
	v_ashrrev_i32_e32 v28, 4, v83
	v_and_b32_e32 v29, 0x7070707, v28
	v_lshrrev_b32_e32 v28, 1, v28
	v_and_b32_e32 v28, 0x4040404, v28
	v_perm_b32 v30, s30, v141, v29
	v_perm_b32 v29, s31, v142, v29
	v_or_b32_e32 v28, 0x3020100, v28
	v_lshrrev_b32_e32 v31, 1, v83
	v_perm_b32 v28, v30, v29, v28
	v_and_b32_e32 v29, 0x7070707, v83
	v_and_b32_e32 v31, 0x4040404, v31
	v_perm_b32 v30, s30, v141, v29
	v_perm_b32 v29, s31, v142, v29
	v_or_b32_e32 v31, 0x3020100, v31
	v_perm_b32 v29, v30, v29, v31
	v_ashrrev_i32_e32 v30, 4, v82
	v_and_b32_e32 v31, 0x7070707, v30
	v_lshrrev_b32_e32 v30, 1, v30
	v_and_b32_e32 v30, 0x4040404, v30
	v_perm_b32 v32, s30, v141, v31
	v_perm_b32 v31, s31, v142, v31
	v_or_b32_e32 v30, 0x3020100, v30
	v_lshrrev_b32_e32 v33, 1, v82
	v_perm_b32 v30, v32, v31, v30
	v_and_b32_e32 v31, 0x7070707, v82
	v_and_b32_e32 v33, 0x4040404, v33
	v_perm_b32 v32, s30, v141, v31
	v_perm_b32 v31, s31, v142, v31
	v_or_b32_e32 v33, 0x3020100, v33
	v_perm_b32 v31, v32, v31, v33
	v_dot4_i32_i8 v31, v31, v23, 0
	v_dot4_i32_i8 v30, v30, v25, v31
	;; [unrolled: 1-line block ×3, first 2 shown]
	v_cvt_f32_f16_e32 v22, v22
	v_dot4_i32_i8 v28, v28, v18, v29
	v_cvt_f32_i32_e32 v28, v28
	v_dot4_i32_i8 v26, v26, v153, v27
	v_cvt_f32_i32_e32 v26, v26
	v_mul_f32_e32 v27, v156, v22
	v_fma_f32 v27, v27, v28, 0
	v_mul_f32_e32 v28, v157, v22
	v_fmac_f32_e32 v27, v28, v26
	v_ashrrev_i32_e32 v26, 4, v81
	v_add_f32_e32 v130, v130, v27
	v_and_b32_e32 v27, 0x7070707, v26
	v_lshrrev_b32_e32 v26, 1, v26
	v_and_b32_e32 v26, 0x4040404, v26
	v_perm_b32 v28, s30, v141, v27
	v_perm_b32 v27, s31, v142, v27
	v_or_b32_e32 v26, 0x3020100, v26
	v_lshrrev_b32_e32 v29, 1, v81
	v_perm_b32 v26, v28, v27, v26
	v_and_b32_e32 v27, 0x7070707, v81
	v_and_b32_e32 v29, 0x4040404, v29
	v_perm_b32 v28, s30, v141, v27
	v_perm_b32 v27, s31, v142, v27
	v_or_b32_e32 v29, 0x3020100, v29
	v_perm_b32 v27, v28, v27, v29
	v_ashrrev_i32_e32 v28, 4, v80
	v_and_b32_e32 v29, 0x7070707, v28
	v_lshrrev_b32_e32 v28, 1, v28
	v_and_b32_e32 v28, 0x4040404, v28
	v_perm_b32 v30, s30, v141, v29
	v_perm_b32 v29, s31, v142, v29
	v_or_b32_e32 v28, 0x3020100, v28
	v_lshrrev_b32_e32 v31, 1, v80
	v_perm_b32 v28, v30, v29, v28
	v_and_b32_e32 v29, 0x7070707, v80
	v_and_b32_e32 v31, 0x4040404, v31
	v_perm_b32 v30, s30, v141, v29
	v_perm_b32 v29, s31, v142, v29
	v_or_b32_e32 v31, 0x3020100, v31
	v_perm_b32 v29, v30, v29, v31
	v_dot4_i32_i8 v19, v29, v19, 0
	v_dot4_i32_i8 v19, v28, v21, v19
	;; [unrolled: 1-line block ×3, first 2 shown]
	v_ashrrev_i32_e32 v20, 4, v79
	v_and_b32_e32 v21, 0x7070707, v20
	v_lshrrev_b32_e32 v20, 1, v20
	v_and_b32_e32 v20, 0x4040404, v20
	v_perm_b32 v27, s30, v141, v21
	v_perm_b32 v21, s31, v142, v21
	v_or_b32_e32 v20, 0x3020100, v20
	v_lshrrev_b32_e32 v28, 1, v79
	v_perm_b32 v20, v27, v21, v20
	v_and_b32_e32 v21, 0x7070707, v79
	v_and_b32_e32 v28, 0x4040404, v28
	v_perm_b32 v27, s30, v141, v21
	v_perm_b32 v21, s31, v142, v21
	v_or_b32_e32 v28, 0x3020100, v28
	v_perm_b32 v21, v27, v21, v28
	v_ashrrev_i32_e32 v27, 4, v78
	v_and_b32_e32 v28, 0x7070707, v27
	v_lshrrev_b32_e32 v27, 1, v27
	v_and_b32_e32 v27, 0x4040404, v27
	v_perm_b32 v29, s30, v141, v28
	v_perm_b32 v28, s31, v142, v28
	v_or_b32_e32 v27, 0x3020100, v27
	v_lshrrev_b32_e32 v30, 1, v78
	v_perm_b32 v27, v29, v28, v27
	v_and_b32_e32 v28, 0x7070707, v78
	v_and_b32_e32 v30, 0x4040404, v30
	v_perm_b32 v29, s30, v141, v28
	v_perm_b32 v28, s31, v142, v28
	v_or_b32_e32 v30, 0x3020100, v30
	v_perm_b32 v28, v29, v28, v30
	v_dot4_i32_i8 v23, v28, v23, 0
	v_dot4_i32_i8 v23, v27, v25, v23
	;; [unrolled: 1-line block ×4, first 2 shown]
	v_cvt_f32_i32_e32 v18, v18
	v_dot4_i32_i8 v19, v26, v153, v19
	v_cvt_f32_i32_e32 v19, v19
	v_mul_f32_e32 v20, v154, v22
	v_fma_f32 v18, v20, v18, 0
	v_mul_f32_e32 v20, v155, v22
	v_fmac_f32_e32 v18, v20, v19
	v_add_f32_e32 v131, v131, v18
	v_ashrrev_i32_e32 v18, 4, v77
	v_and_b32_e32 v19, 0x7070707, v18
	v_lshrrev_b32_e32 v18, 1, v18
	v_and_b32_e32 v18, 0x4040404, v18
	v_perm_b32 v20, s30, v141, v19
	v_perm_b32 v19, s31, v142, v19
	v_or_b32_e32 v18, 0x3020100, v18
	v_lshrrev_b32_e32 v21, 1, v77
	v_perm_b32 v18, v20, v19, v18
	v_and_b32_e32 v19, 0x7070707, v77
	v_and_b32_e32 v21, 0x4040404, v21
	v_perm_b32 v20, s30, v141, v19
	v_perm_b32 v19, s31, v142, v19
	v_or_b32_e32 v21, 0x3020100, v21
	v_perm_b32 v19, v20, v19, v21
	v_ashrrev_i32_e32 v20, 4, v76
	v_and_b32_e32 v21, 0x7070707, v20
	v_lshrrev_b32_e32 v20, 1, v20
	v_and_b32_e32 v20, 0x4040404, v20
	v_perm_b32 v22, s30, v141, v21
	v_perm_b32 v21, s31, v142, v21
	v_or_b32_e32 v20, 0x3020100, v20
	v_lshrrev_b32_e32 v23, 1, v76
	v_perm_b32 v20, v22, v21, v20
	v_and_b32_e32 v21, 0x7070707, v76
	v_and_b32_e32 v23, 0x4040404, v23
	v_perm_b32 v22, s30, v141, v21
	v_perm_b32 v21, s31, v142, v21
	v_or_b32_e32 v23, 0x3020100, v23
	v_perm_b32 v21, v22, v21, v23
	v_dot4_i32_i8 v21, v21, v11, 0
	v_dot4_i32_i8 v20, v20, v13, v21
	;; [unrolled: 1-line block ×3, first 2 shown]
	v_ashrrev_i32_e32 v20, 4, v75
	v_and_b32_e32 v21, 0x7070707, v20
	v_lshrrev_b32_e32 v20, 1, v20
	v_and_b32_e32 v20, 0x4040404, v20
	v_perm_b32 v22, s30, v141, v21
	v_perm_b32 v21, s31, v142, v21
	v_or_b32_e32 v20, 0x3020100, v20
	v_lshrrev_b32_e32 v23, 1, v75
	v_perm_b32 v20, v22, v21, v20
	v_and_b32_e32 v21, 0x7070707, v75
	v_and_b32_e32 v23, 0x4040404, v23
	v_perm_b32 v22, s30, v141, v21
	v_perm_b32 v21, s31, v142, v21
	v_or_b32_e32 v23, 0x3020100, v23
	v_perm_b32 v21, v22, v21, v23
	v_ashrrev_i32_e32 v22, 4, v74
	v_and_b32_e32 v23, 0x7070707, v22
	v_lshrrev_b32_e32 v22, 1, v22
	v_and_b32_e32 v22, 0x4040404, v22
	v_perm_b32 v24, s30, v141, v23
	v_perm_b32 v23, s31, v142, v23
	v_or_b32_e32 v22, 0x3020100, v22
	v_lshrrev_b32_e32 v25, 1, v74
	v_perm_b32 v22, v24, v23, v22
	v_and_b32_e32 v23, 0x7070707, v74
	v_and_b32_e32 v25, 0x4040404, v25
	v_perm_b32 v24, s30, v141, v23
	v_perm_b32 v23, s31, v142, v23
	v_or_b32_e32 v25, 0x3020100, v25
	v_perm_b32 v23, v24, v23, v25
	v_dot4_i32_i8 v23, v23, v15, 0
	v_dot4_i32_i8 v22, v22, v17, v23
	;; [unrolled: 1-line block ×3, first 2 shown]
	v_cvt_f32_f16_e32 v14, v14
	v_dot4_i32_i8 v20, v20, v10, v21
	v_cvt_f32_i32_e32 v20, v20
	v_dot4_i32_i8 v18, v18, v148, v19
	v_cvt_f32_i32_e32 v18, v18
	v_mul_f32_e32 v19, v151, v14
	v_fma_f32 v19, v19, v20, 0
	v_mul_f32_e32 v20, v152, v14
	v_fmac_f32_e32 v19, v20, v18
	v_ashrrev_i32_e32 v18, 4, v73
	v_add_f32_e32 v132, v132, v19
	v_and_b32_e32 v19, 0x7070707, v18
	v_lshrrev_b32_e32 v18, 1, v18
	v_and_b32_e32 v18, 0x4040404, v18
	v_perm_b32 v20, s30, v141, v19
	v_perm_b32 v19, s31, v142, v19
	v_or_b32_e32 v18, 0x3020100, v18
	v_lshrrev_b32_e32 v21, 1, v73
	v_perm_b32 v18, v20, v19, v18
	v_and_b32_e32 v19, 0x7070707, v73
	v_and_b32_e32 v21, 0x4040404, v21
	v_perm_b32 v20, s30, v141, v19
	v_perm_b32 v19, s31, v142, v19
	v_or_b32_e32 v21, 0x3020100, v21
	v_perm_b32 v19, v20, v19, v21
	v_ashrrev_i32_e32 v20, 4, v72
	v_and_b32_e32 v21, 0x7070707, v20
	v_lshrrev_b32_e32 v20, 1, v20
	v_and_b32_e32 v20, 0x4040404, v20
	v_perm_b32 v22, s30, v141, v21
	v_perm_b32 v21, s31, v142, v21
	v_or_b32_e32 v20, 0x3020100, v20
	v_lshrrev_b32_e32 v23, 1, v72
	v_perm_b32 v20, v22, v21, v20
	v_and_b32_e32 v21, 0x7070707, v72
	v_and_b32_e32 v23, 0x4040404, v23
	v_perm_b32 v22, s30, v141, v21
	v_perm_b32 v21, s31, v142, v21
	v_or_b32_e32 v23, 0x3020100, v23
	v_perm_b32 v21, v22, v21, v23
	v_dot4_i32_i8 v11, v21, v11, 0
	v_dot4_i32_i8 v11, v20, v13, v11
	;; [unrolled: 1-line block ×3, first 2 shown]
	v_ashrrev_i32_e32 v12, 4, v71
	v_and_b32_e32 v13, 0x7070707, v12
	v_lshrrev_b32_e32 v12, 1, v12
	v_and_b32_e32 v12, 0x4040404, v12
	v_perm_b32 v19, s30, v141, v13
	v_perm_b32 v13, s31, v142, v13
	v_or_b32_e32 v12, 0x3020100, v12
	v_lshrrev_b32_e32 v20, 1, v71
	v_perm_b32 v12, v19, v13, v12
	v_and_b32_e32 v13, 0x7070707, v71
	v_and_b32_e32 v20, 0x4040404, v20
	v_perm_b32 v19, s30, v141, v13
	v_perm_b32 v13, s31, v142, v13
	v_or_b32_e32 v20, 0x3020100, v20
	v_perm_b32 v13, v19, v13, v20
	v_ashrrev_i32_e32 v19, 4, v70
	v_and_b32_e32 v20, 0x7070707, v19
	v_lshrrev_b32_e32 v19, 1, v19
	v_and_b32_e32 v19, 0x4040404, v19
	v_perm_b32 v21, s30, v141, v20
	v_perm_b32 v20, s31, v142, v20
	v_or_b32_e32 v19, 0x3020100, v19
	v_lshrrev_b32_e32 v22, 1, v70
	v_perm_b32 v19, v21, v20, v19
	v_and_b32_e32 v20, 0x7070707, v70
	v_and_b32_e32 v22, 0x4040404, v22
	v_perm_b32 v21, s30, v141, v20
	v_perm_b32 v20, s31, v142, v20
	v_or_b32_e32 v22, 0x3020100, v22
	v_perm_b32 v20, v21, v20, v22
	v_dot4_i32_i8 v15, v20, v15, 0
	v_dot4_i32_i8 v15, v19, v17, v15
	;; [unrolled: 1-line block ×4, first 2 shown]
	v_cvt_f32_i32_e32 v10, v10
	v_dot4_i32_i8 v11, v18, v148, v11
	v_cvt_f32_i32_e32 v11, v11
	v_mul_f32_e32 v12, v149, v14
	v_fma_f32 v10, v12, v10, 0
	v_mul_f32_e32 v12, v150, v14
	v_fmac_f32_e32 v10, v12, v11
	v_add_f32_e32 v133, v133, v10
	v_ashrrev_i32_e32 v10, 4, v69
	v_and_b32_e32 v11, 0x7070707, v10
	v_lshrrev_b32_e32 v10, 1, v10
	v_and_b32_e32 v10, 0x4040404, v10
	v_perm_b32 v12, s30, v141, v11
	v_perm_b32 v11, s31, v142, v11
	v_or_b32_e32 v10, 0x3020100, v10
	v_lshrrev_b32_e32 v13, 1, v69
	v_perm_b32 v10, v12, v11, v10
	v_and_b32_e32 v11, 0x7070707, v69
	v_and_b32_e32 v13, 0x4040404, v13
	v_perm_b32 v12, s30, v141, v11
	v_perm_b32 v11, s31, v142, v11
	v_or_b32_e32 v13, 0x3020100, v13
	v_perm_b32 v11, v12, v11, v13
	v_ashrrev_i32_e32 v12, 4, v68
	v_and_b32_e32 v13, 0x7070707, v12
	v_lshrrev_b32_e32 v12, 1, v12
	v_and_b32_e32 v12, 0x4040404, v12
	v_perm_b32 v14, s30, v141, v13
	v_perm_b32 v13, s31, v142, v13
	v_or_b32_e32 v12, 0x3020100, v12
	v_lshrrev_b32_e32 v15, 1, v68
	v_perm_b32 v12, v14, v13, v12
	v_and_b32_e32 v13, 0x7070707, v68
	v_and_b32_e32 v15, 0x4040404, v15
	v_perm_b32 v14, s30, v141, v13
	v_perm_b32 v13, s31, v142, v13
	v_or_b32_e32 v15, 0x3020100, v15
	v_perm_b32 v13, v14, v13, v15
	v_dot4_i32_i8 v13, v13, v3, 0
	v_dot4_i32_i8 v12, v12, v5, v13
	;; [unrolled: 1-line block ×3, first 2 shown]
	v_ashrrev_i32_e32 v12, 4, v67
	v_and_b32_e32 v13, 0x7070707, v12
	v_lshrrev_b32_e32 v12, 1, v12
	v_and_b32_e32 v12, 0x4040404, v12
	v_perm_b32 v14, s30, v141, v13
	v_perm_b32 v13, s31, v142, v13
	v_or_b32_e32 v12, 0x3020100, v12
	v_lshrrev_b32_e32 v15, 1, v67
	v_perm_b32 v12, v14, v13, v12
	v_and_b32_e32 v13, 0x7070707, v67
	v_and_b32_e32 v15, 0x4040404, v15
	v_perm_b32 v14, s30, v141, v13
	v_perm_b32 v13, s31, v142, v13
	v_or_b32_e32 v15, 0x3020100, v15
	v_perm_b32 v13, v14, v13, v15
	v_ashrrev_i32_e32 v14, 4, v66
	v_and_b32_e32 v15, 0x7070707, v14
	v_lshrrev_b32_e32 v14, 1, v14
	v_and_b32_e32 v14, 0x4040404, v14
	v_perm_b32 v16, s30, v141, v15
	v_perm_b32 v15, s31, v142, v15
	v_or_b32_e32 v14, 0x3020100, v14
	v_lshrrev_b32_e32 v17, 1, v66
	v_perm_b32 v14, v16, v15, v14
	v_and_b32_e32 v15, 0x7070707, v66
	v_and_b32_e32 v17, 0x4040404, v17
	v_perm_b32 v16, s30, v141, v15
	v_perm_b32 v15, s31, v142, v15
	v_or_b32_e32 v17, 0x3020100, v17
	v_perm_b32 v15, v16, v15, v17
	v_dot4_i32_i8 v15, v15, v7, 0
	v_dot4_i32_i8 v14, v14, v9, v15
	;; [unrolled: 1-line block ×3, first 2 shown]
	v_cvt_f32_f16_e32 v6, v6
	v_dot4_i32_i8 v12, v12, v2, v13
	v_cvt_f32_i32_e32 v12, v12
	v_dot4_i32_i8 v10, v10, v143, v11
	v_cvt_f32_i32_e32 v10, v10
	v_mul_f32_e32 v11, v146, v6
	v_fma_f32 v11, v11, v12, 0
	v_mul_f32_e32 v12, v147, v6
	v_fmac_f32_e32 v11, v12, v10
	v_ashrrev_i32_e32 v10, 4, v65
	v_add_f32_e32 v135, v135, v11
	v_and_b32_e32 v11, 0x7070707, v10
	v_lshrrev_b32_e32 v10, 1, v10
	v_and_b32_e32 v10, 0x4040404, v10
	v_perm_b32 v12, s30, v141, v11
	v_perm_b32 v11, s31, v142, v11
	v_or_b32_e32 v10, 0x3020100, v10
	v_lshrrev_b32_e32 v13, 1, v65
	v_perm_b32 v10, v12, v11, v10
	v_and_b32_e32 v11, 0x7070707, v65
	v_and_b32_e32 v13, 0x4040404, v13
	v_perm_b32 v12, s30, v141, v11
	v_perm_b32 v11, s31, v142, v11
	v_or_b32_e32 v13, 0x3020100, v13
	v_perm_b32 v11, v12, v11, v13
	v_ashrrev_i32_e32 v12, 4, v64
	v_and_b32_e32 v13, 0x7070707, v12
	v_lshrrev_b32_e32 v12, 1, v12
	v_and_b32_e32 v12, 0x4040404, v12
	v_perm_b32 v14, s30, v141, v13
	v_perm_b32 v13, s31, v142, v13
	v_or_b32_e32 v12, 0x3020100, v12
	v_lshrrev_b32_e32 v15, 1, v64
	v_perm_b32 v12, v14, v13, v12
	v_and_b32_e32 v13, 0x7070707, v64
	v_and_b32_e32 v15, 0x4040404, v15
	v_perm_b32 v14, s30, v141, v13
	v_perm_b32 v13, s31, v142, v13
	v_or_b32_e32 v15, 0x3020100, v15
	v_perm_b32 v13, v14, v13, v15
	v_dot4_i32_i8 v3, v13, v3, 0
	v_dot4_i32_i8 v3, v12, v5, v3
	;; [unrolled: 1-line block ×3, first 2 shown]
	v_ashrrev_i32_e32 v4, 4, v63
	v_and_b32_e32 v5, 0x7070707, v4
	v_lshrrev_b32_e32 v4, 1, v4
	v_and_b32_e32 v4, 0x4040404, v4
	v_perm_b32 v11, s30, v141, v5
	v_perm_b32 v5, s31, v142, v5
	v_or_b32_e32 v4, 0x3020100, v4
	v_lshrrev_b32_e32 v12, 1, v63
	v_perm_b32 v4, v11, v5, v4
	v_and_b32_e32 v5, 0x7070707, v63
	v_and_b32_e32 v12, 0x4040404, v12
	v_perm_b32 v11, s30, v141, v5
	v_perm_b32 v5, s31, v142, v5
	v_or_b32_e32 v12, 0x3020100, v12
	v_perm_b32 v5, v11, v5, v12
	v_ashrrev_i32_e32 v11, 4, v62
	v_and_b32_e32 v12, 0x7070707, v11
	v_lshrrev_b32_e32 v11, 1, v11
	v_and_b32_e32 v11, 0x4040404, v11
	v_perm_b32 v13, s30, v141, v12
	v_perm_b32 v12, s31, v142, v12
	v_or_b32_e32 v11, 0x3020100, v11
	v_lshrrev_b32_e32 v14, 1, v62
	v_perm_b32 v11, v13, v12, v11
	v_and_b32_e32 v12, 0x7070707, v62
	v_and_b32_e32 v14, 0x4040404, v14
	v_perm_b32 v13, s30, v141, v12
	v_perm_b32 v12, s31, v142, v12
	v_or_b32_e32 v14, 0x3020100, v14
	v_perm_b32 v12, v13, v12, v14
	v_dot4_i32_i8 v7, v12, v7, 0
	v_dot4_i32_i8 v7, v11, v9, v7
	;; [unrolled: 1-line block ×4, first 2 shown]
	v_cvt_f32_i32_e32 v2, v2
	v_dot4_i32_i8 v3, v10, v143, v3
	v_cvt_f32_i32_e32 v3, v3
	v_mul_f32_e32 v4, v144, v6
	v_fma_f32 v2, v4, v2, 0
	v_mul_f32_e32 v4, v145, v6
	v_fmac_f32_e32 v2, v4, v3
	v_add_f32_e32 v136, v136, v2
	s_waitcnt vmcnt(0)
	v_ashrrev_i32_e32 v2, 4, v89
	v_and_b32_e32 v3, 0x7070707, v2
	v_lshrrev_b32_e32 v2, 1, v2
	v_and_b32_e32 v2, 0x4040404, v2
	v_perm_b32 v4, s30, v141, v3
	v_perm_b32 v3, s31, v142, v3
	v_or_b32_e32 v2, 0x3020100, v2
	v_lshrrev_b32_e32 v5, 1, v89
	v_perm_b32 v2, v4, v3, v2
	v_and_b32_e32 v3, 0x7070707, v89
	v_and_b32_e32 v5, 0x4040404, v5
	v_perm_b32 v4, s30, v141, v3
	v_perm_b32 v3, s31, v142, v3
	v_or_b32_e32 v5, 0x3020100, v5
	v_perm_b32 v3, v4, v3, v5
	v_ashrrev_i32_e32 v4, 4, v88
	v_and_b32_e32 v5, 0x7070707, v4
	v_lshrrev_b32_e32 v4, 1, v4
	v_and_b32_e32 v4, 0x4040404, v4
	v_perm_b32 v6, s30, v141, v5
	v_perm_b32 v5, s31, v142, v5
	v_or_b32_e32 v4, 0x3020100, v4
	v_lshrrev_b32_e32 v7, 1, v88
	v_perm_b32 v4, v6, v5, v4
	v_and_b32_e32 v5, 0x7070707, v88
	v_and_b32_e32 v7, 0x4040404, v7
	v_perm_b32 v6, s30, v141, v5
	v_perm_b32 v5, s31, v142, v5
	v_or_b32_e32 v7, 0x3020100, v7
	v_perm_b32 v5, v6, v5, v7
	v_dot4_i32_i8 v5, v5, v35, 0
	v_dot4_i32_i8 v4, v4, v37, v5
	;; [unrolled: 1-line block ×3, first 2 shown]
	v_ashrrev_i32_e32 v4, 4, v87
	v_and_b32_e32 v5, 0x7070707, v4
	v_lshrrev_b32_e32 v4, 1, v4
	v_and_b32_e32 v4, 0x4040404, v4
	v_perm_b32 v6, s30, v141, v5
	v_perm_b32 v5, s31, v142, v5
	v_or_b32_e32 v4, 0x3020100, v4
	v_lshrrev_b32_e32 v7, 1, v87
	v_perm_b32 v4, v6, v5, v4
	v_and_b32_e32 v5, 0x7070707, v87
	v_and_b32_e32 v7, 0x4040404, v7
	v_perm_b32 v6, s30, v141, v5
	v_perm_b32 v5, s31, v142, v5
	v_or_b32_e32 v7, 0x3020100, v7
	v_perm_b32 v5, v6, v5, v7
	v_ashrrev_i32_e32 v6, 4, v86
	v_and_b32_e32 v7, 0x7070707, v6
	v_lshrrev_b32_e32 v6, 1, v6
	v_and_b32_e32 v6, 0x4040404, v6
	v_perm_b32 v8, s30, v141, v7
	v_perm_b32 v7, s31, v142, v7
	v_or_b32_e32 v6, 0x3020100, v6
	v_lshrrev_b32_e32 v9, 1, v86
	v_perm_b32 v6, v8, v7, v6
	v_and_b32_e32 v7, 0x7070707, v86
	v_and_b32_e32 v9, 0x4040404, v9
	v_perm_b32 v8, s30, v141, v7
	v_perm_b32 v7, s31, v142, v7
	v_or_b32_e32 v9, 0x3020100, v9
	v_perm_b32 v7, v8, v7, v9
	v_dot4_i32_i8 v7, v7, v39, 0
	v_dot4_i32_i8 v6, v6, v41, v7
	;; [unrolled: 1-line block ×4, first 2 shown]
	v_cvt_f32_i32_e32 v4, v4
	v_dot4_i32_i8 v2, v2, v161, v3
	v_cvt_f32_i32_e32 v2, v2
	v_mul_f32_e32 v3, v94, v38
	v_fma_f32 v3, v3, v4, 0
	v_mul_f32_e32 v4, v95, v38
	v_add_u32_e32 v134, 32, v134
	v_fmac_f32_e32 v3, v4, v2
	s_add_i32 s15, s15, 64
	s_add_i32 s13, s13, 64
	v_add_co_u32_e32 v60, vcc, 0x900, v60
	s_add_i32 s19, s19, 64
	s_add_i32 s24, s24, 64
	;; [unrolled: 1-line block ×4, first 2 shown]
	v_cmp_le_u32_e64 s[0:1], s9, v134
	v_add_f32_e32 v122, v122, v3
	s_or_b64 s[16:17], s[0:1], s[16:17]
	v_addc_co_u32_e32 v61, vcc, 0, v61, vcc
	s_andn2_b64 exec, exec, s[16:17]
	s_cbranch_execz .LBB94_171
.LBB94_3:                               ; =>This Inner Loop Header: Depth=1
	v_add_u32_e32 v2, s3, v134
	v_mad_i64_i32 v[10:11], s[0:1], v2, 36, s[20:21]
	v_lshlrev_b32_e32 v12, 2, v137
	global_load_dword v143, v[60:61], off offset:32
	v_add_co_u32_e32 v86, vcc, v10, v12
	v_addc_co_u32_e32 v87, vcc, 0, v11, vcc
	v_add_co_u32_e32 v34, vcc, v10, v138
	v_addc_co_u32_e32 v35, vcc, 0, v11, vcc
	global_load_dwordx2 v[62:63], v[86:87], off offset:4
	global_load_ubyte v13, v[34:35], off
	global_load_dwordx4 v[2:5], v[60:61], off offset:16
	global_load_dwordx4 v[6:9], v[60:61], off
	s_mov_b64 s[0:1], 0
	s_waitcnt vmcnt(2)
	v_cmp_lt_i16_e32 vcc, s27, v13
	s_and_saveexec_b64 s[22:23], vcc
	s_xor_b64 s[22:23], exec, s[22:23]
	s_cbranch_execnz .LBB94_114
; %bb.4:                                ;   in Loop: Header=BB94_3 Depth=1
	s_andn2_saveexec_b64 s[22:23], s[22:23]
	s_cbranch_execnz .LBB94_115
.LBB94_5:                               ;   in Loop: Header=BB94_3 Depth=1
	s_or_b64 exec, exec, s[22:23]
	v_mov_b32_e32 v144, 0
	s_and_saveexec_b64 s[22:23], s[0:1]
	s_cbranch_execz .LBB94_7
.LBB94_6:                               ;   in Loop: Header=BB94_3 Depth=1
	v_and_b32_e32 v13, 0xffff, v13
	v_bfe_u32 v14, v13, 3, 4
	v_and_b32_e32 v13, 7, v13
	v_cvt_f32_ubyte0_e32 v13, v13
	v_fma_f32 v15, v13, s29, 1.0
	v_add_u32_e32 v16, -7, v14
	v_cmp_eq_u32_e32 vcc, 0, v14
	v_cndmask_b32_e32 v13, v15, v13, vcc
	v_cndmask_b32_e64 v14, v16, -9, vcc
	v_ldexp_f32 v13, v13, v14
	v_mul_f32_e32 v144, 0.5, v13
.LBB94_7:                               ;   in Loop: Header=BB94_3 Depth=1
	s_or_b64 exec, exec, s[22:23]
	v_add_co_u32_e32 v92, vcc, v10, v139
	v_addc_co_u32_e32 v93, vcc, 0, v11, vcc
	global_load_ubyte v10, v[92:93], off
	global_load_dwordx2 v[64:65], v[86:87], off offset:12
	s_mov_b64 s[0:1], 0
	s_waitcnt vmcnt(1)
	v_cmp_lt_i16_e32 vcc, s27, v10
	s_and_saveexec_b64 s[22:23], vcc
	s_xor_b64 s[22:23], exec, s[22:23]
	s_cbranch_execnz .LBB94_116
; %bb.8:                                ;   in Loop: Header=BB94_3 Depth=1
	s_andn2_saveexec_b64 s[22:23], s[22:23]
	s_cbranch_execnz .LBB94_117
.LBB94_9:                               ;   in Loop: Header=BB94_3 Depth=1
	s_or_b64 exec, exec, s[22:23]
	v_mov_b32_e32 v145, 0
	s_and_saveexec_b64 s[22:23], s[0:1]
	s_cbranch_execz .LBB94_11
.LBB94_10:                              ;   in Loop: Header=BB94_3 Depth=1
	v_and_b32_e32 v10, 0xffff, v10
	v_bfe_u32 v11, v10, 3, 4
	v_and_b32_e32 v10, 7, v10
	v_cvt_f32_ubyte0_e32 v10, v10
	v_fma_f32 v13, v10, s29, 1.0
	v_add_u32_e32 v14, -7, v11
	v_cmp_eq_u32_e32 vcc, 0, v11
	v_cndmask_b32_e32 v10, v13, v10, vcc
	v_cndmask_b32_e64 v11, v14, -9, vcc
	v_ldexp_f32 v10, v10, v11
	v_mul_f32_e32 v145, 0.5, v10
.LBB94_11:                              ;   in Loop: Header=BB94_3 Depth=1
	s_or_b64 exec, exec, s[22:23]
	v_add_u32_e32 v10, s12, v134
	v_mad_i64_i32 v[10:11], s[0:1], v10, 36, s[20:21]
	s_mov_b64 s[0:1], 0
	v_add_co_u32_e32 v94, vcc, v10, v138
	v_addc_co_u32_e32 v95, vcc, 0, v11, vcc
	v_add_co_u32_e32 v88, vcc, v10, v12
	global_load_ubyte v13, v[94:95], off
	v_addc_co_u32_e32 v89, vcc, 0, v11, vcc
	global_load_dwordx2 v[66:67], v[88:89], off offset:4
	s_waitcnt vmcnt(1)
	v_cmp_lt_i16_e32 vcc, s27, v13
	s_and_saveexec_b64 s[22:23], vcc
	s_xor_b64 s[22:23], exec, s[22:23]
	s_cbranch_execnz .LBB94_118
; %bb.12:                               ;   in Loop: Header=BB94_3 Depth=1
	s_andn2_saveexec_b64 s[22:23], s[22:23]
	s_cbranch_execnz .LBB94_119
.LBB94_13:                              ;   in Loop: Header=BB94_3 Depth=1
	s_or_b64 exec, exec, s[22:23]
	v_mov_b32_e32 v146, 0
	s_and_saveexec_b64 s[22:23], s[0:1]
	s_cbranch_execz .LBB94_15
.LBB94_14:                              ;   in Loop: Header=BB94_3 Depth=1
	v_and_b32_e32 v12, 0xffff, v13
	v_bfe_u32 v13, v12, 3, 4
	v_and_b32_e32 v12, 7, v12
	v_cvt_f32_ubyte0_e32 v12, v12
	v_fma_f32 v14, v12, s29, 1.0
	v_add_u32_e32 v15, -7, v13
	v_cmp_eq_u32_e32 vcc, 0, v13
	v_cndmask_b32_e32 v12, v14, v12, vcc
	v_cndmask_b32_e64 v13, v15, -9, vcc
	v_ldexp_f32 v12, v12, v13
	v_mul_f32_e32 v146, 0.5, v12
.LBB94_15:                              ;   in Loop: Header=BB94_3 Depth=1
	s_or_b64 exec, exec, s[22:23]
	v_add_co_u32_e32 v96, vcc, v10, v139
	v_addc_co_u32_e32 v97, vcc, 0, v11, vcc
	global_load_ubyte v10, v[96:97], off
	global_load_dwordx2 v[68:69], v[88:89], off offset:12
	s_mov_b64 s[0:1], 0
	s_waitcnt vmcnt(1)
	v_cmp_lt_i16_e32 vcc, s27, v10
	s_and_saveexec_b64 s[22:23], vcc
	s_xor_b64 s[22:23], exec, s[22:23]
	s_cbranch_execnz .LBB94_120
; %bb.16:                               ;   in Loop: Header=BB94_3 Depth=1
	s_andn2_saveexec_b64 s[22:23], s[22:23]
	s_cbranch_execnz .LBB94_121
.LBB94_17:                              ;   in Loop: Header=BB94_3 Depth=1
	s_or_b64 exec, exec, s[22:23]
	v_mov_b32_e32 v147, 0
	s_and_saveexec_b64 s[22:23], s[0:1]
	s_cbranch_execz .LBB94_19
.LBB94_18:                              ;   in Loop: Header=BB94_3 Depth=1
	v_and_b32_e32 v10, 0xffff, v10
	v_bfe_u32 v11, v10, 3, 4
	v_and_b32_e32 v10, 7, v10
	v_cvt_f32_ubyte0_e32 v10, v10
	v_fma_f32 v12, v10, s29, 1.0
	v_add_u32_e32 v13, -7, v11
	v_cmp_eq_u32_e32 vcc, 0, v11
	v_cndmask_b32_e32 v10, v12, v10, vcc
	v_cndmask_b32_e64 v11, v13, -9, vcc
	v_ldexp_f32 v10, v10, v11
	v_mul_f32_e32 v147, 0.5, v10
.LBB94_19:                              ;   in Loop: Header=BB94_3 Depth=1
	s_or_b64 exec, exec, s[22:23]
	v_add_u32_e32 v10, s13, v140
	v_mad_u64_u32 v[19:20], s[0:1], v10, 36, v[58:59]
	global_load_dwordx2 v[70:71], v[86:87], off offset:4
	global_load_ubyte v18, v[34:35], off
	global_load_dword v148, v[19:20], off offset:32
	global_load_dwordx4 v[10:13], v[19:20], off offset:16
	global_load_dwordx4 v[14:17], v[19:20], off
	s_mov_b64 s[0:1], 0
	s_waitcnt vmcnt(3)
	v_cmp_lt_i16_e32 vcc, s27, v18
	s_and_saveexec_b64 s[22:23], vcc
	s_xor_b64 s[22:23], exec, s[22:23]
	s_cbranch_execnz .LBB94_122
; %bb.20:                               ;   in Loop: Header=BB94_3 Depth=1
	s_andn2_saveexec_b64 s[22:23], s[22:23]
	s_cbranch_execnz .LBB94_123
.LBB94_21:                              ;   in Loop: Header=BB94_3 Depth=1
	s_or_b64 exec, exec, s[22:23]
	v_mov_b32_e32 v149, 0
	s_and_saveexec_b64 s[22:23], s[0:1]
	s_cbranch_execz .LBB94_23
.LBB94_22:                              ;   in Loop: Header=BB94_3 Depth=1
	v_and_b32_e32 v18, 0xffff, v18
	v_bfe_u32 v19, v18, 3, 4
	v_and_b32_e32 v18, 7, v18
	v_cvt_f32_ubyte0_e32 v18, v18
	v_fma_f32 v20, v18, s29, 1.0
	v_add_u32_e32 v21, -7, v19
	v_cmp_eq_u32_e32 vcc, 0, v19
	v_cndmask_b32_e32 v18, v20, v18, vcc
	v_cndmask_b32_e64 v19, v21, -9, vcc
	v_ldexp_f32 v18, v18, v19
	v_mul_f32_e32 v149, 0.5, v18
.LBB94_23:                              ;   in Loop: Header=BB94_3 Depth=1
	s_or_b64 exec, exec, s[22:23]
	global_load_ubyte v18, v[92:93], off
	global_load_dwordx2 v[72:73], v[86:87], off offset:12
	s_mov_b64 s[0:1], 0
	s_waitcnt vmcnt(1)
	v_cmp_lt_i16_e32 vcc, s27, v18
	s_and_saveexec_b64 s[22:23], vcc
	s_xor_b64 s[22:23], exec, s[22:23]
	s_cbranch_execnz .LBB94_124
; %bb.24:                               ;   in Loop: Header=BB94_3 Depth=1
	s_andn2_saveexec_b64 s[22:23], s[22:23]
	s_cbranch_execnz .LBB94_125
.LBB94_25:                              ;   in Loop: Header=BB94_3 Depth=1
	s_or_b64 exec, exec, s[22:23]
	v_mov_b32_e32 v150, 0
	s_and_saveexec_b64 s[22:23], s[0:1]
	s_cbranch_execz .LBB94_27
.LBB94_26:                              ;   in Loop: Header=BB94_3 Depth=1
	v_and_b32_e32 v18, 0xffff, v18
	v_bfe_u32 v19, v18, 3, 4
	v_and_b32_e32 v18, 7, v18
	v_cvt_f32_ubyte0_e32 v18, v18
	v_fma_f32 v20, v18, s29, 1.0
	v_add_u32_e32 v21, -7, v19
	v_cmp_eq_u32_e32 vcc, 0, v19
	v_cndmask_b32_e32 v18, v20, v18, vcc
	v_cndmask_b32_e64 v19, v21, -9, vcc
	v_ldexp_f32 v18, v18, v19
	v_mul_f32_e32 v150, 0.5, v18
.LBB94_27:                              ;   in Loop: Header=BB94_3 Depth=1
	s_or_b64 exec, exec, s[22:23]
	global_load_ubyte v18, v[94:95], off
	global_load_dwordx2 v[74:75], v[88:89], off offset:4
	s_mov_b64 s[0:1], 0
	s_waitcnt vmcnt(1)
	v_cmp_lt_i16_e32 vcc, s27, v18
	s_and_saveexec_b64 s[22:23], vcc
	s_xor_b64 s[22:23], exec, s[22:23]
	s_cbranch_execnz .LBB94_126
; %bb.28:                               ;   in Loop: Header=BB94_3 Depth=1
	s_andn2_saveexec_b64 s[22:23], s[22:23]
	s_cbranch_execnz .LBB94_127
.LBB94_29:                              ;   in Loop: Header=BB94_3 Depth=1
	s_or_b64 exec, exec, s[22:23]
	v_mov_b32_e32 v151, 0
	s_and_saveexec_b64 s[22:23], s[0:1]
	s_cbranch_execz .LBB94_31
.LBB94_30:                              ;   in Loop: Header=BB94_3 Depth=1
	v_and_b32_e32 v18, 0xffff, v18
	v_bfe_u32 v19, v18, 3, 4
	v_and_b32_e32 v18, 7, v18
	v_cvt_f32_ubyte0_e32 v18, v18
	v_fma_f32 v20, v18, s29, 1.0
	v_add_u32_e32 v21, -7, v19
	v_cmp_eq_u32_e32 vcc, 0, v19
	v_cndmask_b32_e32 v18, v20, v18, vcc
	v_cndmask_b32_e64 v19, v21, -9, vcc
	v_ldexp_f32 v18, v18, v19
	v_mul_f32_e32 v151, 0.5, v18
.LBB94_31:                              ;   in Loop: Header=BB94_3 Depth=1
	s_or_b64 exec, exec, s[22:23]
	global_load_ubyte v18, v[96:97], off
	global_load_dwordx2 v[76:77], v[88:89], off offset:12
	s_mov_b64 s[0:1], 0
	s_waitcnt vmcnt(1)
	v_cmp_lt_i16_e32 vcc, s27, v18
	s_and_saveexec_b64 s[22:23], vcc
	s_xor_b64 s[22:23], exec, s[22:23]
	s_cbranch_execnz .LBB94_128
; %bb.32:                               ;   in Loop: Header=BB94_3 Depth=1
	s_andn2_saveexec_b64 s[22:23], s[22:23]
	s_cbranch_execnz .LBB94_129
.LBB94_33:                              ;   in Loop: Header=BB94_3 Depth=1
	s_or_b64 exec, exec, s[22:23]
	v_mov_b32_e32 v152, 0
	s_and_saveexec_b64 s[22:23], s[0:1]
	s_cbranch_execz .LBB94_35
.LBB94_34:                              ;   in Loop: Header=BB94_3 Depth=1
	v_and_b32_e32 v18, 0xffff, v18
	v_bfe_u32 v19, v18, 3, 4
	v_and_b32_e32 v18, 7, v18
	v_cvt_f32_ubyte0_e32 v18, v18
	v_fma_f32 v20, v18, s29, 1.0
	v_add_u32_e32 v21, -7, v19
	v_cmp_eq_u32_e32 vcc, 0, v19
	v_cndmask_b32_e32 v18, v20, v18, vcc
	v_cndmask_b32_e64 v19, v21, -9, vcc
	v_ldexp_f32 v18, v18, v19
	v_mul_f32_e32 v152, 0.5, v18
.LBB94_35:                              ;   in Loop: Header=BB94_3 Depth=1
	s_or_b64 exec, exec, s[22:23]
	v_add_u32_e32 v18, s15, v140
	v_mad_u64_u32 v[27:28], s[0:1], v18, 36, v[58:59]
	global_load_dwordx2 v[78:79], v[86:87], off offset:4
	global_load_ubyte v26, v[34:35], off
	global_load_dword v153, v[27:28], off offset:32
	global_load_dwordx4 v[18:21], v[27:28], off offset:16
	global_load_dwordx4 v[22:25], v[27:28], off
	s_mov_b64 s[0:1], 0
	s_waitcnt vmcnt(3)
	v_cmp_lt_i16_e32 vcc, s27, v26
	s_and_saveexec_b64 s[22:23], vcc
	s_xor_b64 s[22:23], exec, s[22:23]
	s_cbranch_execnz .LBB94_130
; %bb.36:                               ;   in Loop: Header=BB94_3 Depth=1
	s_andn2_saveexec_b64 s[22:23], s[22:23]
	s_cbranch_execnz .LBB94_131
.LBB94_37:                              ;   in Loop: Header=BB94_3 Depth=1
	s_or_b64 exec, exec, s[22:23]
	v_mov_b32_e32 v154, 0
	s_and_saveexec_b64 s[22:23], s[0:1]
	s_cbranch_execz .LBB94_39
.LBB94_38:                              ;   in Loop: Header=BB94_3 Depth=1
	v_and_b32_e32 v26, 0xffff, v26
	v_bfe_u32 v27, v26, 3, 4
	v_and_b32_e32 v26, 7, v26
	v_cvt_f32_ubyte0_e32 v26, v26
	v_fma_f32 v28, v26, s29, 1.0
	v_add_u32_e32 v29, -7, v27
	v_cmp_eq_u32_e32 vcc, 0, v27
	v_cndmask_b32_e32 v26, v28, v26, vcc
	v_cndmask_b32_e64 v27, v29, -9, vcc
	v_ldexp_f32 v26, v26, v27
	v_mul_f32_e32 v154, 0.5, v26
.LBB94_39:                              ;   in Loop: Header=BB94_3 Depth=1
	s_or_b64 exec, exec, s[22:23]
	global_load_ubyte v26, v[92:93], off
	global_load_dwordx2 v[80:81], v[86:87], off offset:12
	s_mov_b64 s[0:1], 0
	s_waitcnt vmcnt(1)
	v_cmp_lt_i16_e32 vcc, s27, v26
	s_and_saveexec_b64 s[22:23], vcc
	s_xor_b64 s[22:23], exec, s[22:23]
	s_cbranch_execnz .LBB94_132
; %bb.40:                               ;   in Loop: Header=BB94_3 Depth=1
	s_andn2_saveexec_b64 s[22:23], s[22:23]
	s_cbranch_execnz .LBB94_133
.LBB94_41:                              ;   in Loop: Header=BB94_3 Depth=1
	s_or_b64 exec, exec, s[22:23]
	v_mov_b32_e32 v155, 0
	s_and_saveexec_b64 s[22:23], s[0:1]
	s_cbranch_execz .LBB94_43
.LBB94_42:                              ;   in Loop: Header=BB94_3 Depth=1
	v_and_b32_e32 v26, 0xffff, v26
	v_bfe_u32 v27, v26, 3, 4
	v_and_b32_e32 v26, 7, v26
	v_cvt_f32_ubyte0_e32 v26, v26
	v_fma_f32 v28, v26, s29, 1.0
	v_add_u32_e32 v29, -7, v27
	v_cmp_eq_u32_e32 vcc, 0, v27
	v_cndmask_b32_e32 v26, v28, v26, vcc
	v_cndmask_b32_e64 v27, v29, -9, vcc
	v_ldexp_f32 v26, v26, v27
	v_mul_f32_e32 v155, 0.5, v26
.LBB94_43:                              ;   in Loop: Header=BB94_3 Depth=1
	s_or_b64 exec, exec, s[22:23]
	global_load_ubyte v26, v[94:95], off
	global_load_dwordx2 v[82:83], v[88:89], off offset:4
	s_mov_b64 s[0:1], 0
	s_waitcnt vmcnt(1)
	v_cmp_lt_i16_e32 vcc, s27, v26
	s_and_saveexec_b64 s[22:23], vcc
	s_xor_b64 s[22:23], exec, s[22:23]
	s_cbranch_execnz .LBB94_134
; %bb.44:                               ;   in Loop: Header=BB94_3 Depth=1
	s_andn2_saveexec_b64 s[22:23], s[22:23]
	s_cbranch_execnz .LBB94_135
.LBB94_45:                              ;   in Loop: Header=BB94_3 Depth=1
	s_or_b64 exec, exec, s[22:23]
	v_mov_b32_e32 v156, 0
	s_and_saveexec_b64 s[22:23], s[0:1]
	s_cbranch_execz .LBB94_47
.LBB94_46:                              ;   in Loop: Header=BB94_3 Depth=1
	v_and_b32_e32 v26, 0xffff, v26
	v_bfe_u32 v27, v26, 3, 4
	v_and_b32_e32 v26, 7, v26
	v_cvt_f32_ubyte0_e32 v26, v26
	v_fma_f32 v28, v26, s29, 1.0
	v_add_u32_e32 v29, -7, v27
	v_cmp_eq_u32_e32 vcc, 0, v27
	v_cndmask_b32_e32 v26, v28, v26, vcc
	v_cndmask_b32_e64 v27, v29, -9, vcc
	v_ldexp_f32 v26, v26, v27
	v_mul_f32_e32 v156, 0.5, v26
.LBB94_47:                              ;   in Loop: Header=BB94_3 Depth=1
	s_or_b64 exec, exec, s[22:23]
	global_load_ubyte v26, v[96:97], off
	global_load_dwordx2 v[84:85], v[88:89], off offset:12
	s_mov_b64 s[0:1], 0
	s_waitcnt vmcnt(1)
	v_cmp_lt_i16_e32 vcc, s27, v26
	s_and_saveexec_b64 s[22:23], vcc
	s_xor_b64 s[22:23], exec, s[22:23]
	s_cbranch_execnz .LBB94_136
; %bb.48:                               ;   in Loop: Header=BB94_3 Depth=1
	s_andn2_saveexec_b64 s[22:23], s[22:23]
	s_cbranch_execnz .LBB94_137
.LBB94_49:                              ;   in Loop: Header=BB94_3 Depth=1
	s_or_b64 exec, exec, s[22:23]
	v_mov_b32_e32 v157, 0
	s_and_saveexec_b64 s[22:23], s[0:1]
	s_cbranch_execz .LBB94_51
.LBB94_50:                              ;   in Loop: Header=BB94_3 Depth=1
	v_and_b32_e32 v26, 0xffff, v26
	v_bfe_u32 v27, v26, 3, 4
	v_and_b32_e32 v26, 7, v26
	v_cvt_f32_ubyte0_e32 v26, v26
	v_fma_f32 v28, v26, s29, 1.0
	v_add_u32_e32 v29, -7, v27
	v_cmp_eq_u32_e32 vcc, 0, v27
	v_cndmask_b32_e32 v26, v28, v26, vcc
	v_cndmask_b32_e64 v27, v29, -9, vcc
	v_ldexp_f32 v26, v26, v27
	v_mul_f32_e32 v157, 0.5, v26
.LBB94_51:                              ;   in Loop: Header=BB94_3 Depth=1
	s_or_b64 exec, exec, s[22:23]
	v_add_u32_e32 v26, s19, v140
	v_mad_u64_u32 v[37:38], s[0:1], v26, 36, v[58:59]
	global_load_dwordx2 v[90:91], v[86:87], off offset:4
	global_load_ubyte v36, v[34:35], off
	global_load_dword v158, v[37:38], off offset:32
	global_load_dwordx4 v[26:29], v[37:38], off offset:16
	global_load_dwordx4 v[30:33], v[37:38], off
	s_mov_b64 s[0:1], 0
	s_waitcnt vmcnt(3)
	v_cmp_lt_i16_e32 vcc, s27, v36
	s_and_saveexec_b64 s[22:23], vcc
	s_xor_b64 s[22:23], exec, s[22:23]
	s_cbranch_execnz .LBB94_138
; %bb.52:                               ;   in Loop: Header=BB94_3 Depth=1
	s_andn2_saveexec_b64 s[22:23], s[22:23]
	s_cbranch_execnz .LBB94_139
.LBB94_53:                              ;   in Loop: Header=BB94_3 Depth=1
	s_or_b64 exec, exec, s[22:23]
	v_mov_b32_e32 v159, 0
	s_and_saveexec_b64 s[22:23], s[0:1]
	s_cbranch_execz .LBB94_55
.LBB94_54:                              ;   in Loop: Header=BB94_3 Depth=1
	v_and_b32_e32 v36, 0xffff, v36
	v_bfe_u32 v37, v36, 3, 4
	v_and_b32_e32 v36, 7, v36
	v_cvt_f32_ubyte0_e32 v36, v36
	v_fma_f32 v38, v36, s29, 1.0
	v_add_u32_e32 v39, -7, v37
	v_cmp_eq_u32_e32 vcc, 0, v37
	v_cndmask_b32_e32 v36, v38, v36, vcc
	v_cndmask_b32_e64 v37, v39, -9, vcc
	v_ldexp_f32 v36, v36, v37
	v_mul_f32_e32 v159, 0.5, v36
.LBB94_55:                              ;   in Loop: Header=BB94_3 Depth=1
	s_or_b64 exec, exec, s[22:23]
	global_load_ubyte v36, v[92:93], off
	global_load_dwordx2 v[98:99], v[86:87], off offset:12
	s_mov_b64 s[0:1], 0
	s_waitcnt vmcnt(1)
	v_cmp_lt_i16_e32 vcc, s27, v36
	s_and_saveexec_b64 s[22:23], vcc
	s_xor_b64 s[22:23], exec, s[22:23]
	s_cbranch_execnz .LBB94_140
; %bb.56:                               ;   in Loop: Header=BB94_3 Depth=1
	s_andn2_saveexec_b64 s[22:23], s[22:23]
	s_cbranch_execnz .LBB94_141
.LBB94_57:                              ;   in Loop: Header=BB94_3 Depth=1
	s_or_b64 exec, exec, s[22:23]
	v_mov_b32_e32 v160, 0
	s_and_saveexec_b64 s[22:23], s[0:1]
	s_cbranch_execz .LBB94_59
.LBB94_58:                              ;   in Loop: Header=BB94_3 Depth=1
	v_and_b32_e32 v36, 0xffff, v36
	v_bfe_u32 v37, v36, 3, 4
	v_and_b32_e32 v36, 7, v36
	v_cvt_f32_ubyte0_e32 v36, v36
	v_fma_f32 v38, v36, s29, 1.0
	v_add_u32_e32 v39, -7, v37
	v_cmp_eq_u32_e32 vcc, 0, v37
	v_cndmask_b32_e32 v36, v38, v36, vcc
	v_cndmask_b32_e64 v37, v39, -9, vcc
	v_ldexp_f32 v36, v36, v37
	v_mul_f32_e32 v160, 0.5, v36
.LBB94_59:                              ;   in Loop: Header=BB94_3 Depth=1
	s_or_b64 exec, exec, s[22:23]
	global_load_ubyte v36, v[94:95], off
	global_load_dwordx2 v[100:101], v[88:89], off offset:4
	s_mov_b64 s[0:1], 0
	s_waitcnt vmcnt(1)
	v_cmp_lt_i16_e32 vcc, s27, v36
	s_and_saveexec_b64 s[22:23], vcc
	s_xor_b64 s[22:23], exec, s[22:23]
	s_cbranch_execnz .LBB94_142
; %bb.60:                               ;   in Loop: Header=BB94_3 Depth=1
	s_andn2_saveexec_b64 s[22:23], s[22:23]
	s_cbranch_execnz .LBB94_143
.LBB94_61:                              ;   in Loop: Header=BB94_3 Depth=1
	s_or_b64 exec, exec, s[22:23]
	v_mov_b32_e32 v162, 0
	s_and_saveexec_b64 s[22:23], s[0:1]
	s_cbranch_execz .LBB94_63
.LBB94_62:                              ;   in Loop: Header=BB94_3 Depth=1
	v_and_b32_e32 v36, 0xffff, v36
	v_bfe_u32 v37, v36, 3, 4
	v_and_b32_e32 v36, 7, v36
	v_cvt_f32_ubyte0_e32 v36, v36
	v_fma_f32 v38, v36, s29, 1.0
	v_add_u32_e32 v39, -7, v37
	v_cmp_eq_u32_e32 vcc, 0, v37
	v_cndmask_b32_e32 v36, v38, v36, vcc
	v_cndmask_b32_e64 v37, v39, -9, vcc
	v_ldexp_f32 v36, v36, v37
	v_mul_f32_e32 v162, 0.5, v36
.LBB94_63:                              ;   in Loop: Header=BB94_3 Depth=1
	s_or_b64 exec, exec, s[22:23]
	global_load_ubyte v36, v[96:97], off
	global_load_dwordx2 v[102:103], v[88:89], off offset:12
	s_mov_b64 s[0:1], 0
	s_waitcnt vmcnt(1)
	v_cmp_lt_i16_e32 vcc, s27, v36
	s_and_saveexec_b64 s[22:23], vcc
	s_xor_b64 s[22:23], exec, s[22:23]
	s_cbranch_execnz .LBB94_144
; %bb.64:                               ;   in Loop: Header=BB94_3 Depth=1
	s_andn2_saveexec_b64 s[22:23], s[22:23]
	s_cbranch_execnz .LBB94_145
.LBB94_65:                              ;   in Loop: Header=BB94_3 Depth=1
	s_or_b64 exec, exec, s[22:23]
	v_mov_b32_e32 v163, 0
	s_and_saveexec_b64 s[22:23], s[0:1]
	s_cbranch_execz .LBB94_67
.LBB94_66:                              ;   in Loop: Header=BB94_3 Depth=1
	v_and_b32_e32 v36, 0xffff, v36
	v_bfe_u32 v37, v36, 3, 4
	v_and_b32_e32 v36, 7, v36
	v_cvt_f32_ubyte0_e32 v36, v36
	v_fma_f32 v38, v36, s29, 1.0
	v_add_u32_e32 v39, -7, v37
	v_cmp_eq_u32_e32 vcc, 0, v37
	v_cndmask_b32_e32 v36, v38, v36, vcc
	v_cndmask_b32_e64 v37, v39, -9, vcc
	v_ldexp_f32 v36, v36, v37
	v_mul_f32_e32 v163, 0.5, v36
.LBB94_67:                              ;   in Loop: Header=BB94_3 Depth=1
	s_or_b64 exec, exec, s[22:23]
	v_add_u32_e32 v36, s24, v140
	v_mad_u64_u32 v[37:38], s[0:1], v36, 36, v[58:59]
	global_load_dwordx2 v[104:105], v[86:87], off offset:4
	global_load_ubyte v36, v[34:35], off
	global_load_dword v164, v[37:38], off offset:32
	global_load_dwordx4 v[42:45], v[37:38], off offset:16
	global_load_dwordx4 v[46:49], v[37:38], off
	s_mov_b64 s[0:1], 0
	s_waitcnt vmcnt(3)
	v_cmp_lt_i16_e32 vcc, s27, v36
	s_and_saveexec_b64 s[22:23], vcc
	s_xor_b64 s[22:23], exec, s[22:23]
	s_cbranch_execnz .LBB94_146
; %bb.68:                               ;   in Loop: Header=BB94_3 Depth=1
	s_andn2_saveexec_b64 s[22:23], s[22:23]
	s_cbranch_execnz .LBB94_147
.LBB94_69:                              ;   in Loop: Header=BB94_3 Depth=1
	s_or_b64 exec, exec, s[22:23]
	v_mov_b32_e32 v165, 0
	s_and_saveexec_b64 s[22:23], s[0:1]
	s_cbranch_execz .LBB94_71
.LBB94_70:                              ;   in Loop: Header=BB94_3 Depth=1
	v_and_b32_e32 v36, 0xffff, v36
	v_bfe_u32 v37, v36, 3, 4
	v_and_b32_e32 v36, 7, v36
	v_cvt_f32_ubyte0_e32 v36, v36
	v_fma_f32 v38, v36, s29, 1.0
	v_add_u32_e32 v39, -7, v37
	v_cmp_eq_u32_e32 vcc, 0, v37
	v_cndmask_b32_e32 v36, v38, v36, vcc
	v_cndmask_b32_e64 v37, v39, -9, vcc
	v_ldexp_f32 v36, v36, v37
	v_mul_f32_e32 v165, 0.5, v36
.LBB94_71:                              ;   in Loop: Header=BB94_3 Depth=1
	s_or_b64 exec, exec, s[22:23]
	global_load_ubyte v36, v[92:93], off
	global_load_dwordx2 v[106:107], v[86:87], off offset:12
	s_mov_b64 s[0:1], 0
	s_waitcnt vmcnt(1)
	v_cmp_lt_i16_e32 vcc, s27, v36
	s_and_saveexec_b64 s[22:23], vcc
	s_xor_b64 s[22:23], exec, s[22:23]
	s_cbranch_execnz .LBB94_148
; %bb.72:                               ;   in Loop: Header=BB94_3 Depth=1
	s_andn2_saveexec_b64 s[22:23], s[22:23]
	s_cbranch_execnz .LBB94_149
.LBB94_73:                              ;   in Loop: Header=BB94_3 Depth=1
	s_or_b64 exec, exec, s[22:23]
	v_mov_b32_e32 v166, 0
	s_and_saveexec_b64 s[22:23], s[0:1]
	s_cbranch_execz .LBB94_75
.LBB94_74:                              ;   in Loop: Header=BB94_3 Depth=1
	v_and_b32_e32 v36, 0xffff, v36
	v_bfe_u32 v37, v36, 3, 4
	v_and_b32_e32 v36, 7, v36
	v_cvt_f32_ubyte0_e32 v36, v36
	v_fma_f32 v38, v36, s29, 1.0
	v_add_u32_e32 v39, -7, v37
	v_cmp_eq_u32_e32 vcc, 0, v37
	v_cndmask_b32_e32 v36, v38, v36, vcc
	v_cndmask_b32_e64 v37, v39, -9, vcc
	v_ldexp_f32 v36, v36, v37
	v_mul_f32_e32 v166, 0.5, v36
.LBB94_75:                              ;   in Loop: Header=BB94_3 Depth=1
	s_or_b64 exec, exec, s[22:23]
	global_load_ubyte v36, v[94:95], off
	global_load_dwordx2 v[108:109], v[88:89], off offset:4
	s_mov_b64 s[0:1], 0
	s_waitcnt vmcnt(1)
	v_cmp_lt_i16_e32 vcc, s27, v36
	s_and_saveexec_b64 s[22:23], vcc
	s_xor_b64 s[22:23], exec, s[22:23]
	s_cbranch_execnz .LBB94_150
; %bb.76:                               ;   in Loop: Header=BB94_3 Depth=1
	s_andn2_saveexec_b64 s[22:23], s[22:23]
	s_cbranch_execnz .LBB94_151
.LBB94_77:                              ;   in Loop: Header=BB94_3 Depth=1
	s_or_b64 exec, exec, s[22:23]
	v_mov_b32_e32 v167, 0
	s_and_saveexec_b64 s[22:23], s[0:1]
	s_cbranch_execz .LBB94_79
.LBB94_78:                              ;   in Loop: Header=BB94_3 Depth=1
	v_and_b32_e32 v36, 0xffff, v36
	v_bfe_u32 v37, v36, 3, 4
	v_and_b32_e32 v36, 7, v36
	v_cvt_f32_ubyte0_e32 v36, v36
	v_fma_f32 v38, v36, s29, 1.0
	v_add_u32_e32 v39, -7, v37
	v_cmp_eq_u32_e32 vcc, 0, v37
	v_cndmask_b32_e32 v36, v38, v36, vcc
	v_cndmask_b32_e64 v37, v39, -9, vcc
	v_ldexp_f32 v36, v36, v37
	v_mul_f32_e32 v167, 0.5, v36
.LBB94_79:                              ;   in Loop: Header=BB94_3 Depth=1
	s_or_b64 exec, exec, s[22:23]
	global_load_ubyte v36, v[96:97], off
	global_load_dwordx2 v[110:111], v[88:89], off offset:12
	s_mov_b64 s[0:1], 0
	s_waitcnt vmcnt(1)
	v_cmp_lt_i16_e32 vcc, s27, v36
	s_and_saveexec_b64 s[22:23], vcc
	s_xor_b64 s[22:23], exec, s[22:23]
	s_cbranch_execnz .LBB94_152
; %bb.80:                               ;   in Loop: Header=BB94_3 Depth=1
	s_andn2_saveexec_b64 s[22:23], s[22:23]
	s_cbranch_execnz .LBB94_153
.LBB94_81:                              ;   in Loop: Header=BB94_3 Depth=1
	s_or_b64 exec, exec, s[22:23]
	v_mov_b32_e32 v168, 0
	s_and_saveexec_b64 s[22:23], s[0:1]
	s_cbranch_execz .LBB94_83
.LBB94_82:                              ;   in Loop: Header=BB94_3 Depth=1
	v_and_b32_e32 v36, 0xffff, v36
	v_bfe_u32 v37, v36, 3, 4
	v_and_b32_e32 v36, 7, v36
	v_cvt_f32_ubyte0_e32 v36, v36
	v_fma_f32 v38, v36, s29, 1.0
	v_add_u32_e32 v39, -7, v37
	v_cmp_eq_u32_e32 vcc, 0, v37
	v_cndmask_b32_e32 v36, v38, v36, vcc
	v_cndmask_b32_e64 v37, v39, -9, vcc
	v_ldexp_f32 v36, v36, v37
	v_mul_f32_e32 v168, 0.5, v36
.LBB94_83:                              ;   in Loop: Header=BB94_3 Depth=1
	s_or_b64 exec, exec, s[22:23]
	v_add_u32_e32 v36, s25, v140
	v_mad_u64_u32 v[37:38], s[0:1], v36, 36, v[58:59]
	global_load_dwordx2 v[112:113], v[86:87], off offset:4
	global_load_ubyte v36, v[34:35], off
	global_load_dword v169, v[37:38], off offset:32
	global_load_dwordx4 v[50:53], v[37:38], off offset:16
	global_load_dwordx4 v[54:57], v[37:38], off
	s_mov_b64 s[0:1], 0
	s_waitcnt vmcnt(3)
	v_cmp_lt_i16_e32 vcc, s27, v36
	s_and_saveexec_b64 s[22:23], vcc
	s_xor_b64 s[22:23], exec, s[22:23]
	s_cbranch_execnz .LBB94_154
; %bb.84:                               ;   in Loop: Header=BB94_3 Depth=1
	s_andn2_saveexec_b64 s[22:23], s[22:23]
	s_cbranch_execnz .LBB94_155
.LBB94_85:                              ;   in Loop: Header=BB94_3 Depth=1
	s_or_b64 exec, exec, s[22:23]
	v_mov_b32_e32 v170, 0
	s_and_saveexec_b64 s[22:23], s[0:1]
	s_cbranch_execz .LBB94_87
.LBB94_86:                              ;   in Loop: Header=BB94_3 Depth=1
	v_and_b32_e32 v36, 0xffff, v36
	v_bfe_u32 v37, v36, 3, 4
	v_and_b32_e32 v36, 7, v36
	v_cvt_f32_ubyte0_e32 v36, v36
	v_fma_f32 v38, v36, s29, 1.0
	v_add_u32_e32 v39, -7, v37
	v_cmp_eq_u32_e32 vcc, 0, v37
	v_cndmask_b32_e32 v36, v38, v36, vcc
	v_cndmask_b32_e64 v37, v39, -9, vcc
	v_ldexp_f32 v36, v36, v37
	v_mul_f32_e32 v170, 0.5, v36
.LBB94_87:                              ;   in Loop: Header=BB94_3 Depth=1
	s_or_b64 exec, exec, s[22:23]
	global_load_ubyte v36, v[92:93], off
	global_load_dwordx2 v[114:115], v[86:87], off offset:12
	s_mov_b64 s[0:1], 0
	s_waitcnt vmcnt(1)
	v_cmp_lt_i16_e32 vcc, s27, v36
	s_and_saveexec_b64 s[22:23], vcc
	s_xor_b64 s[22:23], exec, s[22:23]
	s_cbranch_execnz .LBB94_156
; %bb.88:                               ;   in Loop: Header=BB94_3 Depth=1
	s_andn2_saveexec_b64 s[22:23], s[22:23]
	s_cbranch_execnz .LBB94_157
.LBB94_89:                              ;   in Loop: Header=BB94_3 Depth=1
	s_or_b64 exec, exec, s[22:23]
	v_mov_b32_e32 v171, 0
	s_and_saveexec_b64 s[22:23], s[0:1]
	s_cbranch_execz .LBB94_91
.LBB94_90:                              ;   in Loop: Header=BB94_3 Depth=1
	v_and_b32_e32 v36, 0xffff, v36
	v_bfe_u32 v37, v36, 3, 4
	v_and_b32_e32 v36, 7, v36
	v_cvt_f32_ubyte0_e32 v36, v36
	v_fma_f32 v38, v36, s29, 1.0
	v_add_u32_e32 v39, -7, v37
	v_cmp_eq_u32_e32 vcc, 0, v37
	v_cndmask_b32_e32 v36, v38, v36, vcc
	v_cndmask_b32_e64 v37, v39, -9, vcc
	v_ldexp_f32 v36, v36, v37
	v_mul_f32_e32 v171, 0.5, v36
.LBB94_91:                              ;   in Loop: Header=BB94_3 Depth=1
	s_or_b64 exec, exec, s[22:23]
	global_load_ubyte v36, v[94:95], off
	global_load_dwordx2 v[116:117], v[88:89], off offset:4
	s_mov_b64 s[0:1], 0
	s_waitcnt vmcnt(1)
	v_cmp_lt_i16_e32 vcc, s27, v36
	s_and_saveexec_b64 s[22:23], vcc
	s_xor_b64 s[22:23], exec, s[22:23]
	s_cbranch_execnz .LBB94_158
; %bb.92:                               ;   in Loop: Header=BB94_3 Depth=1
	s_andn2_saveexec_b64 s[22:23], s[22:23]
	s_cbranch_execnz .LBB94_159
.LBB94_93:                              ;   in Loop: Header=BB94_3 Depth=1
	s_or_b64 exec, exec, s[22:23]
	v_mov_b32_e32 v172, 0
	s_and_saveexec_b64 s[22:23], s[0:1]
	s_cbranch_execz .LBB94_95
.LBB94_94:                              ;   in Loop: Header=BB94_3 Depth=1
	v_and_b32_e32 v36, 0xffff, v36
	v_bfe_u32 v37, v36, 3, 4
	v_and_b32_e32 v36, 7, v36
	v_cvt_f32_ubyte0_e32 v36, v36
	v_fma_f32 v38, v36, s29, 1.0
	v_add_u32_e32 v39, -7, v37
	v_cmp_eq_u32_e32 vcc, 0, v37
	v_cndmask_b32_e32 v36, v38, v36, vcc
	v_cndmask_b32_e64 v37, v39, -9, vcc
	v_ldexp_f32 v36, v36, v37
	v_mul_f32_e32 v172, 0.5, v36
.LBB94_95:                              ;   in Loop: Header=BB94_3 Depth=1
	s_or_b64 exec, exec, s[22:23]
	global_load_ubyte v36, v[96:97], off
	global_load_dwordx2 v[118:119], v[88:89], off offset:12
	s_mov_b64 s[0:1], 0
	s_waitcnt vmcnt(1)
	v_cmp_lt_i16_e32 vcc, s27, v36
	s_and_saveexec_b64 s[22:23], vcc
	s_xor_b64 s[22:23], exec, s[22:23]
	s_cbranch_execnz .LBB94_160
; %bb.96:                               ;   in Loop: Header=BB94_3 Depth=1
	s_andn2_saveexec_b64 s[22:23], s[22:23]
	s_cbranch_execnz .LBB94_161
.LBB94_97:                              ;   in Loop: Header=BB94_3 Depth=1
	s_or_b64 exec, exec, s[22:23]
	v_mov_b32_e32 v173, 0
	s_and_saveexec_b64 s[22:23], s[0:1]
	s_cbranch_execz .LBB94_99
.LBB94_98:                              ;   in Loop: Header=BB94_3 Depth=1
	v_and_b32_e32 v36, 0xffff, v36
	v_bfe_u32 v37, v36, 3, 4
	v_and_b32_e32 v36, 7, v36
	v_cvt_f32_ubyte0_e32 v36, v36
	v_fma_f32 v38, v36, s29, 1.0
	v_add_u32_e32 v39, -7, v37
	v_cmp_eq_u32_e32 vcc, 0, v37
	v_cndmask_b32_e32 v36, v38, v36, vcc
	v_cndmask_b32_e64 v37, v39, -9, vcc
	v_ldexp_f32 v36, v36, v37
	v_mul_f32_e32 v173, 0.5, v36
.LBB94_99:                              ;   in Loop: Header=BB94_3 Depth=1
	s_or_b64 exec, exec, s[22:23]
	v_add_u32_e32 v36, s26, v140
	v_mad_u64_u32 v[38:39], s[0:1], v36, 36, v[58:59]
	global_load_dwordx2 v[120:121], v[86:87], off offset:4
	global_load_ubyte v175, v[34:35], off
	global_load_dword v161, v[38:39], off offset:32
	s_nop 0
	global_load_dwordx4 v[34:37], v[38:39], off offset:16
	s_nop 0
	global_load_dwordx4 v[38:41], v[38:39], off
	s_mov_b64 s[0:1], 0
	s_waitcnt vmcnt(3)
	v_cmp_lt_i16_e32 vcc, s27, v175
	s_and_saveexec_b64 s[22:23], vcc
	s_xor_b64 s[22:23], exec, s[22:23]
	s_cbranch_execnz .LBB94_162
; %bb.100:                              ;   in Loop: Header=BB94_3 Depth=1
	s_andn2_saveexec_b64 s[22:23], s[22:23]
	s_cbranch_execnz .LBB94_163
.LBB94_101:                             ;   in Loop: Header=BB94_3 Depth=1
	s_or_b64 exec, exec, s[22:23]
	v_mov_b32_e32 v174, 0
	s_and_saveexec_b64 s[22:23], s[0:1]
	s_cbranch_execz .LBB94_103
.LBB94_102:                             ;   in Loop: Header=BB94_3 Depth=1
	v_and_b32_e32 v174, 0xffff, v175
	v_bfe_u32 v175, v174, 3, 4
	v_and_b32_e32 v174, 7, v174
	v_cvt_f32_ubyte0_e32 v174, v174
	v_fma_f32 v176, v174, s29, 1.0
	v_add_u32_e32 v177, -7, v175
	v_cmp_eq_u32_e32 vcc, 0, v175
	v_cndmask_b32_e32 v174, v176, v174, vcc
	v_cndmask_b32_e64 v175, v177, -9, vcc
	v_ldexp_f32 v174, v174, v175
	v_mul_f32_e32 v174, 0.5, v174
.LBB94_103:                             ;   in Loop: Header=BB94_3 Depth=1
	s_or_b64 exec, exec, s[22:23]
	global_load_ubyte v176, v[92:93], off
	s_nop 0
	global_load_dwordx2 v[92:93], v[86:87], off offset:12
	s_mov_b64 s[0:1], 0
	s_waitcnt vmcnt(1)
	v_cmp_lt_i16_e32 vcc, s27, v176
	s_and_saveexec_b64 s[22:23], vcc
	s_xor_b64 s[22:23], exec, s[22:23]
	s_cbranch_execnz .LBB94_164
; %bb.104:                              ;   in Loop: Header=BB94_3 Depth=1
	s_andn2_saveexec_b64 s[22:23], s[22:23]
	s_cbranch_execnz .LBB94_165
.LBB94_105:                             ;   in Loop: Header=BB94_3 Depth=1
	s_or_b64 exec, exec, s[22:23]
	v_mov_b32_e32 v175, 0
	s_and_saveexec_b64 s[22:23], s[0:1]
	s_cbranch_execz .LBB94_107
.LBB94_106:                             ;   in Loop: Header=BB94_3 Depth=1
	v_and_b32_e32 v86, 0xffff, v176
	v_bfe_u32 v87, v86, 3, 4
	v_and_b32_e32 v86, 7, v86
	v_cvt_f32_ubyte0_e32 v86, v86
	v_fma_f32 v175, v86, s29, 1.0
	v_add_u32_e32 v176, -7, v87
	v_cmp_eq_u32_e32 vcc, 0, v87
	v_cndmask_b32_e32 v86, v175, v86, vcc
	v_cndmask_b32_e64 v87, v176, -9, vcc
	v_ldexp_f32 v86, v86, v87
	v_mul_f32_e32 v175, 0.5, v86
.LBB94_107:                             ;   in Loop: Header=BB94_3 Depth=1
	s_or_b64 exec, exec, s[22:23]
	global_load_ubyte v95, v[94:95], off
	s_nop 0
	global_load_dwordx2 v[86:87], v[88:89], off offset:4
	s_mov_b64 s[0:1], 0
	s_waitcnt vmcnt(1)
	v_cmp_lt_i16_e32 vcc, s27, v95
	s_and_saveexec_b64 s[22:23], vcc
	s_xor_b64 s[22:23], exec, s[22:23]
	s_cbranch_execnz .LBB94_166
; %bb.108:                              ;   in Loop: Header=BB94_3 Depth=1
	s_andn2_saveexec_b64 s[22:23], s[22:23]
	s_cbranch_execnz .LBB94_167
.LBB94_109:                             ;   in Loop: Header=BB94_3 Depth=1
	s_or_b64 exec, exec, s[22:23]
	v_mov_b32_e32 v94, 0
	s_and_saveexec_b64 s[22:23], s[0:1]
	s_cbranch_execz .LBB94_111
.LBB94_110:                             ;   in Loop: Header=BB94_3 Depth=1
	v_and_b32_e32 v94, 0xffff, v95
	v_bfe_u32 v95, v94, 3, 4
	v_and_b32_e32 v94, 7, v94
	v_cvt_f32_ubyte0_e32 v94, v94
	v_fma_f32 v176, v94, s29, 1.0
	v_add_u32_e32 v177, -7, v95
	v_cmp_eq_u32_e32 vcc, 0, v95
	v_cndmask_b32_e32 v94, v176, v94, vcc
	v_cndmask_b32_e64 v95, v177, -9, vcc
	v_ldexp_f32 v94, v94, v95
	v_mul_f32_e32 v94, 0.5, v94
.LBB94_111:                             ;   in Loop: Header=BB94_3 Depth=1
	s_or_b64 exec, exec, s[22:23]
	global_load_ubyte v96, v[96:97], off
	s_nop 0
	global_load_dwordx2 v[88:89], v[88:89], off offset:12
	s_mov_b64 s[0:1], 0
	s_waitcnt vmcnt(1)
	v_cmp_lt_i16_e32 vcc, s27, v96
	s_and_saveexec_b64 s[22:23], vcc
	s_xor_b64 s[22:23], exec, s[22:23]
	s_cbranch_execnz .LBB94_168
; %bb.112:                              ;   in Loop: Header=BB94_3 Depth=1
	s_andn2_saveexec_b64 s[22:23], s[22:23]
	s_cbranch_execnz .LBB94_169
.LBB94_113:                             ;   in Loop: Header=BB94_3 Depth=1
	s_or_b64 exec, exec, s[22:23]
	v_mov_b32_e32 v95, 0
	s_and_saveexec_b64 s[22:23], s[0:1]
	s_cbranch_execz .LBB94_2
	s_branch .LBB94_170
.LBB94_114:                             ;   in Loop: Header=BB94_3 Depth=1
	v_cmp_ne_u16_e32 vcc, s28, v13
	s_and_b64 s[0:1], vcc, exec
	s_andn2_saveexec_b64 s[22:23], s[22:23]
	s_cbranch_execz .LBB94_5
.LBB94_115:                             ;   in Loop: Header=BB94_3 Depth=1
	v_cmp_ne_u16_e32 vcc, 0, v13
	s_andn2_b64 s[0:1], s[0:1], exec
	s_and_b64 s[34:35], vcc, exec
	s_or_b64 s[0:1], s[0:1], s[34:35]
	s_or_b64 exec, exec, s[22:23]
	v_mov_b32_e32 v144, 0
	s_and_saveexec_b64 s[22:23], s[0:1]
	s_cbranch_execnz .LBB94_6
	s_branch .LBB94_7
.LBB94_116:                             ;   in Loop: Header=BB94_3 Depth=1
	v_cmp_ne_u16_e32 vcc, s28, v10
	s_and_b64 s[0:1], vcc, exec
	s_andn2_saveexec_b64 s[22:23], s[22:23]
	s_cbranch_execz .LBB94_9
.LBB94_117:                             ;   in Loop: Header=BB94_3 Depth=1
	v_cmp_ne_u16_e32 vcc, 0, v10
	s_andn2_b64 s[0:1], s[0:1], exec
	s_and_b64 s[34:35], vcc, exec
	s_or_b64 s[0:1], s[0:1], s[34:35]
	s_or_b64 exec, exec, s[22:23]
	v_mov_b32_e32 v145, 0
	s_and_saveexec_b64 s[22:23], s[0:1]
	s_cbranch_execnz .LBB94_10
	s_branch .LBB94_11
.LBB94_118:                             ;   in Loop: Header=BB94_3 Depth=1
	v_cmp_ne_u16_e32 vcc, s28, v13
	s_and_b64 s[0:1], vcc, exec
	s_andn2_saveexec_b64 s[22:23], s[22:23]
	s_cbranch_execz .LBB94_13
.LBB94_119:                             ;   in Loop: Header=BB94_3 Depth=1
	v_cmp_ne_u16_e32 vcc, 0, v13
	s_andn2_b64 s[0:1], s[0:1], exec
	s_and_b64 s[34:35], vcc, exec
	s_or_b64 s[0:1], s[0:1], s[34:35]
	s_or_b64 exec, exec, s[22:23]
	v_mov_b32_e32 v146, 0
	s_and_saveexec_b64 s[22:23], s[0:1]
	s_cbranch_execnz .LBB94_14
	s_branch .LBB94_15
.LBB94_120:                             ;   in Loop: Header=BB94_3 Depth=1
	v_cmp_ne_u16_e32 vcc, s28, v10
	s_and_b64 s[0:1], vcc, exec
	s_andn2_saveexec_b64 s[22:23], s[22:23]
	s_cbranch_execz .LBB94_17
.LBB94_121:                             ;   in Loop: Header=BB94_3 Depth=1
	v_cmp_ne_u16_e32 vcc, 0, v10
	s_andn2_b64 s[0:1], s[0:1], exec
	s_and_b64 s[34:35], vcc, exec
	s_or_b64 s[0:1], s[0:1], s[34:35]
	s_or_b64 exec, exec, s[22:23]
	v_mov_b32_e32 v147, 0
	s_and_saveexec_b64 s[22:23], s[0:1]
	s_cbranch_execnz .LBB94_18
	s_branch .LBB94_19
.LBB94_122:                             ;   in Loop: Header=BB94_3 Depth=1
	v_cmp_ne_u16_e32 vcc, s28, v18
	s_and_b64 s[0:1], vcc, exec
	s_andn2_saveexec_b64 s[22:23], s[22:23]
	s_cbranch_execz .LBB94_21
.LBB94_123:                             ;   in Loop: Header=BB94_3 Depth=1
	v_cmp_ne_u16_e32 vcc, 0, v18
	s_andn2_b64 s[0:1], s[0:1], exec
	s_and_b64 s[34:35], vcc, exec
	s_or_b64 s[0:1], s[0:1], s[34:35]
	s_or_b64 exec, exec, s[22:23]
	v_mov_b32_e32 v149, 0
	s_and_saveexec_b64 s[22:23], s[0:1]
	s_cbranch_execnz .LBB94_22
	s_branch .LBB94_23
.LBB94_124:                             ;   in Loop: Header=BB94_3 Depth=1
	v_cmp_ne_u16_e32 vcc, s28, v18
	s_and_b64 s[0:1], vcc, exec
	s_andn2_saveexec_b64 s[22:23], s[22:23]
	s_cbranch_execz .LBB94_25
.LBB94_125:                             ;   in Loop: Header=BB94_3 Depth=1
	v_cmp_ne_u16_e32 vcc, 0, v18
	s_andn2_b64 s[0:1], s[0:1], exec
	s_and_b64 s[34:35], vcc, exec
	s_or_b64 s[0:1], s[0:1], s[34:35]
	s_or_b64 exec, exec, s[22:23]
	v_mov_b32_e32 v150, 0
	s_and_saveexec_b64 s[22:23], s[0:1]
	s_cbranch_execnz .LBB94_26
	s_branch .LBB94_27
.LBB94_126:                             ;   in Loop: Header=BB94_3 Depth=1
	v_cmp_ne_u16_e32 vcc, s28, v18
	s_and_b64 s[0:1], vcc, exec
	s_andn2_saveexec_b64 s[22:23], s[22:23]
	s_cbranch_execz .LBB94_29
.LBB94_127:                             ;   in Loop: Header=BB94_3 Depth=1
	v_cmp_ne_u16_e32 vcc, 0, v18
	s_andn2_b64 s[0:1], s[0:1], exec
	s_and_b64 s[34:35], vcc, exec
	s_or_b64 s[0:1], s[0:1], s[34:35]
	s_or_b64 exec, exec, s[22:23]
	v_mov_b32_e32 v151, 0
	s_and_saveexec_b64 s[22:23], s[0:1]
	s_cbranch_execnz .LBB94_30
	s_branch .LBB94_31
.LBB94_128:                             ;   in Loop: Header=BB94_3 Depth=1
	v_cmp_ne_u16_e32 vcc, s28, v18
	s_and_b64 s[0:1], vcc, exec
	s_andn2_saveexec_b64 s[22:23], s[22:23]
	s_cbranch_execz .LBB94_33
.LBB94_129:                             ;   in Loop: Header=BB94_3 Depth=1
	v_cmp_ne_u16_e32 vcc, 0, v18
	s_andn2_b64 s[0:1], s[0:1], exec
	s_and_b64 s[34:35], vcc, exec
	s_or_b64 s[0:1], s[0:1], s[34:35]
	s_or_b64 exec, exec, s[22:23]
	v_mov_b32_e32 v152, 0
	s_and_saveexec_b64 s[22:23], s[0:1]
	s_cbranch_execnz .LBB94_34
	s_branch .LBB94_35
.LBB94_130:                             ;   in Loop: Header=BB94_3 Depth=1
	v_cmp_ne_u16_e32 vcc, s28, v26
	s_and_b64 s[0:1], vcc, exec
	s_andn2_saveexec_b64 s[22:23], s[22:23]
	s_cbranch_execz .LBB94_37
.LBB94_131:                             ;   in Loop: Header=BB94_3 Depth=1
	v_cmp_ne_u16_e32 vcc, 0, v26
	s_andn2_b64 s[0:1], s[0:1], exec
	s_and_b64 s[34:35], vcc, exec
	s_or_b64 s[0:1], s[0:1], s[34:35]
	s_or_b64 exec, exec, s[22:23]
	v_mov_b32_e32 v154, 0
	s_and_saveexec_b64 s[22:23], s[0:1]
	s_cbranch_execnz .LBB94_38
	s_branch .LBB94_39
.LBB94_132:                             ;   in Loop: Header=BB94_3 Depth=1
	v_cmp_ne_u16_e32 vcc, s28, v26
	s_and_b64 s[0:1], vcc, exec
	s_andn2_saveexec_b64 s[22:23], s[22:23]
	s_cbranch_execz .LBB94_41
.LBB94_133:                             ;   in Loop: Header=BB94_3 Depth=1
	v_cmp_ne_u16_e32 vcc, 0, v26
	s_andn2_b64 s[0:1], s[0:1], exec
	s_and_b64 s[34:35], vcc, exec
	s_or_b64 s[0:1], s[0:1], s[34:35]
	s_or_b64 exec, exec, s[22:23]
	v_mov_b32_e32 v155, 0
	s_and_saveexec_b64 s[22:23], s[0:1]
	s_cbranch_execnz .LBB94_42
	s_branch .LBB94_43
.LBB94_134:                             ;   in Loop: Header=BB94_3 Depth=1
	v_cmp_ne_u16_e32 vcc, s28, v26
	s_and_b64 s[0:1], vcc, exec
	s_andn2_saveexec_b64 s[22:23], s[22:23]
	s_cbranch_execz .LBB94_45
.LBB94_135:                             ;   in Loop: Header=BB94_3 Depth=1
	v_cmp_ne_u16_e32 vcc, 0, v26
	s_andn2_b64 s[0:1], s[0:1], exec
	s_and_b64 s[34:35], vcc, exec
	s_or_b64 s[0:1], s[0:1], s[34:35]
	s_or_b64 exec, exec, s[22:23]
	v_mov_b32_e32 v156, 0
	s_and_saveexec_b64 s[22:23], s[0:1]
	s_cbranch_execnz .LBB94_46
	s_branch .LBB94_47
.LBB94_136:                             ;   in Loop: Header=BB94_3 Depth=1
	v_cmp_ne_u16_e32 vcc, s28, v26
	s_and_b64 s[0:1], vcc, exec
	s_andn2_saveexec_b64 s[22:23], s[22:23]
	s_cbranch_execz .LBB94_49
.LBB94_137:                             ;   in Loop: Header=BB94_3 Depth=1
	v_cmp_ne_u16_e32 vcc, 0, v26
	s_andn2_b64 s[0:1], s[0:1], exec
	s_and_b64 s[34:35], vcc, exec
	s_or_b64 s[0:1], s[0:1], s[34:35]
	s_or_b64 exec, exec, s[22:23]
	v_mov_b32_e32 v157, 0
	s_and_saveexec_b64 s[22:23], s[0:1]
	s_cbranch_execnz .LBB94_50
	s_branch .LBB94_51
.LBB94_138:                             ;   in Loop: Header=BB94_3 Depth=1
	v_cmp_ne_u16_e32 vcc, s28, v36
	s_and_b64 s[0:1], vcc, exec
	s_andn2_saveexec_b64 s[22:23], s[22:23]
	s_cbranch_execz .LBB94_53
.LBB94_139:                             ;   in Loop: Header=BB94_3 Depth=1
	v_cmp_ne_u16_e32 vcc, 0, v36
	s_andn2_b64 s[0:1], s[0:1], exec
	s_and_b64 s[34:35], vcc, exec
	s_or_b64 s[0:1], s[0:1], s[34:35]
	s_or_b64 exec, exec, s[22:23]
	v_mov_b32_e32 v159, 0
	s_and_saveexec_b64 s[22:23], s[0:1]
	s_cbranch_execnz .LBB94_54
	s_branch .LBB94_55
.LBB94_140:                             ;   in Loop: Header=BB94_3 Depth=1
	v_cmp_ne_u16_e32 vcc, s28, v36
	s_and_b64 s[0:1], vcc, exec
	s_andn2_saveexec_b64 s[22:23], s[22:23]
	s_cbranch_execz .LBB94_57
.LBB94_141:                             ;   in Loop: Header=BB94_3 Depth=1
	v_cmp_ne_u16_e32 vcc, 0, v36
	s_andn2_b64 s[0:1], s[0:1], exec
	s_and_b64 s[34:35], vcc, exec
	s_or_b64 s[0:1], s[0:1], s[34:35]
	s_or_b64 exec, exec, s[22:23]
	v_mov_b32_e32 v160, 0
	s_and_saveexec_b64 s[22:23], s[0:1]
	s_cbranch_execnz .LBB94_58
	s_branch .LBB94_59
.LBB94_142:                             ;   in Loop: Header=BB94_3 Depth=1
	v_cmp_ne_u16_e32 vcc, s28, v36
	s_and_b64 s[0:1], vcc, exec
	s_andn2_saveexec_b64 s[22:23], s[22:23]
	s_cbranch_execz .LBB94_61
.LBB94_143:                             ;   in Loop: Header=BB94_3 Depth=1
	v_cmp_ne_u16_e32 vcc, 0, v36
	s_andn2_b64 s[0:1], s[0:1], exec
	s_and_b64 s[34:35], vcc, exec
	s_or_b64 s[0:1], s[0:1], s[34:35]
	s_or_b64 exec, exec, s[22:23]
	v_mov_b32_e32 v162, 0
	s_and_saveexec_b64 s[22:23], s[0:1]
	s_cbranch_execnz .LBB94_62
	s_branch .LBB94_63
.LBB94_144:                             ;   in Loop: Header=BB94_3 Depth=1
	v_cmp_ne_u16_e32 vcc, s28, v36
	s_and_b64 s[0:1], vcc, exec
	s_andn2_saveexec_b64 s[22:23], s[22:23]
	s_cbranch_execz .LBB94_65
.LBB94_145:                             ;   in Loop: Header=BB94_3 Depth=1
	v_cmp_ne_u16_e32 vcc, 0, v36
	s_andn2_b64 s[0:1], s[0:1], exec
	s_and_b64 s[34:35], vcc, exec
	s_or_b64 s[0:1], s[0:1], s[34:35]
	s_or_b64 exec, exec, s[22:23]
	v_mov_b32_e32 v163, 0
	s_and_saveexec_b64 s[22:23], s[0:1]
	s_cbranch_execnz .LBB94_66
	s_branch .LBB94_67
.LBB94_146:                             ;   in Loop: Header=BB94_3 Depth=1
	v_cmp_ne_u16_e32 vcc, s28, v36
	s_and_b64 s[0:1], vcc, exec
	s_andn2_saveexec_b64 s[22:23], s[22:23]
	s_cbranch_execz .LBB94_69
.LBB94_147:                             ;   in Loop: Header=BB94_3 Depth=1
	v_cmp_ne_u16_e32 vcc, 0, v36
	s_andn2_b64 s[0:1], s[0:1], exec
	s_and_b64 s[34:35], vcc, exec
	s_or_b64 s[0:1], s[0:1], s[34:35]
	s_or_b64 exec, exec, s[22:23]
	v_mov_b32_e32 v165, 0
	s_and_saveexec_b64 s[22:23], s[0:1]
	s_cbranch_execnz .LBB94_70
	s_branch .LBB94_71
.LBB94_148:                             ;   in Loop: Header=BB94_3 Depth=1
	v_cmp_ne_u16_e32 vcc, s28, v36
	s_and_b64 s[0:1], vcc, exec
	s_andn2_saveexec_b64 s[22:23], s[22:23]
	s_cbranch_execz .LBB94_73
.LBB94_149:                             ;   in Loop: Header=BB94_3 Depth=1
	v_cmp_ne_u16_e32 vcc, 0, v36
	s_andn2_b64 s[0:1], s[0:1], exec
	s_and_b64 s[34:35], vcc, exec
	s_or_b64 s[0:1], s[0:1], s[34:35]
	s_or_b64 exec, exec, s[22:23]
	v_mov_b32_e32 v166, 0
	s_and_saveexec_b64 s[22:23], s[0:1]
	s_cbranch_execnz .LBB94_74
	s_branch .LBB94_75
.LBB94_150:                             ;   in Loop: Header=BB94_3 Depth=1
	v_cmp_ne_u16_e32 vcc, s28, v36
	s_and_b64 s[0:1], vcc, exec
	s_andn2_saveexec_b64 s[22:23], s[22:23]
	s_cbranch_execz .LBB94_77
.LBB94_151:                             ;   in Loop: Header=BB94_3 Depth=1
	v_cmp_ne_u16_e32 vcc, 0, v36
	s_andn2_b64 s[0:1], s[0:1], exec
	s_and_b64 s[34:35], vcc, exec
	s_or_b64 s[0:1], s[0:1], s[34:35]
	s_or_b64 exec, exec, s[22:23]
	v_mov_b32_e32 v167, 0
	s_and_saveexec_b64 s[22:23], s[0:1]
	s_cbranch_execnz .LBB94_78
	s_branch .LBB94_79
.LBB94_152:                             ;   in Loop: Header=BB94_3 Depth=1
	v_cmp_ne_u16_e32 vcc, s28, v36
	s_and_b64 s[0:1], vcc, exec
	s_andn2_saveexec_b64 s[22:23], s[22:23]
	s_cbranch_execz .LBB94_81
.LBB94_153:                             ;   in Loop: Header=BB94_3 Depth=1
	v_cmp_ne_u16_e32 vcc, 0, v36
	s_andn2_b64 s[0:1], s[0:1], exec
	s_and_b64 s[34:35], vcc, exec
	s_or_b64 s[0:1], s[0:1], s[34:35]
	s_or_b64 exec, exec, s[22:23]
	v_mov_b32_e32 v168, 0
	s_and_saveexec_b64 s[22:23], s[0:1]
	s_cbranch_execnz .LBB94_82
	s_branch .LBB94_83
.LBB94_154:                             ;   in Loop: Header=BB94_3 Depth=1
	v_cmp_ne_u16_e32 vcc, s28, v36
	s_and_b64 s[0:1], vcc, exec
	s_andn2_saveexec_b64 s[22:23], s[22:23]
	s_cbranch_execz .LBB94_85
.LBB94_155:                             ;   in Loop: Header=BB94_3 Depth=1
	v_cmp_ne_u16_e32 vcc, 0, v36
	s_andn2_b64 s[0:1], s[0:1], exec
	s_and_b64 s[34:35], vcc, exec
	s_or_b64 s[0:1], s[0:1], s[34:35]
	s_or_b64 exec, exec, s[22:23]
	v_mov_b32_e32 v170, 0
	s_and_saveexec_b64 s[22:23], s[0:1]
	s_cbranch_execnz .LBB94_86
	s_branch .LBB94_87
.LBB94_156:                             ;   in Loop: Header=BB94_3 Depth=1
	v_cmp_ne_u16_e32 vcc, s28, v36
	s_and_b64 s[0:1], vcc, exec
	s_andn2_saveexec_b64 s[22:23], s[22:23]
	s_cbranch_execz .LBB94_89
.LBB94_157:                             ;   in Loop: Header=BB94_3 Depth=1
	v_cmp_ne_u16_e32 vcc, 0, v36
	s_andn2_b64 s[0:1], s[0:1], exec
	s_and_b64 s[34:35], vcc, exec
	s_or_b64 s[0:1], s[0:1], s[34:35]
	s_or_b64 exec, exec, s[22:23]
	v_mov_b32_e32 v171, 0
	s_and_saveexec_b64 s[22:23], s[0:1]
	s_cbranch_execnz .LBB94_90
	s_branch .LBB94_91
.LBB94_158:                             ;   in Loop: Header=BB94_3 Depth=1
	v_cmp_ne_u16_e32 vcc, s28, v36
	s_and_b64 s[0:1], vcc, exec
	s_andn2_saveexec_b64 s[22:23], s[22:23]
	s_cbranch_execz .LBB94_93
.LBB94_159:                             ;   in Loop: Header=BB94_3 Depth=1
	v_cmp_ne_u16_e32 vcc, 0, v36
	s_andn2_b64 s[0:1], s[0:1], exec
	s_and_b64 s[34:35], vcc, exec
	s_or_b64 s[0:1], s[0:1], s[34:35]
	s_or_b64 exec, exec, s[22:23]
	v_mov_b32_e32 v172, 0
	s_and_saveexec_b64 s[22:23], s[0:1]
	s_cbranch_execnz .LBB94_94
	s_branch .LBB94_95
.LBB94_160:                             ;   in Loop: Header=BB94_3 Depth=1
	v_cmp_ne_u16_e32 vcc, s28, v36
	s_and_b64 s[0:1], vcc, exec
	s_andn2_saveexec_b64 s[22:23], s[22:23]
	s_cbranch_execz .LBB94_97
.LBB94_161:                             ;   in Loop: Header=BB94_3 Depth=1
	v_cmp_ne_u16_e32 vcc, 0, v36
	s_andn2_b64 s[0:1], s[0:1], exec
	s_and_b64 s[34:35], vcc, exec
	s_or_b64 s[0:1], s[0:1], s[34:35]
	s_or_b64 exec, exec, s[22:23]
	v_mov_b32_e32 v173, 0
	s_and_saveexec_b64 s[22:23], s[0:1]
	s_cbranch_execnz .LBB94_98
	s_branch .LBB94_99
.LBB94_162:                             ;   in Loop: Header=BB94_3 Depth=1
	v_cmp_ne_u16_e32 vcc, s28, v175
	s_and_b64 s[0:1], vcc, exec
	s_andn2_saveexec_b64 s[22:23], s[22:23]
	s_cbranch_execz .LBB94_101
.LBB94_163:                             ;   in Loop: Header=BB94_3 Depth=1
	v_cmp_ne_u16_e32 vcc, 0, v175
	s_andn2_b64 s[0:1], s[0:1], exec
	s_and_b64 s[34:35], vcc, exec
	s_or_b64 s[0:1], s[0:1], s[34:35]
	s_or_b64 exec, exec, s[22:23]
	v_mov_b32_e32 v174, 0
	s_and_saveexec_b64 s[22:23], s[0:1]
	s_cbranch_execnz .LBB94_102
	s_branch .LBB94_103
.LBB94_164:                             ;   in Loop: Header=BB94_3 Depth=1
	v_cmp_ne_u16_e32 vcc, s28, v176
	s_and_b64 s[0:1], vcc, exec
	s_andn2_saveexec_b64 s[22:23], s[22:23]
	s_cbranch_execz .LBB94_105
.LBB94_165:                             ;   in Loop: Header=BB94_3 Depth=1
	v_cmp_ne_u16_e32 vcc, 0, v176
	s_andn2_b64 s[0:1], s[0:1], exec
	s_and_b64 s[34:35], vcc, exec
	s_or_b64 s[0:1], s[0:1], s[34:35]
	s_or_b64 exec, exec, s[22:23]
	v_mov_b32_e32 v175, 0
	s_and_saveexec_b64 s[22:23], s[0:1]
	s_cbranch_execnz .LBB94_106
	s_branch .LBB94_107
.LBB94_166:                             ;   in Loop: Header=BB94_3 Depth=1
	v_cmp_ne_u16_e32 vcc, s28, v95
	s_and_b64 s[0:1], vcc, exec
	s_andn2_saveexec_b64 s[22:23], s[22:23]
	s_cbranch_execz .LBB94_109
.LBB94_167:                             ;   in Loop: Header=BB94_3 Depth=1
	v_cmp_ne_u16_e32 vcc, 0, v95
	s_andn2_b64 s[0:1], s[0:1], exec
	s_and_b64 s[34:35], vcc, exec
	s_or_b64 s[0:1], s[0:1], s[34:35]
	s_or_b64 exec, exec, s[22:23]
	v_mov_b32_e32 v94, 0
	s_and_saveexec_b64 s[22:23], s[0:1]
	s_cbranch_execnz .LBB94_110
	s_branch .LBB94_111
.LBB94_168:                             ;   in Loop: Header=BB94_3 Depth=1
	v_cmp_ne_u16_e32 vcc, s28, v96
	s_and_b64 s[0:1], vcc, exec
	s_andn2_saveexec_b64 s[22:23], s[22:23]
	s_cbranch_execz .LBB94_113
.LBB94_169:                             ;   in Loop: Header=BB94_3 Depth=1
	v_cmp_ne_u16_e32 vcc, 0, v96
	s_andn2_b64 s[0:1], s[0:1], exec
	s_and_b64 s[34:35], vcc, exec
	s_or_b64 s[0:1], s[0:1], s[34:35]
	s_or_b64 exec, exec, s[22:23]
	v_mov_b32_e32 v95, 0
	s_and_saveexec_b64 s[22:23], s[0:1]
	s_cbranch_execz .LBB94_2
.LBB94_170:                             ;   in Loop: Header=BB94_3 Depth=1
	v_and_b32_e32 v95, 0xffff, v96
	v_bfe_u32 v96, v95, 3, 4
	v_and_b32_e32 v95, 7, v95
	v_cvt_f32_ubyte0_e32 v95, v95
	v_fma_f32 v97, v95, s29, 1.0
	v_add_u32_e32 v176, -7, v96
	v_cmp_eq_u32_e32 vcc, 0, v96
	v_cndmask_b32_e32 v95, v97, v95, vcc
	v_cndmask_b32_e64 v96, v176, -9, vcc
	v_ldexp_f32 v95, v95, v96
	v_mul_f32_e32 v95, 0.5, v95
	s_branch .LBB94_2
.LBB94_171:
	s_or_b64 exec, exec, s[16:17]
.LBB94_172:
	s_or_b64 exec, exec, s[10:11]
	s_mov_b32 s1, 0
	v_cmp_eq_u32_e32 vcc, 0, v1
	; wave barrier
	s_and_saveexec_b64 s[10:11], vcc
	s_cbranch_execz .LBB94_187
; %bb.173:
	v_mbcnt_lo_u32_b32 v1, -1, 0
	v_mbcnt_hi_u32_b32 v6, -1, v1
	v_and_b32_e32 v1, 64, v6
	v_add_u32_e32 v7, 64, v1
	v_xor_b32_e32 v1, 32, v6
	v_cmp_lt_i32_e32 vcc, v1, v7
	v_cndmask_b32_e32 v1, v6, v1, vcc
	v_lshlrev_b32_e32 v1, 2, v1
	ds_bpermute_b32 v5, v1, v136
	ds_bpermute_b32 v8, v1, v135
	v_xor_b32_e32 v2, 16, v6
	v_cmp_lt_i32_e32 vcc, v2, v7
	v_cndmask_b32_e32 v2, v6, v2, vcc
	v_lshlrev_b32_e32 v2, 2, v2
	s_waitcnt lgkmcnt(1)
	v_add_f32_e32 v5, v136, v5
	s_waitcnt lgkmcnt(0)
	v_add_f32_e32 v8, v135, v8
	ds_bpermute_b32 v10, v2, v5
	ds_bpermute_b32 v11, v2, v8
	v_xor_b32_e32 v3, 8, v6
	v_cmp_lt_i32_e32 vcc, v3, v7
	v_cndmask_b32_e32 v3, v6, v3, vcc
	v_lshlrev_b32_e32 v3, 2, v3
	s_waitcnt lgkmcnt(1)
	v_add_f32_e32 v10, v5, v10
	s_waitcnt lgkmcnt(0)
	v_add_f32_e32 v8, v8, v11
	;; [unrolled: 10-line block ×3, first 2 shown]
	ds_bpermute_b32 v12, v4, v10
	ds_bpermute_b32 v11, v4, v8
	v_xor_b32_e32 v9, 2, v6
	v_cmp_lt_i32_e32 vcc, v9, v7
	v_cndmask_b32_e32 v9, v6, v9, vcc
	v_lshlrev_b32_e32 v5, 2, v9
	v_xor_b32_e32 v9, 1, v6
	v_cmp_lt_i32_e32 vcc, v9, v7
	s_waitcnt lgkmcnt(1)
	v_add_f32_e32 v7, v10, v12
	s_waitcnt lgkmcnt(0)
	v_add_f32_e32 v10, v8, v11
	v_cndmask_b32_e32 v6, v6, v9, vcc
	ds_bpermute_b32 v9, v5, v7
	ds_bpermute_b32 v11, v5, v10
	s_load_dwordx2 s[4:5], s[4:5], 0x38
	s_mul_i32 s2, s2, s7
	v_lshlrev_b32_e32 v8, 2, v6
	s_waitcnt lgkmcnt(0)
	v_add_f32_e32 v6, v7, v9
	v_add_f32_e32 v9, v10, v11
	s_mul_i32 s0, s18, s8
	s_add_i32 s2, s2, s6
	ds_bpermute_b32 v7, v8, v6
	ds_bpermute_b32 v10, v8, v9
	s_add_i32 s0, s2, s0
	s_lshl_b64 s[0:1], s[0:1], 2
	s_add_u32 s2, s4, s0
	v_add_u32_e32 v11, s6, v0
	s_addc_u32 s3, s5, s1
	v_cmp_gt_u32_e32 vcc, 2, v0
	v_cmp_gt_u32_e64 s[0:1], s14, v11
	s_and_b64 s[0:1], vcc, s[0:1]
	s_waitcnt lgkmcnt(1)
	v_add_f32_e32 v6, v6, v7
	s_waitcnt lgkmcnt(0)
	v_add_f32_e32 v7, v9, v10
	s_and_saveexec_b64 s[4:5], s[0:1]
	s_cbranch_execz .LBB94_175
; %bb.174:
	v_cmp_eq_u32_e32 vcc, 1, v0
	v_cndmask_b32_e32 v9, v6, v7, vcc
	v_cmp_eq_u32_e32 vcc, 2, v0
	v_cndmask_b32_e32 v9, v9, v133, vcc
	;; [unrolled: 2-line block ×13, first 2 shown]
	v_lshlrev_b32_e32 v10, 2, v0
	global_store_dword v10, v9, s[2:3]
.LBB94_175:
	s_or_b64 exec, exec, s[4:5]
	ds_bpermute_b32 v9, v1, v133
	ds_bpermute_b32 v10, v1, v132
	s_waitcnt lgkmcnt(1)
	v_add_f32_e32 v9, v133, v9
	s_waitcnt lgkmcnt(0)
	v_add_f32_e32 v10, v132, v10
	ds_bpermute_b32 v11, v2, v9
	ds_bpermute_b32 v12, v2, v10
	s_waitcnt lgkmcnt(1)
	v_add_f32_e32 v9, v9, v11
	s_waitcnt lgkmcnt(0)
	v_add_f32_e32 v10, v10, v12
	;; [unrolled: 6-line block ×6, first 2 shown]
	s_and_saveexec_b64 s[4:5], s[0:1]
	s_cbranch_execz .LBB94_177
; %bb.176:
	v_add_u32_e32 v11, 2, v0
	v_cmp_eq_u32_e32 vcc, 1, v11
	v_cndmask_b32_e32 v12, v6, v7, vcc
	v_cmp_eq_u32_e32 vcc, 2, v11
	v_cndmask_b32_e32 v12, v12, v10, vcc
	;; [unrolled: 2-line block ×13, first 2 shown]
	v_add_u32_e32 v11, s14, v0
	v_mov_b32_e32 v12, 0
	v_lshlrev_b64 v[11:12], 2, v[11:12]
	v_mov_b32_e32 v14, s3
	v_add_co_u32_e32 v11, vcc, s2, v11
	v_addc_co_u32_e32 v12, vcc, v14, v12, vcc
	global_store_dword v[11:12], v13, off
.LBB94_177:
	s_or_b64 exec, exec, s[4:5]
	ds_bpermute_b32 v11, v1, v131
	ds_bpermute_b32 v12, v1, v130
	s_waitcnt lgkmcnt(1)
	v_add_f32_e32 v11, v131, v11
	s_waitcnt lgkmcnt(0)
	v_add_f32_e32 v12, v130, v12
	ds_bpermute_b32 v13, v2, v11
	ds_bpermute_b32 v14, v2, v12
	s_waitcnt lgkmcnt(1)
	v_add_f32_e32 v11, v11, v13
	s_waitcnt lgkmcnt(0)
	v_add_f32_e32 v12, v12, v14
	;; [unrolled: 6-line block ×6, first 2 shown]
	s_and_saveexec_b64 s[4:5], s[0:1]
	s_cbranch_execz .LBB94_179
; %bb.178:
	v_add_u32_e32 v13, 4, v0
	v_cmp_eq_u32_e32 vcc, 1, v13
	v_cndmask_b32_e32 v14, v6, v7, vcc
	v_cmp_eq_u32_e32 vcc, 2, v13
	v_cndmask_b32_e32 v14, v14, v10, vcc
	;; [unrolled: 2-line block ×13, first 2 shown]
	v_lshl_or_b32 v13, s14, 1, v0
	v_mov_b32_e32 v14, 0
	v_lshlrev_b64 v[13:14], 2, v[13:14]
	v_mov_b32_e32 v16, s3
	v_add_co_u32_e32 v13, vcc, s2, v13
	v_addc_co_u32_e32 v14, vcc, v16, v14, vcc
	global_store_dword v[13:14], v15, off
.LBB94_179:
	s_or_b64 exec, exec, s[4:5]
	ds_bpermute_b32 v13, v1, v129
	ds_bpermute_b32 v14, v1, v128
	s_waitcnt lgkmcnt(1)
	v_add_f32_e32 v13, v129, v13
	s_waitcnt lgkmcnt(0)
	v_add_f32_e32 v14, v128, v14
	ds_bpermute_b32 v15, v2, v13
	ds_bpermute_b32 v16, v2, v14
	s_waitcnt lgkmcnt(1)
	v_add_f32_e32 v13, v13, v15
	s_waitcnt lgkmcnt(0)
	v_add_f32_e32 v14, v14, v16
	;; [unrolled: 6-line block ×6, first 2 shown]
	s_and_saveexec_b64 s[4:5], s[0:1]
	s_cbranch_execz .LBB94_181
; %bb.180:
	v_add_u32_e32 v17, 6, v0
	v_cmp_eq_u32_e32 vcc, 1, v17
	v_cndmask_b32_e32 v15, v6, v7, vcc
	v_cmp_eq_u32_e32 vcc, 2, v17
	v_cndmask_b32_e32 v15, v15, v10, vcc
	;; [unrolled: 2-line block ×12, first 2 shown]
	v_mad_u64_u32 v[15:16], s[6:7], s14, 3, v[0:1]
	v_mov_b32_e32 v16, 0
	v_cmp_eq_u32_e32 vcc, 13, v17
	v_lshlrev_b64 v[15:16], 2, v[15:16]
	v_cndmask_b32_e32 v17, v18, v122, vcc
	v_mov_b32_e32 v18, s3
	v_add_co_u32_e32 v15, vcc, s2, v15
	v_addc_co_u32_e32 v16, vcc, v18, v16, vcc
	global_store_dword v[15:16], v17, off
.LBB94_181:
	s_or_b64 exec, exec, s[4:5]
	ds_bpermute_b32 v15, v1, v127
	ds_bpermute_b32 v16, v1, v126
	s_waitcnt lgkmcnt(1)
	v_add_f32_e32 v15, v127, v15
	s_waitcnt lgkmcnt(0)
	v_add_f32_e32 v16, v126, v16
	ds_bpermute_b32 v17, v2, v15
	ds_bpermute_b32 v18, v2, v16
	s_waitcnt lgkmcnt(1)
	v_add_f32_e32 v15, v15, v17
	s_waitcnt lgkmcnt(0)
	v_add_f32_e32 v16, v16, v18
	;; [unrolled: 6-line block ×6, first 2 shown]
	s_and_saveexec_b64 s[4:5], s[0:1]
	s_cbranch_execz .LBB94_183
; %bb.182:
	v_add_u32_e32 v17, 8, v0
	v_cmp_eq_u32_e32 vcc, 1, v17
	v_cndmask_b32_e32 v18, v6, v7, vcc
	v_cmp_eq_u32_e32 vcc, 2, v17
	v_cndmask_b32_e32 v18, v18, v10, vcc
	;; [unrolled: 2-line block ×13, first 2 shown]
	v_lshl_or_b32 v17, s14, 2, v0
	v_mov_b32_e32 v18, 0
	v_lshlrev_b64 v[17:18], 2, v[17:18]
	v_mov_b32_e32 v20, s3
	v_add_co_u32_e32 v17, vcc, s2, v17
	v_addc_co_u32_e32 v18, vcc, v20, v18, vcc
	global_store_dword v[17:18], v19, off
.LBB94_183:
	s_or_b64 exec, exec, s[4:5]
	ds_bpermute_b32 v17, v1, v125
	ds_bpermute_b32 v18, v1, v124
	s_waitcnt lgkmcnt(1)
	v_add_f32_e32 v17, v125, v17
	s_waitcnt lgkmcnt(0)
	v_add_f32_e32 v18, v124, v18
	ds_bpermute_b32 v19, v2, v17
	ds_bpermute_b32 v20, v2, v18
	s_waitcnt lgkmcnt(1)
	v_add_f32_e32 v17, v17, v19
	s_waitcnt lgkmcnt(0)
	v_add_f32_e32 v18, v18, v20
	ds_bpermute_b32 v19, v3, v17
	ds_bpermute_b32 v20, v3, v18
	s_waitcnt lgkmcnt(1)
	v_add_f32_e32 v17, v17, v19
	s_waitcnt lgkmcnt(0)
	v_add_f32_e32 v18, v18, v20
	ds_bpermute_b32 v19, v4, v17
	ds_bpermute_b32 v20, v4, v18
	s_waitcnt lgkmcnt(1)
	v_add_f32_e32 v17, v17, v19
	s_waitcnt lgkmcnt(0)
	v_add_f32_e32 v18, v18, v20
	ds_bpermute_b32 v19, v5, v17
	ds_bpermute_b32 v20, v5, v18
	s_waitcnt lgkmcnt(1)
	v_add_f32_e32 v17, v17, v19
	s_waitcnt lgkmcnt(0)
	v_add_f32_e32 v19, v18, v20
	ds_bpermute_b32 v18, v8, v17
	ds_bpermute_b32 v20, v8, v19
	s_waitcnt lgkmcnt(1)
	v_add_f32_e32 v18, v17, v18
	s_waitcnt lgkmcnt(0)
	v_add_f32_e32 v17, v19, v20
	s_and_saveexec_b64 s[4:5], s[0:1]
	s_cbranch_execz .LBB94_185
; %bb.184:
	v_add_u32_e32 v21, 10, v0
	v_cmp_eq_u32_e32 vcc, 1, v21
	v_cndmask_b32_e32 v19, v6, v7, vcc
	v_cmp_eq_u32_e32 vcc, 2, v21
	v_cndmask_b32_e32 v19, v19, v10, vcc
	;; [unrolled: 2-line block ×12, first 2 shown]
	v_mad_u64_u32 v[19:20], s[6:7], s14, 5, v[0:1]
	v_mov_b32_e32 v20, 0
	v_cmp_eq_u32_e32 vcc, 13, v21
	v_lshlrev_b64 v[19:20], 2, v[19:20]
	v_cndmask_b32_e32 v21, v22, v122, vcc
	v_mov_b32_e32 v22, s3
	v_add_co_u32_e32 v19, vcc, s2, v19
	v_addc_co_u32_e32 v20, vcc, v22, v20, vcc
	global_store_dword v[19:20], v21, off
.LBB94_185:
	s_or_b64 exec, exec, s[4:5]
	ds_bpermute_b32 v19, v1, v123
	ds_bpermute_b32 v1, v1, v122
	s_waitcnt lgkmcnt(1)
	v_add_f32_e32 v19, v123, v19
	s_waitcnt lgkmcnt(0)
	v_add_f32_e32 v1, v122, v1
	ds_bpermute_b32 v20, v2, v19
	ds_bpermute_b32 v2, v2, v1
	s_waitcnt lgkmcnt(1)
	v_add_f32_e32 v19, v19, v20
	s_waitcnt lgkmcnt(0)
	v_add_f32_e32 v1, v1, v2
	;; [unrolled: 6-line block ×5, first 2 shown]
	ds_bpermute_b32 v3, v8, v1
	ds_bpermute_b32 v4, v8, v2
	s_and_b64 exec, exec, s[0:1]
	s_cbranch_execz .LBB94_187
; %bb.186:
	s_waitcnt lgkmcnt(1)
	v_add_f32_e32 v1, v1, v3
	v_add_u32_e32 v3, 12, v0
	v_cmp_eq_u32_e32 vcc, 1, v3
	s_waitcnt lgkmcnt(0)
	v_add_f32_e32 v2, v2, v4
	v_cndmask_b32_e32 v4, v6, v7, vcc
	v_cmp_eq_u32_e32 vcc, 2, v3
	v_cndmask_b32_e32 v4, v4, v10, vcc
	v_cmp_eq_u32_e32 vcc, 3, v3
	;; [unrolled: 2-line block ×12, first 2 shown]
	s_mul_i32 s0, s14, 6
	v_cndmask_b32_e32 v2, v1, v2, vcc
	v_or_b32_e32 v0, s0, v0
	v_mov_b32_e32 v1, 0
	v_lshlrev_b64 v[0:1], 2, v[0:1]
	v_mov_b32_e32 v3, s3
	v_add_co_u32_e32 v0, vcc, s2, v0
	v_addc_co_u32_e32 v1, vcc, v3, v1, vcc
	global_store_dword v[0:1], v2, off
.LBB94_187:
	s_endpgm
	.section	.rodata,"a",@progbits
	.p2align	6, 0x0
	.amdhsa_kernel _ZL13mul_mat_vec_qIL9ggml_type40ELi7ELb0ELb0EEvPKvS2_PKi31ggml_cuda_mm_fusion_args_devicePfj15HIP_vector_typeIjLj3EEjjjS8_jjjS8_jjjj
		.amdhsa_group_segment_fixed_size 0
		.amdhsa_private_segment_fixed_size 0
		.amdhsa_kernarg_size 144
		.amdhsa_user_sgpr_count 6
		.amdhsa_user_sgpr_private_segment_buffer 1
		.amdhsa_user_sgpr_dispatch_ptr 0
		.amdhsa_user_sgpr_queue_ptr 0
		.amdhsa_user_sgpr_kernarg_segment_ptr 1
		.amdhsa_user_sgpr_dispatch_id 0
		.amdhsa_user_sgpr_flat_scratch_init 0
		.amdhsa_user_sgpr_private_segment_size 0
		.amdhsa_uses_dynamic_stack 0
		.amdhsa_system_sgpr_private_segment_wavefront_offset 0
		.amdhsa_system_sgpr_workgroup_id_x 1
		.amdhsa_system_sgpr_workgroup_id_y 1
		.amdhsa_system_sgpr_workgroup_id_z 1
		.amdhsa_system_sgpr_workgroup_info 0
		.amdhsa_system_vgpr_workitem_id 1
		.amdhsa_next_free_vgpr 178
		.amdhsa_next_free_sgpr 36
		.amdhsa_reserve_vcc 1
		.amdhsa_reserve_flat_scratch 0
		.amdhsa_float_round_mode_32 0
		.amdhsa_float_round_mode_16_64 0
		.amdhsa_float_denorm_mode_32 3
		.amdhsa_float_denorm_mode_16_64 3
		.amdhsa_dx10_clamp 1
		.amdhsa_ieee_mode 1
		.amdhsa_fp16_overflow 0
		.amdhsa_exception_fp_ieee_invalid_op 0
		.amdhsa_exception_fp_denorm_src 0
		.amdhsa_exception_fp_ieee_div_zero 0
		.amdhsa_exception_fp_ieee_overflow 0
		.amdhsa_exception_fp_ieee_underflow 0
		.amdhsa_exception_fp_ieee_inexact 0
		.amdhsa_exception_int_div_zero 0
	.end_amdhsa_kernel
	.section	.text._ZL13mul_mat_vec_qIL9ggml_type40ELi7ELb0ELb0EEvPKvS2_PKi31ggml_cuda_mm_fusion_args_devicePfj15HIP_vector_typeIjLj3EEjjjS8_jjjS8_jjjj,"axG",@progbits,_ZL13mul_mat_vec_qIL9ggml_type40ELi7ELb0ELb0EEvPKvS2_PKi31ggml_cuda_mm_fusion_args_devicePfj15HIP_vector_typeIjLj3EEjjjS8_jjjS8_jjjj,comdat
.Lfunc_end94:
	.size	_ZL13mul_mat_vec_qIL9ggml_type40ELi7ELb0ELb0EEvPKvS2_PKi31ggml_cuda_mm_fusion_args_devicePfj15HIP_vector_typeIjLj3EEjjjS8_jjjS8_jjjj, .Lfunc_end94-_ZL13mul_mat_vec_qIL9ggml_type40ELi7ELb0ELb0EEvPKvS2_PKi31ggml_cuda_mm_fusion_args_devicePfj15HIP_vector_typeIjLj3EEjjjS8_jjjS8_jjjj
                                        ; -- End function
	.set _ZL13mul_mat_vec_qIL9ggml_type40ELi7ELb0ELb0EEvPKvS2_PKi31ggml_cuda_mm_fusion_args_devicePfj15HIP_vector_typeIjLj3EEjjjS8_jjjS8_jjjj.num_vgpr, 178
	.set _ZL13mul_mat_vec_qIL9ggml_type40ELi7ELb0ELb0EEvPKvS2_PKi31ggml_cuda_mm_fusion_args_devicePfj15HIP_vector_typeIjLj3EEjjjS8_jjjS8_jjjj.num_agpr, 0
	.set _ZL13mul_mat_vec_qIL9ggml_type40ELi7ELb0ELb0EEvPKvS2_PKi31ggml_cuda_mm_fusion_args_devicePfj15HIP_vector_typeIjLj3EEjjjS8_jjjS8_jjjj.numbered_sgpr, 36
	.set _ZL13mul_mat_vec_qIL9ggml_type40ELi7ELb0ELb0EEvPKvS2_PKi31ggml_cuda_mm_fusion_args_devicePfj15HIP_vector_typeIjLj3EEjjjS8_jjjS8_jjjj.num_named_barrier, 0
	.set _ZL13mul_mat_vec_qIL9ggml_type40ELi7ELb0ELb0EEvPKvS2_PKi31ggml_cuda_mm_fusion_args_devicePfj15HIP_vector_typeIjLj3EEjjjS8_jjjS8_jjjj.private_seg_size, 0
	.set _ZL13mul_mat_vec_qIL9ggml_type40ELi7ELb0ELb0EEvPKvS2_PKi31ggml_cuda_mm_fusion_args_devicePfj15HIP_vector_typeIjLj3EEjjjS8_jjjS8_jjjj.uses_vcc, 1
	.set _ZL13mul_mat_vec_qIL9ggml_type40ELi7ELb0ELb0EEvPKvS2_PKi31ggml_cuda_mm_fusion_args_devicePfj15HIP_vector_typeIjLj3EEjjjS8_jjjS8_jjjj.uses_flat_scratch, 0
	.set _ZL13mul_mat_vec_qIL9ggml_type40ELi7ELb0ELb0EEvPKvS2_PKi31ggml_cuda_mm_fusion_args_devicePfj15HIP_vector_typeIjLj3EEjjjS8_jjjS8_jjjj.has_dyn_sized_stack, 0
	.set _ZL13mul_mat_vec_qIL9ggml_type40ELi7ELb0ELb0EEvPKvS2_PKi31ggml_cuda_mm_fusion_args_devicePfj15HIP_vector_typeIjLj3EEjjjS8_jjjS8_jjjj.has_recursion, 0
	.set _ZL13mul_mat_vec_qIL9ggml_type40ELi7ELb0ELb0EEvPKvS2_PKi31ggml_cuda_mm_fusion_args_devicePfj15HIP_vector_typeIjLj3EEjjjS8_jjjS8_jjjj.has_indirect_call, 0
	.section	.AMDGPU.csdata,"",@progbits
; Kernel info:
; codeLenInByte = 16068
; TotalNumSgprs: 40
; NumVgprs: 178
; ScratchSize: 0
; MemoryBound: 0
; FloatMode: 240
; IeeeMode: 1
; LDSByteSize: 0 bytes/workgroup (compile time only)
; SGPRBlocks: 4
; VGPRBlocks: 44
; NumSGPRsForWavesPerEU: 40
; NumVGPRsForWavesPerEU: 178
; Occupancy: 1
; WaveLimiterHint : 0
; COMPUTE_PGM_RSRC2:SCRATCH_EN: 0
; COMPUTE_PGM_RSRC2:USER_SGPR: 6
; COMPUTE_PGM_RSRC2:TRAP_HANDLER: 0
; COMPUTE_PGM_RSRC2:TGID_X_EN: 1
; COMPUTE_PGM_RSRC2:TGID_Y_EN: 1
; COMPUTE_PGM_RSRC2:TGID_Z_EN: 1
; COMPUTE_PGM_RSRC2:TIDIG_COMP_CNT: 1
	.section	.text._ZL13mul_mat_vec_qIL9ggml_type40ELi8ELb0ELb0EEvPKvS2_PKi31ggml_cuda_mm_fusion_args_devicePfj15HIP_vector_typeIjLj3EEjjjS8_jjjS8_jjjj,"axG",@progbits,_ZL13mul_mat_vec_qIL9ggml_type40ELi8ELb0ELb0EEvPKvS2_PKi31ggml_cuda_mm_fusion_args_devicePfj15HIP_vector_typeIjLj3EEjjjS8_jjjS8_jjjj,comdat
	.globl	_ZL13mul_mat_vec_qIL9ggml_type40ELi8ELb0ELb0EEvPKvS2_PKi31ggml_cuda_mm_fusion_args_devicePfj15HIP_vector_typeIjLj3EEjjjS8_jjjS8_jjjj ; -- Begin function _ZL13mul_mat_vec_qIL9ggml_type40ELi8ELb0ELb0EEvPKvS2_PKi31ggml_cuda_mm_fusion_args_devicePfj15HIP_vector_typeIjLj3EEjjjS8_jjjS8_jjjj
	.p2align	8
	.type	_ZL13mul_mat_vec_qIL9ggml_type40ELi8ELb0ELb0EEvPKvS2_PKi31ggml_cuda_mm_fusion_args_devicePfj15HIP_vector_typeIjLj3EEjjjS8_jjjS8_jjjj,@function
_ZL13mul_mat_vec_qIL9ggml_type40ELi8ELb0ELb0EEvPKvS2_PKi31ggml_cuda_mm_fusion_args_devicePfj15HIP_vector_typeIjLj3EEjjjS8_jjjS8_jjjj: ; @_ZL13mul_mat_vec_qIL9ggml_type40ELi8ELb0ELb0EEvPKvS2_PKi31ggml_cuda_mm_fusion_args_devicePfj15HIP_vector_typeIjLj3EEjjjS8_jjjS8_jjjj
; %bb.0:
	s_load_dword s9, s[4:5], 0x40
	s_load_dwordx4 s[12:15], s[4:5], 0x50
	s_load_dword s25, s[4:5], 0x60
	s_load_dwordx4 s[0:3], s[4:5], 0x68
	;; [unrolled: 2-line block ×3, first 2 shown]
	v_lshl_or_b32 v2, v1, 6, v0
	s_waitcnt lgkmcnt(0)
	s_lshr_b32 s9, s9, 6
	v_lshrrev_b16_e32 v152, 1, v2
	v_mov_b32_e32 v138, 0
	s_lshl_b32 s6, s6, 1
	v_cmp_gt_u32_e32 vcc, s9, v152
	v_mov_b32_e32 v139, v138
	v_mov_b32_e32 v140, v138
	;; [unrolled: 1-line block ×15, first 2 shown]
	s_and_saveexec_b64 s[10:11], vcc
	s_cbranch_execz .LBB95_196
; %bb.1:
	s_load_dwordx4 s[20:23], s[4:5], 0x0
	s_mul_i32 s17, s17, s8
	s_mul_i32 s26, s17, 36
	s_mul_i32 s1, s1, s7
	s_mul_hi_u32 s19, s17, 36
	s_waitcnt lgkmcnt(0)
	s_add_u32 s28, s22, s26
	s_addc_u32 s19, s23, s19
	s_mul_i32 s26, s1, 36
	s_mul_hi_u32 s27, s1, 36
	s_add_u32 s28, s28, s26
	s_mul_hi_u32 s1, s15, s7
	s_addc_u32 s29, s19, s27
	s_add_i32 s1, s7, s1
	s_lshr_b32 s1, s1, s25
	s_mul_i32 s1, s1, s0
	s_mul_hi_u32 s0, s3, s8
	s_add_i32 s0, s8, s0
	s_lshr_b32 s0, s0, s24
	v_lshlrev_b32_e32 v3, 2, v0
	s_mul_i32 s0, s0, s16
	v_and_b32_e32 v155, 4, v3
	v_and_b32_e32 v4, 1, v0
	s_add_i32 s16, s0, s1
	v_or_b32_e32 v3, 2, v155
	v_mad_u64_u32 v[66:67], s[0:1], v4, 36, s[28:29]
	v_lshrrev_b32_e32 v157, 1, v3
	s_mul_i32 s0, s6, s12
	v_lshrrev_b32_e32 v5, 1, v2
	v_mov_b32_e32 v2, s26
	s_add_i32 s3, s16, s0
	s_movk_i32 s0, 0x48
	v_mov_b32_e32 v3, s27
	v_mad_u64_u32 v[2:3], s[0:1], v5, s0, v[2:3]
	s_add_i32 s19, s6, 1
	v_mov_b32_e32 v138, 0
	v_mad_u64_u32 v[2:3], s[0:1], s17, 36, v[2:3]
	s_mul_i32 s0, s12, s19
	s_add_i32 s12, s16, s0
	v_mad_u64_u32 v[2:3], s[0:1], v4, 36, v[2:3]
	v_mov_b32_e32 v4, s23
	v_lshrrev_b32_e32 v156, 1, v155
	v_add_co_u32_e32 v68, vcc, s22, v2
	s_lshl_b32 s15, s13, 1
	v_lshlrev_b32_e32 v158, 1, v152
	v_addc_co_u32_e32 v69, vcc, v4, v3, vcc
	s_mul_i32 s19, s13, 3
	s_lshl_b32 s24, s13, 2
	s_mul_i32 s25, s13, 5
	s_mul_i32 s26, s13, 6
	;; [unrolled: 1-line block ×3, first 2 shown]
	s_mov_b64 s[16:17], 0
	s_movk_i32 s28, 0x7e
	s_movk_i32 s29, 0x7f
	s_mov_b32 s30, 0x3e000000
	s_mov_b32 s31, 0xf4f8fafc
	;; [unrolled: 1-line block ×3, first 2 shown]
	v_mov_b32_e32 v159, 0xfdfeff00
	v_mov_b32_e32 v160, 0x3020100
	;; [unrolled: 1-line block ×17, first 2 shown]
	s_branch .LBB95_3
.LBB95_2:                               ;   in Loop: Header=BB95_3 Depth=1
	s_or_b64 exec, exec, s[22:23]
	v_ashrrev_i32_e32 v108, 4, v103
	v_and_b32_e32 v109, 0x7070707, v108
	v_lshrrev_b32_e32 v108, 1, v108
	v_and_b32_e32 v108, 0x4040404, v108
	v_perm_b32 v199, s31, v159, v109
	v_perm_b32 v109, s33, v160, v109
	v_or_b32_e32 v108, 0x3020100, v108
	v_perm_b32 v108, v199, v109, v108
	v_and_b32_e32 v109, 0x7070707, v103
	v_lshrrev_b32_e32 v103, 1, v103
	v_and_b32_e32 v103, 0x4040404, v103
	v_perm_b32 v199, s31, v159, v109
	v_perm_b32 v109, s33, v160, v109
	v_or_b32_e32 v103, 0x3020100, v103
	v_perm_b32 v103, v199, v109, v103
	v_ashrrev_i32_e32 v109, 4, v102
	v_and_b32_e32 v199, 0x7070707, v109
	v_lshrrev_b32_e32 v109, 1, v109
	v_and_b32_e32 v109, 0x4040404, v109
	v_perm_b32 v200, s31, v159, v199
	v_perm_b32 v199, s33, v160, v199
	v_or_b32_e32 v109, 0x3020100, v109
	v_perm_b32 v109, v200, v199, v109
	v_and_b32_e32 v199, 0x7070707, v102
	v_lshrrev_b32_e32 v102, 1, v102
	v_and_b32_e32 v102, 0x4040404, v102
	v_perm_b32 v200, s31, v159, v199
	v_perm_b32 v199, s33, v160, v199
	v_or_b32_e32 v102, 0x3020100, v102
	v_perm_b32 v102, v200, v199, v102
	v_dot4_i32_i8 v102, v102, v43, 0
	v_dot4_i32_i8 v102, v109, v45, v102
	;; [unrolled: 1-line block ×3, first 2 shown]
	v_ashrrev_i32_e32 v103, 4, v137
	v_and_b32_e32 v109, 0x7070707, v103
	v_lshrrev_b32_e32 v103, 1, v103
	v_and_b32_e32 v103, 0x4040404, v103
	v_perm_b32 v199, s31, v159, v109
	v_perm_b32 v109, s33, v160, v109
	v_or_b32_e32 v103, 0x3020100, v103
	v_perm_b32 v103, v199, v109, v103
	v_and_b32_e32 v109, 0x7070707, v137
	v_lshrrev_b32_e32 v137, 1, v137
	v_and_b32_e32 v137, 0x4040404, v137
	v_perm_b32 v199, s31, v159, v109
	v_perm_b32 v109, s33, v160, v109
	v_or_b32_e32 v137, 0x3020100, v137
	v_perm_b32 v109, v199, v109, v137
	v_ashrrev_i32_e32 v137, 4, v136
	v_and_b32_e32 v199, 0x7070707, v137
	v_lshrrev_b32_e32 v137, 1, v137
	v_and_b32_e32 v137, 0x4040404, v137
	v_perm_b32 v200, s31, v159, v199
	v_perm_b32 v199, s33, v160, v199
	v_or_b32_e32 v137, 0x3020100, v137
	v_perm_b32 v137, v200, v199, v137
	v_and_b32_e32 v199, 0x7070707, v136
	v_lshrrev_b32_e32 v136, 1, v136
	v_and_b32_e32 v136, 0x4040404, v136
	v_perm_b32 v200, s31, v159, v199
	v_perm_b32 v199, s33, v160, v199
	v_or_b32_e32 v136, 0x3020100, v136
	v_perm_b32 v136, v200, v199, v136
	v_dot4_i32_i8 v136, v136, v47, 0
	v_dot4_i32_i8 v136, v137, v49, v136
	;; [unrolled: 1-line block ×3, first 2 shown]
	v_cvt_f32_f16_e32 v46, v46
	v_dot4_i32_i8 v103, v103, v42, v109
	v_cvt_f32_i32_e32 v103, v103
	v_dot4_i32_i8 v102, v108, v182, v102
	v_cvt_f32_i32_e32 v102, v102
	v_mul_f32_e32 v108, v197, v46
	v_fma_f32 v103, v108, v103, 0
	v_mul_f32_e32 v108, v198, v46
	v_fmac_f32_e32 v103, v108, v102
	v_ashrrev_i32_e32 v102, 4, v135
	v_add_f32_e32 v139, v139, v103
	v_and_b32_e32 v103, 0x7070707, v102
	v_lshrrev_b32_e32 v102, 1, v102
	v_and_b32_e32 v102, 0x4040404, v102
	v_perm_b32 v108, s31, v159, v103
	v_perm_b32 v103, s33, v160, v103
	v_or_b32_e32 v102, 0x3020100, v102
	v_lshrrev_b32_e32 v109, 1, v135
	v_perm_b32 v102, v108, v103, v102
	v_and_b32_e32 v103, 0x7070707, v135
	v_and_b32_e32 v109, 0x4040404, v109
	v_perm_b32 v108, s31, v159, v103
	v_perm_b32 v103, s33, v160, v103
	v_or_b32_e32 v109, 0x3020100, v109
	v_perm_b32 v103, v108, v103, v109
	v_ashrrev_i32_e32 v108, 4, v134
	v_and_b32_e32 v109, 0x7070707, v108
	v_lshrrev_b32_e32 v108, 1, v108
	v_and_b32_e32 v108, 0x4040404, v108
	v_perm_b32 v135, s31, v159, v109
	v_perm_b32 v109, s33, v160, v109
	v_or_b32_e32 v108, 0x3020100, v108
	v_perm_b32 v108, v135, v109, v108
	v_and_b32_e32 v109, 0x7070707, v134
	v_lshrrev_b32_e32 v134, 1, v134
	v_and_b32_e32 v134, 0x4040404, v134
	v_perm_b32 v135, s31, v159, v109
	v_perm_b32 v109, s33, v160, v109
	v_or_b32_e32 v134, 0x3020100, v134
	v_perm_b32 v109, v135, v109, v134
	v_dot4_i32_i8 v109, v109, v59, 0
	v_dot4_i32_i8 v108, v108, v61, v109
	;; [unrolled: 1-line block ×3, first 2 shown]
	v_ashrrev_i32_e32 v108, 4, v133
	v_and_b32_e32 v109, 0x7070707, v108
	v_lshrrev_b32_e32 v108, 1, v108
	v_and_b32_e32 v108, 0x4040404, v108
	v_perm_b32 v134, s31, v159, v109
	v_perm_b32 v109, s33, v160, v109
	v_or_b32_e32 v108, 0x3020100, v108
	v_perm_b32 v108, v134, v109, v108
	v_and_b32_e32 v109, 0x7070707, v133
	v_lshrrev_b32_e32 v133, 1, v133
	v_and_b32_e32 v133, 0x4040404, v133
	v_perm_b32 v134, s31, v159, v109
	v_perm_b32 v109, s33, v160, v109
	v_or_b32_e32 v133, 0x3020100, v133
	v_perm_b32 v109, v134, v109, v133
	v_ashrrev_i32_e32 v133, 4, v132
	v_and_b32_e32 v134, 0x7070707, v133
	v_lshrrev_b32_e32 v133, 1, v133
	v_and_b32_e32 v133, 0x4040404, v133
	v_perm_b32 v135, s31, v159, v134
	v_perm_b32 v134, s33, v160, v134
	v_or_b32_e32 v133, 0x3020100, v133
	v_perm_b32 v133, v135, v134, v133
	v_and_b32_e32 v134, 0x7070707, v132
	v_lshrrev_b32_e32 v132, 1, v132
	v_and_b32_e32 v132, 0x4040404, v132
	v_perm_b32 v135, s31, v159, v134
	v_perm_b32 v134, s33, v160, v134
	v_or_b32_e32 v132, 0x3020100, v132
	v_perm_b32 v132, v135, v134, v132
	v_dot4_i32_i8 v132, v132, v63, 0
	v_dot4_i32_i8 v132, v133, v65, v132
	;; [unrolled: 1-line block ×3, first 2 shown]
	v_cvt_f32_f16_e32 v62, v62
	v_dot4_i32_i8 v108, v108, v58, v109
	v_cvt_f32_i32_e32 v108, v108
	v_dot4_i32_i8 v102, v102, v192, v103
	v_cvt_f32_i32_e32 v102, v102
	v_mul_f32_e32 v103, v195, v62
	v_fma_f32 v103, v103, v108, 0
	v_mul_f32_e32 v108, v196, v62
	v_fmac_f32_e32 v103, v108, v102
	v_ashrrev_i32_e32 v102, 4, v131
	v_add_f32_e32 v140, v140, v103
	v_and_b32_e32 v103, 0x7070707, v102
	v_lshrrev_b32_e32 v102, 1, v102
	v_and_b32_e32 v102, 0x4040404, v102
	v_perm_b32 v108, s31, v159, v103
	v_perm_b32 v103, s33, v160, v103
	v_or_b32_e32 v102, 0x3020100, v102
	v_lshrrev_b32_e32 v109, 1, v131
	v_perm_b32 v102, v108, v103, v102
	v_and_b32_e32 v103, 0x7070707, v131
	v_and_b32_e32 v109, 0x4040404, v109
	v_perm_b32 v108, s31, v159, v103
	v_perm_b32 v103, s33, v160, v103
	v_or_b32_e32 v109, 0x3020100, v109
	v_perm_b32 v103, v108, v103, v109
	v_ashrrev_i32_e32 v108, 4, v130
	v_and_b32_e32 v109, 0x7070707, v108
	v_lshrrev_b32_e32 v108, 1, v108
	v_and_b32_e32 v108, 0x4040404, v108
	v_perm_b32 v131, s31, v159, v109
	v_perm_b32 v109, s33, v160, v109
	v_or_b32_e32 v108, 0x3020100, v108
	v_perm_b32 v108, v131, v109, v108
	v_and_b32_e32 v109, 0x7070707, v130
	v_lshrrev_b32_e32 v130, 1, v130
	v_and_b32_e32 v130, 0x4040404, v130
	v_perm_b32 v131, s31, v159, v109
	v_perm_b32 v109, s33, v160, v109
	v_or_b32_e32 v130, 0x3020100, v130
	v_perm_b32 v109, v131, v109, v130
	v_dot4_i32_i8 v59, v109, v59, 0
	v_dot4_i32_i8 v59, v108, v61, v59
	;; [unrolled: 1-line block ×3, first 2 shown]
	v_ashrrev_i32_e32 v60, 4, v129
	v_and_b32_e32 v61, 0x7070707, v60
	v_lshrrev_b32_e32 v60, 1, v60
	v_and_b32_e32 v60, 0x4040404, v60
	v_perm_b32 v103, s31, v159, v61
	v_perm_b32 v61, s33, v160, v61
	v_or_b32_e32 v60, 0x3020100, v60
	v_lshrrev_b32_e32 v108, 1, v129
	v_perm_b32 v60, v103, v61, v60
	v_and_b32_e32 v61, 0x7070707, v129
	v_and_b32_e32 v108, 0x4040404, v108
	v_perm_b32 v103, s31, v159, v61
	v_perm_b32 v61, s33, v160, v61
	v_or_b32_e32 v108, 0x3020100, v108
	v_perm_b32 v61, v103, v61, v108
	v_ashrrev_i32_e32 v103, 4, v128
	v_and_b32_e32 v108, 0x7070707, v103
	v_lshrrev_b32_e32 v103, 1, v103
	v_and_b32_e32 v103, 0x4040404, v103
	v_perm_b32 v109, s31, v159, v108
	v_perm_b32 v108, s33, v160, v108
	v_or_b32_e32 v103, 0x3020100, v103
	v_perm_b32 v103, v109, v108, v103
	v_and_b32_e32 v108, 0x7070707, v128
	v_lshrrev_b32_e32 v128, 1, v128
	v_and_b32_e32 v128, 0x4040404, v128
	v_perm_b32 v109, s31, v159, v108
	v_perm_b32 v108, s33, v160, v108
	v_or_b32_e32 v128, 0x3020100, v128
	v_perm_b32 v108, v109, v108, v128
	v_dot4_i32_i8 v63, v108, v63, 0
	v_dot4_i32_i8 v63, v103, v65, v63
	;; [unrolled: 1-line block ×4, first 2 shown]
	v_cvt_f32_i32_e32 v58, v58
	v_dot4_i32_i8 v59, v102, v192, v59
	v_cvt_f32_i32_e32 v59, v59
	v_mul_f32_e32 v60, v193, v62
	v_fma_f32 v58, v60, v58, 0
	v_mul_f32_e32 v60, v194, v62
	v_fmac_f32_e32 v58, v60, v59
	v_add_f32_e32 v141, v141, v58
	v_ashrrev_i32_e32 v58, 4, v127
	v_and_b32_e32 v59, 0x7070707, v58
	v_lshrrev_b32_e32 v58, 1, v58
	v_and_b32_e32 v58, 0x4040404, v58
	v_perm_b32 v60, s31, v159, v59
	v_perm_b32 v59, s33, v160, v59
	v_or_b32_e32 v58, 0x3020100, v58
	v_lshrrev_b32_e32 v61, 1, v127
	v_perm_b32 v58, v60, v59, v58
	v_and_b32_e32 v59, 0x7070707, v127
	v_and_b32_e32 v61, 0x4040404, v61
	v_perm_b32 v60, s31, v159, v59
	v_perm_b32 v59, s33, v160, v59
	v_or_b32_e32 v61, 0x3020100, v61
	v_perm_b32 v59, v60, v59, v61
	v_ashrrev_i32_e32 v60, 4, v126
	v_and_b32_e32 v61, 0x7070707, v60
	v_lshrrev_b32_e32 v60, 1, v60
	v_and_b32_e32 v60, 0x4040404, v60
	v_perm_b32 v62, s31, v159, v61
	v_perm_b32 v61, s33, v160, v61
	v_or_b32_e32 v60, 0x3020100, v60
	v_lshrrev_b32_e32 v63, 1, v126
	v_perm_b32 v60, v62, v61, v60
	v_and_b32_e32 v61, 0x7070707, v126
	v_and_b32_e32 v63, 0x4040404, v63
	v_perm_b32 v62, s31, v159, v61
	v_perm_b32 v61, s33, v160, v61
	v_or_b32_e32 v63, 0x3020100, v63
	v_perm_b32 v61, v62, v61, v63
	v_dot4_i32_i8 v61, v61, v51, 0
	v_dot4_i32_i8 v60, v60, v53, v61
	;; [unrolled: 1-line block ×3, first 2 shown]
	v_ashrrev_i32_e32 v60, 4, v125
	v_and_b32_e32 v61, 0x7070707, v60
	v_lshrrev_b32_e32 v60, 1, v60
	v_and_b32_e32 v60, 0x4040404, v60
	v_perm_b32 v62, s31, v159, v61
	v_perm_b32 v61, s33, v160, v61
	v_or_b32_e32 v60, 0x3020100, v60
	v_lshrrev_b32_e32 v63, 1, v125
	v_perm_b32 v60, v62, v61, v60
	v_and_b32_e32 v61, 0x7070707, v125
	v_and_b32_e32 v63, 0x4040404, v63
	v_perm_b32 v62, s31, v159, v61
	v_perm_b32 v61, s33, v160, v61
	v_or_b32_e32 v63, 0x3020100, v63
	v_perm_b32 v61, v62, v61, v63
	v_ashrrev_i32_e32 v62, 4, v124
	v_and_b32_e32 v63, 0x7070707, v62
	v_lshrrev_b32_e32 v62, 1, v62
	v_and_b32_e32 v62, 0x4040404, v62
	v_perm_b32 v64, s31, v159, v63
	v_perm_b32 v63, s33, v160, v63
	v_or_b32_e32 v62, 0x3020100, v62
	v_lshrrev_b32_e32 v65, 1, v124
	v_perm_b32 v62, v64, v63, v62
	v_and_b32_e32 v63, 0x7070707, v124
	v_and_b32_e32 v65, 0x4040404, v65
	v_perm_b32 v64, s31, v159, v63
	v_perm_b32 v63, s33, v160, v63
	v_or_b32_e32 v65, 0x3020100, v65
	v_perm_b32 v63, v64, v63, v65
	v_dot4_i32_i8 v63, v63, v55, 0
	v_dot4_i32_i8 v62, v62, v57, v63
	;; [unrolled: 1-line block ×3, first 2 shown]
	v_cvt_f32_f16_e32 v54, v54
	v_dot4_i32_i8 v60, v60, v50, v61
	v_cvt_f32_i32_e32 v60, v60
	v_dot4_i32_i8 v58, v58, v187, v59
	v_cvt_f32_i32_e32 v58, v58
	v_mul_f32_e32 v59, v190, v54
	v_fma_f32 v59, v59, v60, 0
	v_mul_f32_e32 v60, v191, v54
	v_fmac_f32_e32 v59, v60, v58
	v_ashrrev_i32_e32 v58, 4, v123
	v_add_f32_e32 v142, v142, v59
	v_and_b32_e32 v59, 0x7070707, v58
	v_lshrrev_b32_e32 v58, 1, v58
	v_and_b32_e32 v58, 0x4040404, v58
	v_perm_b32 v60, s31, v159, v59
	v_perm_b32 v59, s33, v160, v59
	v_or_b32_e32 v58, 0x3020100, v58
	v_lshrrev_b32_e32 v61, 1, v123
	v_perm_b32 v58, v60, v59, v58
	v_and_b32_e32 v59, 0x7070707, v123
	v_and_b32_e32 v61, 0x4040404, v61
	v_perm_b32 v60, s31, v159, v59
	v_perm_b32 v59, s33, v160, v59
	v_or_b32_e32 v61, 0x3020100, v61
	v_perm_b32 v59, v60, v59, v61
	v_ashrrev_i32_e32 v60, 4, v122
	v_and_b32_e32 v61, 0x7070707, v60
	v_lshrrev_b32_e32 v60, 1, v60
	v_and_b32_e32 v60, 0x4040404, v60
	v_perm_b32 v62, s31, v159, v61
	v_perm_b32 v61, s33, v160, v61
	v_or_b32_e32 v60, 0x3020100, v60
	v_lshrrev_b32_e32 v63, 1, v122
	v_perm_b32 v60, v62, v61, v60
	v_and_b32_e32 v61, 0x7070707, v122
	v_and_b32_e32 v63, 0x4040404, v63
	v_perm_b32 v62, s31, v159, v61
	v_perm_b32 v61, s33, v160, v61
	v_or_b32_e32 v63, 0x3020100, v63
	v_perm_b32 v61, v62, v61, v63
	v_dot4_i32_i8 v51, v61, v51, 0
	v_dot4_i32_i8 v51, v60, v53, v51
	;; [unrolled: 1-line block ×3, first 2 shown]
	v_ashrrev_i32_e32 v52, 4, v121
	v_and_b32_e32 v53, 0x7070707, v52
	v_lshrrev_b32_e32 v52, 1, v52
	v_and_b32_e32 v52, 0x4040404, v52
	v_perm_b32 v59, s31, v159, v53
	v_perm_b32 v53, s33, v160, v53
	v_or_b32_e32 v52, 0x3020100, v52
	v_lshrrev_b32_e32 v60, 1, v121
	v_perm_b32 v52, v59, v53, v52
	v_and_b32_e32 v53, 0x7070707, v121
	v_and_b32_e32 v60, 0x4040404, v60
	v_perm_b32 v59, s31, v159, v53
	v_perm_b32 v53, s33, v160, v53
	v_or_b32_e32 v60, 0x3020100, v60
	v_perm_b32 v53, v59, v53, v60
	v_ashrrev_i32_e32 v59, 4, v120
	v_and_b32_e32 v60, 0x7070707, v59
	v_lshrrev_b32_e32 v59, 1, v59
	v_and_b32_e32 v59, 0x4040404, v59
	v_perm_b32 v61, s31, v159, v60
	v_perm_b32 v60, s33, v160, v60
	v_or_b32_e32 v59, 0x3020100, v59
	v_lshrrev_b32_e32 v62, 1, v120
	v_perm_b32 v59, v61, v60, v59
	v_and_b32_e32 v60, 0x7070707, v120
	v_and_b32_e32 v62, 0x4040404, v62
	v_perm_b32 v61, s31, v159, v60
	v_perm_b32 v60, s33, v160, v60
	v_or_b32_e32 v62, 0x3020100, v62
	v_perm_b32 v60, v61, v60, v62
	v_dot4_i32_i8 v55, v60, v55, 0
	v_dot4_i32_i8 v55, v59, v57, v55
	;; [unrolled: 1-line block ×4, first 2 shown]
	v_cvt_f32_i32_e32 v50, v50
	v_dot4_i32_i8 v51, v58, v187, v51
	v_cvt_f32_i32_e32 v51, v51
	v_mul_f32_e32 v52, v188, v54
	v_fma_f32 v50, v52, v50, 0
	v_mul_f32_e32 v52, v189, v54
	v_fmac_f32_e32 v50, v52, v51
	v_add_f32_e32 v143, v143, v50
	v_ashrrev_i32_e32 v50, 4, v119
	v_and_b32_e32 v51, 0x7070707, v50
	v_lshrrev_b32_e32 v50, 1, v50
	v_and_b32_e32 v50, 0x4040404, v50
	v_perm_b32 v52, s31, v159, v51
	v_perm_b32 v51, s33, v160, v51
	v_or_b32_e32 v50, 0x3020100, v50
	v_lshrrev_b32_e32 v53, 1, v119
	v_perm_b32 v50, v52, v51, v50
	v_and_b32_e32 v51, 0x7070707, v119
	v_and_b32_e32 v53, 0x4040404, v53
	v_perm_b32 v52, s31, v159, v51
	v_perm_b32 v51, s33, v160, v51
	v_or_b32_e32 v53, 0x3020100, v53
	v_perm_b32 v51, v52, v51, v53
	v_ashrrev_i32_e32 v52, 4, v118
	v_and_b32_e32 v53, 0x7070707, v52
	v_lshrrev_b32_e32 v52, 1, v52
	v_and_b32_e32 v52, 0x4040404, v52
	v_perm_b32 v54, s31, v159, v53
	v_perm_b32 v53, s33, v160, v53
	v_or_b32_e32 v52, 0x3020100, v52
	v_lshrrev_b32_e32 v55, 1, v118
	v_perm_b32 v52, v54, v53, v52
	v_and_b32_e32 v53, 0x7070707, v118
	v_and_b32_e32 v55, 0x4040404, v55
	v_perm_b32 v54, s31, v159, v53
	v_perm_b32 v53, s33, v160, v53
	v_or_b32_e32 v55, 0x3020100, v55
	v_perm_b32 v53, v54, v53, v55
	v_dot4_i32_i8 v53, v53, v35, 0
	v_dot4_i32_i8 v52, v52, v37, v53
	;; [unrolled: 1-line block ×3, first 2 shown]
	v_ashrrev_i32_e32 v52, 4, v117
	v_and_b32_e32 v53, 0x7070707, v52
	v_lshrrev_b32_e32 v52, 1, v52
	v_and_b32_e32 v52, 0x4040404, v52
	v_perm_b32 v54, s31, v159, v53
	v_perm_b32 v53, s33, v160, v53
	v_or_b32_e32 v52, 0x3020100, v52
	v_lshrrev_b32_e32 v55, 1, v117
	v_perm_b32 v52, v54, v53, v52
	v_and_b32_e32 v53, 0x7070707, v117
	v_and_b32_e32 v55, 0x4040404, v55
	v_perm_b32 v54, s31, v159, v53
	v_perm_b32 v53, s33, v160, v53
	v_or_b32_e32 v55, 0x3020100, v55
	v_perm_b32 v53, v54, v53, v55
	v_ashrrev_i32_e32 v54, 4, v116
	v_and_b32_e32 v55, 0x7070707, v54
	v_lshrrev_b32_e32 v54, 1, v54
	v_and_b32_e32 v54, 0x4040404, v54
	v_perm_b32 v56, s31, v159, v55
	v_perm_b32 v55, s33, v160, v55
	v_or_b32_e32 v54, 0x3020100, v54
	v_lshrrev_b32_e32 v57, 1, v116
	v_perm_b32 v54, v56, v55, v54
	v_and_b32_e32 v55, 0x7070707, v116
	v_and_b32_e32 v57, 0x4040404, v57
	v_perm_b32 v56, s31, v159, v55
	v_perm_b32 v55, s33, v160, v55
	v_or_b32_e32 v57, 0x3020100, v57
	v_perm_b32 v55, v56, v55, v57
	v_dot4_i32_i8 v55, v55, v39, 0
	v_dot4_i32_i8 v54, v54, v41, v55
	;; [unrolled: 1-line block ×3, first 2 shown]
	v_cvt_f32_f16_e32 v38, v38
	v_dot4_i32_i8 v52, v52, v34, v53
	v_cvt_f32_i32_e32 v52, v52
	v_dot4_i32_i8 v50, v50, v181, v51
	v_cvt_f32_i32_e32 v50, v50
	v_mul_f32_e32 v51, v185, v38
	v_fma_f32 v51, v51, v52, 0
	v_mul_f32_e32 v52, v186, v38
	v_fmac_f32_e32 v51, v52, v50
	v_ashrrev_i32_e32 v50, 4, v115
	v_add_f32_e32 v144, v144, v51
	v_and_b32_e32 v51, 0x7070707, v50
	v_lshrrev_b32_e32 v50, 1, v50
	v_and_b32_e32 v50, 0x4040404, v50
	v_perm_b32 v52, s31, v159, v51
	v_perm_b32 v51, s33, v160, v51
	v_or_b32_e32 v50, 0x3020100, v50
	v_lshrrev_b32_e32 v53, 1, v115
	v_perm_b32 v50, v52, v51, v50
	v_and_b32_e32 v51, 0x7070707, v115
	v_and_b32_e32 v53, 0x4040404, v53
	v_perm_b32 v52, s31, v159, v51
	v_perm_b32 v51, s33, v160, v51
	v_or_b32_e32 v53, 0x3020100, v53
	v_perm_b32 v51, v52, v51, v53
	v_ashrrev_i32_e32 v52, 4, v114
	v_and_b32_e32 v53, 0x7070707, v52
	v_lshrrev_b32_e32 v52, 1, v52
	v_and_b32_e32 v52, 0x4040404, v52
	v_perm_b32 v54, s31, v159, v53
	v_perm_b32 v53, s33, v160, v53
	v_or_b32_e32 v52, 0x3020100, v52
	v_lshrrev_b32_e32 v55, 1, v114
	v_perm_b32 v52, v54, v53, v52
	v_and_b32_e32 v53, 0x7070707, v114
	v_and_b32_e32 v55, 0x4040404, v55
	v_perm_b32 v54, s31, v159, v53
	v_perm_b32 v53, s33, v160, v53
	v_or_b32_e32 v55, 0x3020100, v55
	v_perm_b32 v53, v54, v53, v55
	v_dot4_i32_i8 v35, v53, v35, 0
	v_dot4_i32_i8 v35, v52, v37, v35
	;; [unrolled: 1-line block ×3, first 2 shown]
	v_ashrrev_i32_e32 v36, 4, v113
	v_and_b32_e32 v37, 0x7070707, v36
	v_lshrrev_b32_e32 v36, 1, v36
	v_and_b32_e32 v36, 0x4040404, v36
	v_perm_b32 v51, s31, v159, v37
	v_perm_b32 v37, s33, v160, v37
	v_or_b32_e32 v36, 0x3020100, v36
	v_lshrrev_b32_e32 v52, 1, v113
	v_perm_b32 v36, v51, v37, v36
	v_and_b32_e32 v37, 0x7070707, v113
	v_and_b32_e32 v52, 0x4040404, v52
	v_perm_b32 v51, s31, v159, v37
	v_perm_b32 v37, s33, v160, v37
	v_or_b32_e32 v52, 0x3020100, v52
	v_perm_b32 v37, v51, v37, v52
	v_ashrrev_i32_e32 v51, 4, v112
	v_and_b32_e32 v52, 0x7070707, v51
	v_lshrrev_b32_e32 v51, 1, v51
	v_and_b32_e32 v51, 0x4040404, v51
	v_perm_b32 v53, s31, v159, v52
	v_perm_b32 v52, s33, v160, v52
	v_or_b32_e32 v51, 0x3020100, v51
	v_lshrrev_b32_e32 v54, 1, v112
	v_perm_b32 v51, v53, v52, v51
	v_and_b32_e32 v52, 0x7070707, v112
	v_and_b32_e32 v54, 0x4040404, v54
	v_perm_b32 v53, s31, v159, v52
	v_perm_b32 v52, s33, v160, v52
	v_or_b32_e32 v54, 0x3020100, v54
	v_perm_b32 v52, v53, v52, v54
	v_dot4_i32_i8 v39, v52, v39, 0
	v_dot4_i32_i8 v39, v51, v41, v39
	;; [unrolled: 1-line block ×4, first 2 shown]
	v_cvt_f32_i32_e32 v34, v34
	v_dot4_i32_i8 v35, v50, v181, v35
	v_cvt_f32_i32_e32 v35, v35
	v_mul_f32_e32 v36, v183, v38
	v_fma_f32 v34, v36, v34, 0
	v_mul_f32_e32 v36, v184, v38
	v_fmac_f32_e32 v34, v36, v35
	v_add_f32_e32 v145, v145, v34
	v_ashrrev_i32_e32 v34, 4, v111
	v_and_b32_e32 v35, 0x7070707, v34
	v_lshrrev_b32_e32 v34, 1, v34
	v_and_b32_e32 v34, 0x4040404, v34
	v_perm_b32 v36, s31, v159, v35
	v_perm_b32 v35, s33, v160, v35
	v_or_b32_e32 v34, 0x3020100, v34
	v_lshrrev_b32_e32 v37, 1, v111
	v_perm_b32 v34, v36, v35, v34
	v_and_b32_e32 v35, 0x7070707, v111
	v_and_b32_e32 v37, 0x4040404, v37
	v_perm_b32 v36, s31, v159, v35
	v_perm_b32 v35, s33, v160, v35
	v_or_b32_e32 v37, 0x3020100, v37
	v_perm_b32 v35, v36, v35, v37
	v_ashrrev_i32_e32 v36, 4, v110
	v_and_b32_e32 v37, 0x7070707, v36
	v_lshrrev_b32_e32 v36, 1, v36
	v_and_b32_e32 v36, 0x4040404, v36
	v_perm_b32 v38, s31, v159, v37
	v_perm_b32 v37, s33, v160, v37
	v_or_b32_e32 v36, 0x3020100, v36
	v_lshrrev_b32_e32 v39, 1, v110
	v_perm_b32 v36, v38, v37, v36
	v_and_b32_e32 v37, 0x7070707, v110
	v_and_b32_e32 v39, 0x4040404, v39
	v_perm_b32 v38, s31, v159, v37
	v_perm_b32 v37, s33, v160, v37
	v_or_b32_e32 v39, 0x3020100, v39
	v_perm_b32 v37, v38, v37, v39
	v_dot4_i32_i8 v37, v37, v27, 0
	v_dot4_i32_i8 v36, v36, v29, v37
	v_dot4_i32_i8 v35, v35, v28, v36
	v_ashrrev_i32_e32 v36, 4, v107
	v_and_b32_e32 v37, 0x7070707, v36
	v_lshrrev_b32_e32 v36, 1, v36
	v_and_b32_e32 v36, 0x4040404, v36
	v_perm_b32 v38, s31, v159, v37
	v_perm_b32 v37, s33, v160, v37
	v_or_b32_e32 v36, 0x3020100, v36
	v_lshrrev_b32_e32 v39, 1, v107
	v_perm_b32 v36, v38, v37, v36
	v_and_b32_e32 v37, 0x7070707, v107
	v_and_b32_e32 v39, 0x4040404, v39
	v_perm_b32 v38, s31, v159, v37
	v_perm_b32 v37, s33, v160, v37
	v_or_b32_e32 v39, 0x3020100, v39
	v_perm_b32 v37, v38, v37, v39
	v_ashrrev_i32_e32 v38, 4, v106
	v_and_b32_e32 v39, 0x7070707, v38
	v_lshrrev_b32_e32 v38, 1, v38
	v_and_b32_e32 v38, 0x4040404, v38
	v_perm_b32 v40, s31, v159, v39
	v_perm_b32 v39, s33, v160, v39
	v_or_b32_e32 v38, 0x3020100, v38
	v_lshrrev_b32_e32 v41, 1, v106
	v_perm_b32 v38, v40, v39, v38
	v_and_b32_e32 v39, 0x7070707, v106
	v_and_b32_e32 v41, 0x4040404, v41
	v_perm_b32 v40, s31, v159, v39
	v_perm_b32 v39, s33, v160, v39
	v_or_b32_e32 v41, 0x3020100, v41
	v_perm_b32 v39, v40, v39, v41
	v_dot4_i32_i8 v39, v39, v31, 0
	v_dot4_i32_i8 v38, v38, v33, v39
	;; [unrolled: 1-line block ×3, first 2 shown]
	v_cvt_f32_f16_e32 v30, v30
	v_dot4_i32_i8 v36, v36, v26, v37
	v_cvt_f32_i32_e32 v36, v36
	v_dot4_i32_i8 v34, v34, v176, v35
	v_cvt_f32_i32_e32 v34, v34
	v_mul_f32_e32 v35, v179, v30
	v_fma_f32 v35, v35, v36, 0
	v_mul_f32_e32 v36, v180, v30
	v_fmac_f32_e32 v35, v36, v34
	v_ashrrev_i32_e32 v34, 4, v97
	v_add_f32_e32 v146, v146, v35
	v_and_b32_e32 v35, 0x7070707, v34
	v_lshrrev_b32_e32 v34, 1, v34
	v_and_b32_e32 v34, 0x4040404, v34
	v_perm_b32 v36, s31, v159, v35
	v_perm_b32 v35, s33, v160, v35
	v_or_b32_e32 v34, 0x3020100, v34
	v_lshrrev_b32_e32 v37, 1, v97
	v_perm_b32 v34, v36, v35, v34
	v_and_b32_e32 v35, 0x7070707, v97
	v_and_b32_e32 v37, 0x4040404, v37
	v_perm_b32 v36, s31, v159, v35
	v_perm_b32 v35, s33, v160, v35
	v_or_b32_e32 v37, 0x3020100, v37
	v_perm_b32 v35, v36, v35, v37
	v_ashrrev_i32_e32 v36, 4, v96
	v_and_b32_e32 v37, 0x7070707, v36
	v_lshrrev_b32_e32 v36, 1, v36
	v_and_b32_e32 v36, 0x4040404, v36
	v_perm_b32 v38, s31, v159, v37
	v_perm_b32 v37, s33, v160, v37
	v_or_b32_e32 v36, 0x3020100, v36
	v_lshrrev_b32_e32 v39, 1, v96
	v_perm_b32 v36, v38, v37, v36
	v_and_b32_e32 v37, 0x7070707, v96
	v_and_b32_e32 v39, 0x4040404, v39
	v_perm_b32 v38, s31, v159, v37
	v_perm_b32 v37, s33, v160, v37
	v_or_b32_e32 v39, 0x3020100, v39
	v_perm_b32 v37, v38, v37, v39
	v_dot4_i32_i8 v27, v37, v27, 0
	v_dot4_i32_i8 v27, v36, v29, v27
	;; [unrolled: 1-line block ×3, first 2 shown]
	v_ashrrev_i32_e32 v28, 4, v95
	v_and_b32_e32 v29, 0x7070707, v28
	v_lshrrev_b32_e32 v28, 1, v28
	v_and_b32_e32 v28, 0x4040404, v28
	v_perm_b32 v35, s31, v159, v29
	v_perm_b32 v29, s33, v160, v29
	v_or_b32_e32 v28, 0x3020100, v28
	v_lshrrev_b32_e32 v36, 1, v95
	v_perm_b32 v28, v35, v29, v28
	v_and_b32_e32 v29, 0x7070707, v95
	v_and_b32_e32 v36, 0x4040404, v36
	v_perm_b32 v35, s31, v159, v29
	v_perm_b32 v29, s33, v160, v29
	v_or_b32_e32 v36, 0x3020100, v36
	v_perm_b32 v29, v35, v29, v36
	v_ashrrev_i32_e32 v35, 4, v94
	v_and_b32_e32 v36, 0x7070707, v35
	v_lshrrev_b32_e32 v35, 1, v35
	v_and_b32_e32 v35, 0x4040404, v35
	v_perm_b32 v37, s31, v159, v36
	v_perm_b32 v36, s33, v160, v36
	v_or_b32_e32 v35, 0x3020100, v35
	v_lshrrev_b32_e32 v38, 1, v94
	v_perm_b32 v35, v37, v36, v35
	v_and_b32_e32 v36, 0x7070707, v94
	v_and_b32_e32 v38, 0x4040404, v38
	v_perm_b32 v37, s31, v159, v36
	v_perm_b32 v36, s33, v160, v36
	v_or_b32_e32 v38, 0x3020100, v38
	v_perm_b32 v36, v37, v36, v38
	v_dot4_i32_i8 v31, v36, v31, 0
	v_dot4_i32_i8 v31, v35, v33, v31
	;; [unrolled: 1-line block ×4, first 2 shown]
	v_cvt_f32_i32_e32 v26, v26
	v_dot4_i32_i8 v27, v34, v176, v27
	v_cvt_f32_i32_e32 v27, v27
	v_mul_f32_e32 v28, v177, v30
	v_fma_f32 v26, v28, v26, 0
	v_mul_f32_e32 v28, v178, v30
	v_fmac_f32_e32 v26, v28, v27
	v_add_f32_e32 v147, v147, v26
	v_ashrrev_i32_e32 v26, 4, v93
	v_and_b32_e32 v27, 0x7070707, v26
	v_lshrrev_b32_e32 v26, 1, v26
	v_and_b32_e32 v26, 0x4040404, v26
	v_perm_b32 v28, s31, v159, v27
	v_perm_b32 v27, s33, v160, v27
	v_or_b32_e32 v26, 0x3020100, v26
	v_lshrrev_b32_e32 v29, 1, v93
	v_perm_b32 v26, v28, v27, v26
	v_and_b32_e32 v27, 0x7070707, v93
	v_and_b32_e32 v29, 0x4040404, v29
	v_perm_b32 v28, s31, v159, v27
	v_perm_b32 v27, s33, v160, v27
	v_or_b32_e32 v29, 0x3020100, v29
	v_perm_b32 v27, v28, v27, v29
	v_ashrrev_i32_e32 v28, 4, v92
	v_and_b32_e32 v29, 0x7070707, v28
	v_lshrrev_b32_e32 v28, 1, v28
	v_and_b32_e32 v28, 0x4040404, v28
	v_perm_b32 v30, s31, v159, v29
	v_perm_b32 v29, s33, v160, v29
	v_or_b32_e32 v28, 0x3020100, v28
	v_lshrrev_b32_e32 v31, 1, v92
	v_perm_b32 v28, v30, v29, v28
	v_and_b32_e32 v29, 0x7070707, v92
	v_and_b32_e32 v31, 0x4040404, v31
	v_perm_b32 v30, s31, v159, v29
	v_perm_b32 v29, s33, v160, v29
	v_or_b32_e32 v31, 0x3020100, v31
	v_perm_b32 v29, v30, v29, v31
	v_dot4_i32_i8 v29, v29, v19, 0
	v_dot4_i32_i8 v28, v28, v21, v29
	;; [unrolled: 1-line block ×3, first 2 shown]
	v_ashrrev_i32_e32 v28, 4, v91
	v_and_b32_e32 v29, 0x7070707, v28
	v_lshrrev_b32_e32 v28, 1, v28
	v_and_b32_e32 v28, 0x4040404, v28
	v_perm_b32 v30, s31, v159, v29
	v_perm_b32 v29, s33, v160, v29
	v_or_b32_e32 v28, 0x3020100, v28
	v_lshrrev_b32_e32 v31, 1, v91
	v_perm_b32 v28, v30, v29, v28
	v_and_b32_e32 v29, 0x7070707, v91
	v_and_b32_e32 v31, 0x4040404, v31
	v_perm_b32 v30, s31, v159, v29
	v_perm_b32 v29, s33, v160, v29
	v_or_b32_e32 v31, 0x3020100, v31
	v_perm_b32 v29, v30, v29, v31
	v_ashrrev_i32_e32 v30, 4, v90
	v_and_b32_e32 v31, 0x7070707, v30
	v_lshrrev_b32_e32 v30, 1, v30
	v_and_b32_e32 v30, 0x4040404, v30
	v_perm_b32 v32, s31, v159, v31
	v_perm_b32 v31, s33, v160, v31
	v_or_b32_e32 v30, 0x3020100, v30
	v_lshrrev_b32_e32 v33, 1, v90
	v_perm_b32 v30, v32, v31, v30
	v_and_b32_e32 v31, 0x7070707, v90
	v_and_b32_e32 v33, 0x4040404, v33
	v_perm_b32 v32, s31, v159, v31
	v_perm_b32 v31, s33, v160, v31
	v_or_b32_e32 v33, 0x3020100, v33
	v_perm_b32 v31, v32, v31, v33
	v_dot4_i32_i8 v31, v31, v23, 0
	v_dot4_i32_i8 v30, v30, v25, v31
	;; [unrolled: 1-line block ×3, first 2 shown]
	v_cvt_f32_f16_e32 v22, v22
	v_dot4_i32_i8 v28, v28, v18, v29
	v_cvt_f32_i32_e32 v28, v28
	v_dot4_i32_i8 v26, v26, v171, v27
	v_cvt_f32_i32_e32 v26, v26
	v_mul_f32_e32 v27, v174, v22
	v_fma_f32 v27, v27, v28, 0
	v_mul_f32_e32 v28, v175, v22
	v_fmac_f32_e32 v27, v28, v26
	v_ashrrev_i32_e32 v26, 4, v89
	v_add_f32_e32 v148, v148, v27
	v_and_b32_e32 v27, 0x7070707, v26
	v_lshrrev_b32_e32 v26, 1, v26
	v_and_b32_e32 v26, 0x4040404, v26
	v_perm_b32 v28, s31, v159, v27
	v_perm_b32 v27, s33, v160, v27
	v_or_b32_e32 v26, 0x3020100, v26
	v_lshrrev_b32_e32 v29, 1, v89
	v_perm_b32 v26, v28, v27, v26
	v_and_b32_e32 v27, 0x7070707, v89
	v_and_b32_e32 v29, 0x4040404, v29
	v_perm_b32 v28, s31, v159, v27
	v_perm_b32 v27, s33, v160, v27
	v_or_b32_e32 v29, 0x3020100, v29
	v_perm_b32 v27, v28, v27, v29
	v_ashrrev_i32_e32 v28, 4, v88
	v_and_b32_e32 v29, 0x7070707, v28
	v_lshrrev_b32_e32 v28, 1, v28
	v_and_b32_e32 v28, 0x4040404, v28
	v_perm_b32 v30, s31, v159, v29
	v_perm_b32 v29, s33, v160, v29
	v_or_b32_e32 v28, 0x3020100, v28
	v_lshrrev_b32_e32 v31, 1, v88
	v_perm_b32 v28, v30, v29, v28
	v_and_b32_e32 v29, 0x7070707, v88
	v_and_b32_e32 v31, 0x4040404, v31
	v_perm_b32 v30, s31, v159, v29
	v_perm_b32 v29, s33, v160, v29
	v_or_b32_e32 v31, 0x3020100, v31
	v_perm_b32 v29, v30, v29, v31
	v_dot4_i32_i8 v19, v29, v19, 0
	v_dot4_i32_i8 v19, v28, v21, v19
	;; [unrolled: 1-line block ×3, first 2 shown]
	v_ashrrev_i32_e32 v20, 4, v87
	v_and_b32_e32 v21, 0x7070707, v20
	v_lshrrev_b32_e32 v20, 1, v20
	v_and_b32_e32 v20, 0x4040404, v20
	v_perm_b32 v27, s31, v159, v21
	v_perm_b32 v21, s33, v160, v21
	v_or_b32_e32 v20, 0x3020100, v20
	v_lshrrev_b32_e32 v28, 1, v87
	v_perm_b32 v20, v27, v21, v20
	v_and_b32_e32 v21, 0x7070707, v87
	v_and_b32_e32 v28, 0x4040404, v28
	v_perm_b32 v27, s31, v159, v21
	v_perm_b32 v21, s33, v160, v21
	v_or_b32_e32 v28, 0x3020100, v28
	v_perm_b32 v21, v27, v21, v28
	v_ashrrev_i32_e32 v27, 4, v86
	v_and_b32_e32 v28, 0x7070707, v27
	v_lshrrev_b32_e32 v27, 1, v27
	v_and_b32_e32 v27, 0x4040404, v27
	v_perm_b32 v29, s31, v159, v28
	v_perm_b32 v28, s33, v160, v28
	v_or_b32_e32 v27, 0x3020100, v27
	v_lshrrev_b32_e32 v30, 1, v86
	v_perm_b32 v27, v29, v28, v27
	v_and_b32_e32 v28, 0x7070707, v86
	v_and_b32_e32 v30, 0x4040404, v30
	v_perm_b32 v29, s31, v159, v28
	v_perm_b32 v28, s33, v160, v28
	v_or_b32_e32 v30, 0x3020100, v30
	v_perm_b32 v28, v29, v28, v30
	v_dot4_i32_i8 v23, v28, v23, 0
	v_dot4_i32_i8 v23, v27, v25, v23
	;; [unrolled: 1-line block ×4, first 2 shown]
	v_cvt_f32_i32_e32 v18, v18
	v_dot4_i32_i8 v19, v26, v171, v19
	v_cvt_f32_i32_e32 v19, v19
	v_mul_f32_e32 v20, v172, v22
	v_fma_f32 v18, v20, v18, 0
	v_mul_f32_e32 v20, v173, v22
	v_fmac_f32_e32 v18, v20, v19
	v_add_f32_e32 v149, v149, v18
	v_ashrrev_i32_e32 v18, 4, v85
	v_and_b32_e32 v19, 0x7070707, v18
	v_lshrrev_b32_e32 v18, 1, v18
	v_and_b32_e32 v18, 0x4040404, v18
	v_perm_b32 v20, s31, v159, v19
	v_perm_b32 v19, s33, v160, v19
	v_or_b32_e32 v18, 0x3020100, v18
	v_lshrrev_b32_e32 v21, 1, v85
	v_perm_b32 v18, v20, v19, v18
	v_and_b32_e32 v19, 0x7070707, v85
	v_and_b32_e32 v21, 0x4040404, v21
	v_perm_b32 v20, s31, v159, v19
	v_perm_b32 v19, s33, v160, v19
	v_or_b32_e32 v21, 0x3020100, v21
	v_perm_b32 v19, v20, v19, v21
	v_ashrrev_i32_e32 v20, 4, v84
	v_and_b32_e32 v21, 0x7070707, v20
	v_lshrrev_b32_e32 v20, 1, v20
	v_and_b32_e32 v20, 0x4040404, v20
	v_perm_b32 v22, s31, v159, v21
	v_perm_b32 v21, s33, v160, v21
	v_or_b32_e32 v20, 0x3020100, v20
	v_lshrrev_b32_e32 v23, 1, v84
	v_perm_b32 v20, v22, v21, v20
	v_and_b32_e32 v21, 0x7070707, v84
	v_and_b32_e32 v23, 0x4040404, v23
	v_perm_b32 v22, s31, v159, v21
	v_perm_b32 v21, s33, v160, v21
	v_or_b32_e32 v23, 0x3020100, v23
	v_perm_b32 v21, v22, v21, v23
	v_dot4_i32_i8 v21, v21, v11, 0
	v_dot4_i32_i8 v20, v20, v13, v21
	;; [unrolled: 1-line block ×3, first 2 shown]
	v_ashrrev_i32_e32 v20, 4, v83
	v_and_b32_e32 v21, 0x7070707, v20
	v_lshrrev_b32_e32 v20, 1, v20
	v_and_b32_e32 v20, 0x4040404, v20
	v_perm_b32 v22, s31, v159, v21
	v_perm_b32 v21, s33, v160, v21
	v_or_b32_e32 v20, 0x3020100, v20
	v_lshrrev_b32_e32 v23, 1, v83
	v_perm_b32 v20, v22, v21, v20
	v_and_b32_e32 v21, 0x7070707, v83
	v_and_b32_e32 v23, 0x4040404, v23
	v_perm_b32 v22, s31, v159, v21
	v_perm_b32 v21, s33, v160, v21
	v_or_b32_e32 v23, 0x3020100, v23
	v_perm_b32 v21, v22, v21, v23
	v_ashrrev_i32_e32 v22, 4, v82
	v_and_b32_e32 v23, 0x7070707, v22
	v_lshrrev_b32_e32 v22, 1, v22
	v_and_b32_e32 v22, 0x4040404, v22
	v_perm_b32 v24, s31, v159, v23
	v_perm_b32 v23, s33, v160, v23
	v_or_b32_e32 v22, 0x3020100, v22
	v_lshrrev_b32_e32 v25, 1, v82
	v_perm_b32 v22, v24, v23, v22
	v_and_b32_e32 v23, 0x7070707, v82
	v_and_b32_e32 v25, 0x4040404, v25
	v_perm_b32 v24, s31, v159, v23
	v_perm_b32 v23, s33, v160, v23
	v_or_b32_e32 v25, 0x3020100, v25
	v_perm_b32 v23, v24, v23, v25
	v_dot4_i32_i8 v23, v23, v15, 0
	v_dot4_i32_i8 v22, v22, v17, v23
	;; [unrolled: 1-line block ×3, first 2 shown]
	v_cvt_f32_f16_e32 v14, v14
	v_dot4_i32_i8 v20, v20, v10, v21
	v_cvt_f32_i32_e32 v20, v20
	v_dot4_i32_i8 v18, v18, v166, v19
	v_cvt_f32_i32_e32 v18, v18
	v_mul_f32_e32 v19, v169, v14
	v_fma_f32 v19, v19, v20, 0
	v_mul_f32_e32 v20, v170, v14
	v_fmac_f32_e32 v19, v20, v18
	v_ashrrev_i32_e32 v18, 4, v81
	v_add_f32_e32 v150, v150, v19
	v_and_b32_e32 v19, 0x7070707, v18
	v_lshrrev_b32_e32 v18, 1, v18
	v_and_b32_e32 v18, 0x4040404, v18
	v_perm_b32 v20, s31, v159, v19
	v_perm_b32 v19, s33, v160, v19
	v_or_b32_e32 v18, 0x3020100, v18
	v_lshrrev_b32_e32 v21, 1, v81
	v_perm_b32 v18, v20, v19, v18
	v_and_b32_e32 v19, 0x7070707, v81
	v_and_b32_e32 v21, 0x4040404, v21
	v_perm_b32 v20, s31, v159, v19
	v_perm_b32 v19, s33, v160, v19
	v_or_b32_e32 v21, 0x3020100, v21
	v_perm_b32 v19, v20, v19, v21
	v_ashrrev_i32_e32 v20, 4, v80
	v_and_b32_e32 v21, 0x7070707, v20
	v_lshrrev_b32_e32 v20, 1, v20
	v_and_b32_e32 v20, 0x4040404, v20
	v_perm_b32 v22, s31, v159, v21
	v_perm_b32 v21, s33, v160, v21
	v_or_b32_e32 v20, 0x3020100, v20
	v_lshrrev_b32_e32 v23, 1, v80
	v_perm_b32 v20, v22, v21, v20
	v_and_b32_e32 v21, 0x7070707, v80
	v_and_b32_e32 v23, 0x4040404, v23
	v_perm_b32 v22, s31, v159, v21
	v_perm_b32 v21, s33, v160, v21
	v_or_b32_e32 v23, 0x3020100, v23
	v_perm_b32 v21, v22, v21, v23
	v_dot4_i32_i8 v11, v21, v11, 0
	v_dot4_i32_i8 v11, v20, v13, v11
	;; [unrolled: 1-line block ×3, first 2 shown]
	v_ashrrev_i32_e32 v12, 4, v79
	v_and_b32_e32 v13, 0x7070707, v12
	v_lshrrev_b32_e32 v12, 1, v12
	v_and_b32_e32 v12, 0x4040404, v12
	v_perm_b32 v19, s31, v159, v13
	v_perm_b32 v13, s33, v160, v13
	v_or_b32_e32 v12, 0x3020100, v12
	v_lshrrev_b32_e32 v20, 1, v79
	v_perm_b32 v12, v19, v13, v12
	v_and_b32_e32 v13, 0x7070707, v79
	v_and_b32_e32 v20, 0x4040404, v20
	v_perm_b32 v19, s31, v159, v13
	v_perm_b32 v13, s33, v160, v13
	v_or_b32_e32 v20, 0x3020100, v20
	v_perm_b32 v13, v19, v13, v20
	v_ashrrev_i32_e32 v19, 4, v78
	v_and_b32_e32 v20, 0x7070707, v19
	v_lshrrev_b32_e32 v19, 1, v19
	v_and_b32_e32 v19, 0x4040404, v19
	v_perm_b32 v21, s31, v159, v20
	v_perm_b32 v20, s33, v160, v20
	v_or_b32_e32 v19, 0x3020100, v19
	v_lshrrev_b32_e32 v22, 1, v78
	v_perm_b32 v19, v21, v20, v19
	v_and_b32_e32 v20, 0x7070707, v78
	v_and_b32_e32 v22, 0x4040404, v22
	v_perm_b32 v21, s31, v159, v20
	v_perm_b32 v20, s33, v160, v20
	v_or_b32_e32 v22, 0x3020100, v22
	v_perm_b32 v20, v21, v20, v22
	v_dot4_i32_i8 v15, v20, v15, 0
	v_dot4_i32_i8 v15, v19, v17, v15
	;; [unrolled: 1-line block ×4, first 2 shown]
	v_cvt_f32_i32_e32 v10, v10
	v_dot4_i32_i8 v11, v18, v166, v11
	v_cvt_f32_i32_e32 v11, v11
	v_mul_f32_e32 v12, v167, v14
	v_fma_f32 v10, v12, v10, 0
	v_mul_f32_e32 v12, v168, v14
	v_fmac_f32_e32 v10, v12, v11
	v_add_f32_e32 v151, v151, v10
	v_ashrrev_i32_e32 v10, 4, v77
	v_and_b32_e32 v11, 0x7070707, v10
	v_lshrrev_b32_e32 v10, 1, v10
	v_and_b32_e32 v10, 0x4040404, v10
	v_perm_b32 v12, s31, v159, v11
	v_perm_b32 v11, s33, v160, v11
	v_or_b32_e32 v10, 0x3020100, v10
	v_lshrrev_b32_e32 v13, 1, v77
	v_perm_b32 v10, v12, v11, v10
	v_and_b32_e32 v11, 0x7070707, v77
	v_and_b32_e32 v13, 0x4040404, v13
	v_perm_b32 v12, s31, v159, v11
	v_perm_b32 v11, s33, v160, v11
	v_or_b32_e32 v13, 0x3020100, v13
	v_perm_b32 v11, v12, v11, v13
	v_ashrrev_i32_e32 v12, 4, v76
	v_and_b32_e32 v13, 0x7070707, v12
	v_lshrrev_b32_e32 v12, 1, v12
	v_and_b32_e32 v12, 0x4040404, v12
	v_perm_b32 v14, s31, v159, v13
	v_perm_b32 v13, s33, v160, v13
	v_or_b32_e32 v12, 0x3020100, v12
	v_lshrrev_b32_e32 v15, 1, v76
	v_perm_b32 v12, v14, v13, v12
	v_and_b32_e32 v13, 0x7070707, v76
	v_and_b32_e32 v15, 0x4040404, v15
	v_perm_b32 v14, s31, v159, v13
	v_perm_b32 v13, s33, v160, v13
	v_or_b32_e32 v15, 0x3020100, v15
	v_perm_b32 v13, v14, v13, v15
	v_dot4_i32_i8 v13, v13, v3, 0
	v_dot4_i32_i8 v12, v12, v5, v13
	;; [unrolled: 1-line block ×3, first 2 shown]
	v_ashrrev_i32_e32 v12, 4, v75
	v_and_b32_e32 v13, 0x7070707, v12
	v_lshrrev_b32_e32 v12, 1, v12
	v_and_b32_e32 v12, 0x4040404, v12
	v_perm_b32 v14, s31, v159, v13
	v_perm_b32 v13, s33, v160, v13
	v_or_b32_e32 v12, 0x3020100, v12
	v_lshrrev_b32_e32 v15, 1, v75
	v_perm_b32 v12, v14, v13, v12
	v_and_b32_e32 v13, 0x7070707, v75
	v_and_b32_e32 v15, 0x4040404, v15
	v_perm_b32 v14, s31, v159, v13
	v_perm_b32 v13, s33, v160, v13
	v_or_b32_e32 v15, 0x3020100, v15
	v_perm_b32 v13, v14, v13, v15
	v_ashrrev_i32_e32 v14, 4, v74
	v_and_b32_e32 v15, 0x7070707, v14
	v_lshrrev_b32_e32 v14, 1, v14
	v_and_b32_e32 v14, 0x4040404, v14
	v_perm_b32 v16, s31, v159, v15
	v_perm_b32 v15, s33, v160, v15
	v_or_b32_e32 v14, 0x3020100, v14
	v_lshrrev_b32_e32 v17, 1, v74
	v_perm_b32 v14, v16, v15, v14
	v_and_b32_e32 v15, 0x7070707, v74
	v_and_b32_e32 v17, 0x4040404, v17
	v_perm_b32 v16, s31, v159, v15
	v_perm_b32 v15, s33, v160, v15
	v_or_b32_e32 v17, 0x3020100, v17
	v_perm_b32 v15, v16, v15, v17
	v_dot4_i32_i8 v15, v15, v7, 0
	v_dot4_i32_i8 v14, v14, v9, v15
	;; [unrolled: 1-line block ×3, first 2 shown]
	v_cvt_f32_f16_e32 v6, v6
	v_dot4_i32_i8 v12, v12, v2, v13
	v_cvt_f32_i32_e32 v12, v12
	v_dot4_i32_i8 v10, v10, v161, v11
	v_cvt_f32_i32_e32 v10, v10
	v_mul_f32_e32 v11, v164, v6
	v_fma_f32 v11, v11, v12, 0
	v_mul_f32_e32 v12, v165, v6
	v_fmac_f32_e32 v11, v12, v10
	v_ashrrev_i32_e32 v10, 4, v73
	v_add_f32_e32 v153, v153, v11
	v_and_b32_e32 v11, 0x7070707, v10
	v_lshrrev_b32_e32 v10, 1, v10
	v_and_b32_e32 v10, 0x4040404, v10
	v_perm_b32 v12, s31, v159, v11
	v_perm_b32 v11, s33, v160, v11
	v_or_b32_e32 v10, 0x3020100, v10
	v_lshrrev_b32_e32 v13, 1, v73
	v_perm_b32 v10, v12, v11, v10
	v_and_b32_e32 v11, 0x7070707, v73
	v_and_b32_e32 v13, 0x4040404, v13
	v_perm_b32 v12, s31, v159, v11
	v_perm_b32 v11, s33, v160, v11
	v_or_b32_e32 v13, 0x3020100, v13
	v_perm_b32 v11, v12, v11, v13
	v_ashrrev_i32_e32 v12, 4, v72
	v_and_b32_e32 v13, 0x7070707, v12
	v_lshrrev_b32_e32 v12, 1, v12
	v_and_b32_e32 v12, 0x4040404, v12
	v_perm_b32 v14, s31, v159, v13
	v_perm_b32 v13, s33, v160, v13
	v_or_b32_e32 v12, 0x3020100, v12
	v_lshrrev_b32_e32 v15, 1, v72
	v_perm_b32 v12, v14, v13, v12
	v_and_b32_e32 v13, 0x7070707, v72
	v_and_b32_e32 v15, 0x4040404, v15
	v_perm_b32 v14, s31, v159, v13
	v_perm_b32 v13, s33, v160, v13
	v_or_b32_e32 v15, 0x3020100, v15
	v_perm_b32 v13, v14, v13, v15
	v_dot4_i32_i8 v3, v13, v3, 0
	v_dot4_i32_i8 v3, v12, v5, v3
	;; [unrolled: 1-line block ×3, first 2 shown]
	v_ashrrev_i32_e32 v4, 4, v71
	v_and_b32_e32 v5, 0x7070707, v4
	v_lshrrev_b32_e32 v4, 1, v4
	v_and_b32_e32 v4, 0x4040404, v4
	v_perm_b32 v11, s31, v159, v5
	v_perm_b32 v5, s33, v160, v5
	v_or_b32_e32 v4, 0x3020100, v4
	v_lshrrev_b32_e32 v12, 1, v71
	v_perm_b32 v4, v11, v5, v4
	v_and_b32_e32 v5, 0x7070707, v71
	v_and_b32_e32 v12, 0x4040404, v12
	v_perm_b32 v11, s31, v159, v5
	v_perm_b32 v5, s33, v160, v5
	v_or_b32_e32 v12, 0x3020100, v12
	v_perm_b32 v5, v11, v5, v12
	v_ashrrev_i32_e32 v11, 4, v70
	v_and_b32_e32 v12, 0x7070707, v11
	v_lshrrev_b32_e32 v11, 1, v11
	v_and_b32_e32 v11, 0x4040404, v11
	v_perm_b32 v13, s31, v159, v12
	v_perm_b32 v12, s33, v160, v12
	v_or_b32_e32 v11, 0x3020100, v11
	v_lshrrev_b32_e32 v14, 1, v70
	v_perm_b32 v11, v13, v12, v11
	v_and_b32_e32 v12, 0x7070707, v70
	v_and_b32_e32 v14, 0x4040404, v14
	v_perm_b32 v13, s31, v159, v12
	v_perm_b32 v12, s33, v160, v12
	v_or_b32_e32 v14, 0x3020100, v14
	v_perm_b32 v12, v13, v12, v14
	v_dot4_i32_i8 v7, v12, v7, 0
	v_dot4_i32_i8 v7, v11, v9, v7
	;; [unrolled: 1-line block ×4, first 2 shown]
	v_cvt_f32_i32_e32 v2, v2
	v_dot4_i32_i8 v3, v10, v161, v3
	v_cvt_f32_i32_e32 v3, v3
	v_mul_f32_e32 v4, v162, v6
	v_fma_f32 v2, v4, v2, 0
	v_mul_f32_e32 v4, v163, v6
	v_fmac_f32_e32 v2, v4, v3
	v_add_f32_e32 v154, v154, v2
	s_waitcnt vmcnt(0)
	v_ashrrev_i32_e32 v2, 4, v101
	v_and_b32_e32 v3, 0x7070707, v2
	v_lshrrev_b32_e32 v2, 1, v2
	v_and_b32_e32 v2, 0x4040404, v2
	v_perm_b32 v4, s31, v159, v3
	v_perm_b32 v3, s33, v160, v3
	v_or_b32_e32 v2, 0x3020100, v2
	v_lshrrev_b32_e32 v5, 1, v101
	v_perm_b32 v2, v4, v3, v2
	v_and_b32_e32 v3, 0x7070707, v101
	v_and_b32_e32 v5, 0x4040404, v5
	v_perm_b32 v4, s31, v159, v3
	v_perm_b32 v3, s33, v160, v3
	v_or_b32_e32 v5, 0x3020100, v5
	v_perm_b32 v3, v4, v3, v5
	v_ashrrev_i32_e32 v4, 4, v100
	v_and_b32_e32 v5, 0x7070707, v4
	v_lshrrev_b32_e32 v4, 1, v4
	v_and_b32_e32 v4, 0x4040404, v4
	v_perm_b32 v6, s31, v159, v5
	v_perm_b32 v5, s33, v160, v5
	v_or_b32_e32 v4, 0x3020100, v4
	v_lshrrev_b32_e32 v7, 1, v100
	v_perm_b32 v4, v6, v5, v4
	v_and_b32_e32 v5, 0x7070707, v100
	v_and_b32_e32 v7, 0x4040404, v7
	v_perm_b32 v6, s31, v159, v5
	v_perm_b32 v5, s33, v160, v5
	v_or_b32_e32 v7, 0x3020100, v7
	v_perm_b32 v5, v6, v5, v7
	v_dot4_i32_i8 v5, v5, v43, 0
	v_dot4_i32_i8 v4, v4, v45, v5
	;; [unrolled: 1-line block ×3, first 2 shown]
	v_ashrrev_i32_e32 v4, 4, v99
	v_and_b32_e32 v5, 0x7070707, v4
	v_lshrrev_b32_e32 v4, 1, v4
	v_and_b32_e32 v4, 0x4040404, v4
	v_perm_b32 v6, s31, v159, v5
	v_perm_b32 v5, s33, v160, v5
	v_or_b32_e32 v4, 0x3020100, v4
	v_lshrrev_b32_e32 v7, 1, v99
	v_perm_b32 v4, v6, v5, v4
	v_and_b32_e32 v5, 0x7070707, v99
	v_and_b32_e32 v7, 0x4040404, v7
	v_perm_b32 v6, s31, v159, v5
	v_perm_b32 v5, s33, v160, v5
	v_or_b32_e32 v7, 0x3020100, v7
	v_perm_b32 v5, v6, v5, v7
	v_ashrrev_i32_e32 v6, 4, v98
	v_and_b32_e32 v7, 0x7070707, v6
	v_lshrrev_b32_e32 v6, 1, v6
	v_and_b32_e32 v6, 0x4040404, v6
	v_perm_b32 v8, s31, v159, v7
	v_perm_b32 v7, s33, v160, v7
	v_or_b32_e32 v6, 0x3020100, v6
	v_lshrrev_b32_e32 v9, 1, v98
	v_perm_b32 v6, v8, v7, v6
	v_and_b32_e32 v7, 0x7070707, v98
	v_and_b32_e32 v9, 0x4040404, v9
	v_perm_b32 v8, s31, v159, v7
	v_perm_b32 v7, s33, v160, v7
	v_or_b32_e32 v9, 0x3020100, v9
	v_perm_b32 v7, v8, v7, v9
	v_dot4_i32_i8 v7, v7, v47, 0
	v_dot4_i32_i8 v6, v6, v49, v7
	;; [unrolled: 1-line block ×4, first 2 shown]
	v_cvt_f32_i32_e32 v4, v4
	v_dot4_i32_i8 v2, v2, v182, v3
	v_cvt_f32_i32_e32 v2, v2
	v_mul_f32_e32 v3, v104, v46
	v_fma_f32 v3, v3, v4, 0
	v_mul_f32_e32 v4, v105, v46
	v_add_u32_e32 v152, 32, v152
	v_fmac_f32_e32 v3, v4, v2
	s_add_i32 s15, s15, 64
	s_add_i32 s13, s13, 64
	v_add_co_u32_e32 v68, vcc, 0x900, v68
	s_add_i32 s19, s19, 64
	s_add_i32 s24, s24, 64
	;; [unrolled: 1-line block ×5, first 2 shown]
	v_cmp_le_u32_e64 s[0:1], s9, v152
	v_add_f32_e32 v138, v138, v3
	s_or_b64 s[16:17], s[0:1], s[16:17]
	v_addc_co_u32_e32 v69, vcc, 0, v69, vcc
	s_andn2_b64 exec, exec, s[16:17]
	s_cbranch_execz .LBB95_195
.LBB95_3:                               ; =>This Inner Loop Header: Depth=1
	v_add_u32_e32 v2, s3, v152
	v_mad_i64_i32 v[10:11], s[0:1], v2, 36, s[20:21]
	v_lshlrev_b32_e32 v12, 2, v155
	global_load_dword v161, v[68:69], off offset:32
	v_add_co_u32_e32 v98, vcc, v10, v12
	v_addc_co_u32_e32 v99, vcc, 0, v11, vcc
	v_add_co_u32_e32 v42, vcc, v10, v156
	v_addc_co_u32_e32 v43, vcc, 0, v11, vcc
	global_load_dwordx2 v[70:71], v[98:99], off offset:4
	global_load_ubyte v13, v[42:43], off
	global_load_dwordx4 v[2:5], v[68:69], off offset:16
	global_load_dwordx4 v[6:9], v[68:69], off
	s_mov_b64 s[0:1], 0
	s_waitcnt vmcnt(2)
	v_cmp_lt_i16_e32 vcc, s28, v13
	s_and_saveexec_b64 s[22:23], vcc
	s_xor_b64 s[22:23], exec, s[22:23]
	s_cbranch_execnz .LBB95_130
; %bb.4:                                ;   in Loop: Header=BB95_3 Depth=1
	s_andn2_saveexec_b64 s[22:23], s[22:23]
	s_cbranch_execnz .LBB95_131
.LBB95_5:                               ;   in Loop: Header=BB95_3 Depth=1
	s_or_b64 exec, exec, s[22:23]
	v_mov_b32_e32 v162, 0
	s_and_saveexec_b64 s[22:23], s[0:1]
	s_cbranch_execz .LBB95_7
.LBB95_6:                               ;   in Loop: Header=BB95_3 Depth=1
	v_and_b32_e32 v13, 0xffff, v13
	v_bfe_u32 v14, v13, 3, 4
	v_and_b32_e32 v13, 7, v13
	v_cvt_f32_ubyte0_e32 v13, v13
	v_fma_f32 v15, v13, s30, 1.0
	v_add_u32_e32 v16, -7, v14
	v_cmp_eq_u32_e32 vcc, 0, v14
	v_cndmask_b32_e32 v13, v15, v13, vcc
	v_cndmask_b32_e64 v14, v16, -9, vcc
	v_ldexp_f32 v13, v13, v14
	v_mul_f32_e32 v162, 0.5, v13
.LBB95_7:                               ;   in Loop: Header=BB95_3 Depth=1
	s_or_b64 exec, exec, s[22:23]
	v_add_co_u32_e32 v102, vcc, v10, v157
	v_addc_co_u32_e32 v103, vcc, 0, v11, vcc
	global_load_ubyte v10, v[102:103], off
	global_load_dwordx2 v[72:73], v[98:99], off offset:12
	s_mov_b64 s[0:1], 0
	s_waitcnt vmcnt(1)
	v_cmp_lt_i16_e32 vcc, s28, v10
	s_and_saveexec_b64 s[22:23], vcc
	s_xor_b64 s[22:23], exec, s[22:23]
	s_cbranch_execnz .LBB95_132
; %bb.8:                                ;   in Loop: Header=BB95_3 Depth=1
	s_andn2_saveexec_b64 s[22:23], s[22:23]
	s_cbranch_execnz .LBB95_133
.LBB95_9:                               ;   in Loop: Header=BB95_3 Depth=1
	s_or_b64 exec, exec, s[22:23]
	v_mov_b32_e32 v163, 0
	s_and_saveexec_b64 s[22:23], s[0:1]
	s_cbranch_execz .LBB95_11
.LBB95_10:                              ;   in Loop: Header=BB95_3 Depth=1
	v_and_b32_e32 v10, 0xffff, v10
	v_bfe_u32 v11, v10, 3, 4
	v_and_b32_e32 v10, 7, v10
	v_cvt_f32_ubyte0_e32 v10, v10
	v_fma_f32 v13, v10, s30, 1.0
	v_add_u32_e32 v14, -7, v11
	v_cmp_eq_u32_e32 vcc, 0, v11
	v_cndmask_b32_e32 v10, v13, v10, vcc
	v_cndmask_b32_e64 v11, v14, -9, vcc
	v_ldexp_f32 v10, v10, v11
	v_mul_f32_e32 v163, 0.5, v10
.LBB95_11:                              ;   in Loop: Header=BB95_3 Depth=1
	s_or_b64 exec, exec, s[22:23]
	v_add_u32_e32 v10, s12, v152
	v_mad_i64_i32 v[10:11], s[0:1], v10, 36, s[20:21]
	s_mov_b64 s[0:1], 0
	v_add_co_u32_e32 v104, vcc, v10, v156
	v_addc_co_u32_e32 v105, vcc, 0, v11, vcc
	v_add_co_u32_e32 v100, vcc, v10, v12
	global_load_ubyte v13, v[104:105], off
	v_addc_co_u32_e32 v101, vcc, 0, v11, vcc
	global_load_dwordx2 v[74:75], v[100:101], off offset:4
	s_waitcnt vmcnt(1)
	v_cmp_lt_i16_e32 vcc, s28, v13
	s_and_saveexec_b64 s[22:23], vcc
	s_xor_b64 s[22:23], exec, s[22:23]
	s_cbranch_execnz .LBB95_134
; %bb.12:                               ;   in Loop: Header=BB95_3 Depth=1
	s_andn2_saveexec_b64 s[22:23], s[22:23]
	s_cbranch_execnz .LBB95_135
.LBB95_13:                              ;   in Loop: Header=BB95_3 Depth=1
	s_or_b64 exec, exec, s[22:23]
	v_mov_b32_e32 v164, 0
	s_and_saveexec_b64 s[22:23], s[0:1]
	s_cbranch_execz .LBB95_15
.LBB95_14:                              ;   in Loop: Header=BB95_3 Depth=1
	v_and_b32_e32 v12, 0xffff, v13
	v_bfe_u32 v13, v12, 3, 4
	v_and_b32_e32 v12, 7, v12
	v_cvt_f32_ubyte0_e32 v12, v12
	v_fma_f32 v14, v12, s30, 1.0
	v_add_u32_e32 v15, -7, v13
	v_cmp_eq_u32_e32 vcc, 0, v13
	v_cndmask_b32_e32 v12, v14, v12, vcc
	v_cndmask_b32_e64 v13, v15, -9, vcc
	v_ldexp_f32 v12, v12, v13
	v_mul_f32_e32 v164, 0.5, v12
.LBB95_15:                              ;   in Loop: Header=BB95_3 Depth=1
	s_or_b64 exec, exec, s[22:23]
	v_add_co_u32_e32 v108, vcc, v10, v157
	v_addc_co_u32_e32 v109, vcc, 0, v11, vcc
	global_load_ubyte v10, v[108:109], off
	global_load_dwordx2 v[76:77], v[100:101], off offset:12
	s_mov_b64 s[0:1], 0
	s_waitcnt vmcnt(1)
	v_cmp_lt_i16_e32 vcc, s28, v10
	s_and_saveexec_b64 s[22:23], vcc
	s_xor_b64 s[22:23], exec, s[22:23]
	s_cbranch_execnz .LBB95_136
; %bb.16:                               ;   in Loop: Header=BB95_3 Depth=1
	s_andn2_saveexec_b64 s[22:23], s[22:23]
	s_cbranch_execnz .LBB95_137
.LBB95_17:                              ;   in Loop: Header=BB95_3 Depth=1
	s_or_b64 exec, exec, s[22:23]
	v_mov_b32_e32 v165, 0
	s_and_saveexec_b64 s[22:23], s[0:1]
	s_cbranch_execz .LBB95_19
.LBB95_18:                              ;   in Loop: Header=BB95_3 Depth=1
	v_and_b32_e32 v10, 0xffff, v10
	v_bfe_u32 v11, v10, 3, 4
	v_and_b32_e32 v10, 7, v10
	v_cvt_f32_ubyte0_e32 v10, v10
	v_fma_f32 v12, v10, s30, 1.0
	v_add_u32_e32 v13, -7, v11
	v_cmp_eq_u32_e32 vcc, 0, v11
	v_cndmask_b32_e32 v10, v12, v10, vcc
	v_cndmask_b32_e64 v11, v13, -9, vcc
	v_ldexp_f32 v10, v10, v11
	v_mul_f32_e32 v165, 0.5, v10
.LBB95_19:                              ;   in Loop: Header=BB95_3 Depth=1
	s_or_b64 exec, exec, s[22:23]
	v_add_u32_e32 v10, s13, v158
	v_mad_u64_u32 v[19:20], s[0:1], v10, 36, v[66:67]
	global_load_dwordx2 v[78:79], v[98:99], off offset:4
	global_load_ubyte v18, v[42:43], off
	global_load_dword v166, v[19:20], off offset:32
	global_load_dwordx4 v[10:13], v[19:20], off offset:16
	global_load_dwordx4 v[14:17], v[19:20], off
	s_mov_b64 s[0:1], 0
	s_waitcnt vmcnt(3)
	v_cmp_lt_i16_e32 vcc, s28, v18
	s_and_saveexec_b64 s[22:23], vcc
	s_xor_b64 s[22:23], exec, s[22:23]
	s_cbranch_execnz .LBB95_138
; %bb.20:                               ;   in Loop: Header=BB95_3 Depth=1
	s_andn2_saveexec_b64 s[22:23], s[22:23]
	s_cbranch_execnz .LBB95_139
.LBB95_21:                              ;   in Loop: Header=BB95_3 Depth=1
	s_or_b64 exec, exec, s[22:23]
	v_mov_b32_e32 v167, 0
	s_and_saveexec_b64 s[22:23], s[0:1]
	s_cbranch_execz .LBB95_23
.LBB95_22:                              ;   in Loop: Header=BB95_3 Depth=1
	v_and_b32_e32 v18, 0xffff, v18
	v_bfe_u32 v19, v18, 3, 4
	v_and_b32_e32 v18, 7, v18
	v_cvt_f32_ubyte0_e32 v18, v18
	v_fma_f32 v20, v18, s30, 1.0
	v_add_u32_e32 v21, -7, v19
	v_cmp_eq_u32_e32 vcc, 0, v19
	v_cndmask_b32_e32 v18, v20, v18, vcc
	v_cndmask_b32_e64 v19, v21, -9, vcc
	v_ldexp_f32 v18, v18, v19
	v_mul_f32_e32 v167, 0.5, v18
.LBB95_23:                              ;   in Loop: Header=BB95_3 Depth=1
	s_or_b64 exec, exec, s[22:23]
	global_load_ubyte v18, v[102:103], off
	global_load_dwordx2 v[80:81], v[98:99], off offset:12
	s_mov_b64 s[0:1], 0
	s_waitcnt vmcnt(1)
	v_cmp_lt_i16_e32 vcc, s28, v18
	s_and_saveexec_b64 s[22:23], vcc
	s_xor_b64 s[22:23], exec, s[22:23]
	s_cbranch_execnz .LBB95_140
; %bb.24:                               ;   in Loop: Header=BB95_3 Depth=1
	s_andn2_saveexec_b64 s[22:23], s[22:23]
	s_cbranch_execnz .LBB95_141
.LBB95_25:                              ;   in Loop: Header=BB95_3 Depth=1
	s_or_b64 exec, exec, s[22:23]
	v_mov_b32_e32 v168, 0
	s_and_saveexec_b64 s[22:23], s[0:1]
	s_cbranch_execz .LBB95_27
.LBB95_26:                              ;   in Loop: Header=BB95_3 Depth=1
	v_and_b32_e32 v18, 0xffff, v18
	v_bfe_u32 v19, v18, 3, 4
	v_and_b32_e32 v18, 7, v18
	v_cvt_f32_ubyte0_e32 v18, v18
	v_fma_f32 v20, v18, s30, 1.0
	v_add_u32_e32 v21, -7, v19
	v_cmp_eq_u32_e32 vcc, 0, v19
	v_cndmask_b32_e32 v18, v20, v18, vcc
	v_cndmask_b32_e64 v19, v21, -9, vcc
	v_ldexp_f32 v18, v18, v19
	v_mul_f32_e32 v168, 0.5, v18
.LBB95_27:                              ;   in Loop: Header=BB95_3 Depth=1
	s_or_b64 exec, exec, s[22:23]
	global_load_ubyte v18, v[104:105], off
	global_load_dwordx2 v[82:83], v[100:101], off offset:4
	s_mov_b64 s[0:1], 0
	s_waitcnt vmcnt(1)
	v_cmp_lt_i16_e32 vcc, s28, v18
	s_and_saveexec_b64 s[22:23], vcc
	s_xor_b64 s[22:23], exec, s[22:23]
	s_cbranch_execnz .LBB95_142
; %bb.28:                               ;   in Loop: Header=BB95_3 Depth=1
	s_andn2_saveexec_b64 s[22:23], s[22:23]
	s_cbranch_execnz .LBB95_143
.LBB95_29:                              ;   in Loop: Header=BB95_3 Depth=1
	s_or_b64 exec, exec, s[22:23]
	v_mov_b32_e32 v169, 0
	s_and_saveexec_b64 s[22:23], s[0:1]
	s_cbranch_execz .LBB95_31
.LBB95_30:                              ;   in Loop: Header=BB95_3 Depth=1
	v_and_b32_e32 v18, 0xffff, v18
	v_bfe_u32 v19, v18, 3, 4
	v_and_b32_e32 v18, 7, v18
	v_cvt_f32_ubyte0_e32 v18, v18
	v_fma_f32 v20, v18, s30, 1.0
	v_add_u32_e32 v21, -7, v19
	v_cmp_eq_u32_e32 vcc, 0, v19
	v_cndmask_b32_e32 v18, v20, v18, vcc
	v_cndmask_b32_e64 v19, v21, -9, vcc
	v_ldexp_f32 v18, v18, v19
	v_mul_f32_e32 v169, 0.5, v18
.LBB95_31:                              ;   in Loop: Header=BB95_3 Depth=1
	s_or_b64 exec, exec, s[22:23]
	global_load_ubyte v18, v[108:109], off
	global_load_dwordx2 v[84:85], v[100:101], off offset:12
	s_mov_b64 s[0:1], 0
	s_waitcnt vmcnt(1)
	v_cmp_lt_i16_e32 vcc, s28, v18
	s_and_saveexec_b64 s[22:23], vcc
	s_xor_b64 s[22:23], exec, s[22:23]
	s_cbranch_execnz .LBB95_144
; %bb.32:                               ;   in Loop: Header=BB95_3 Depth=1
	s_andn2_saveexec_b64 s[22:23], s[22:23]
	s_cbranch_execnz .LBB95_145
.LBB95_33:                              ;   in Loop: Header=BB95_3 Depth=1
	s_or_b64 exec, exec, s[22:23]
	v_mov_b32_e32 v170, 0
	s_and_saveexec_b64 s[22:23], s[0:1]
	s_cbranch_execz .LBB95_35
.LBB95_34:                              ;   in Loop: Header=BB95_3 Depth=1
	v_and_b32_e32 v18, 0xffff, v18
	v_bfe_u32 v19, v18, 3, 4
	v_and_b32_e32 v18, 7, v18
	v_cvt_f32_ubyte0_e32 v18, v18
	v_fma_f32 v20, v18, s30, 1.0
	v_add_u32_e32 v21, -7, v19
	v_cmp_eq_u32_e32 vcc, 0, v19
	v_cndmask_b32_e32 v18, v20, v18, vcc
	v_cndmask_b32_e64 v19, v21, -9, vcc
	v_ldexp_f32 v18, v18, v19
	v_mul_f32_e32 v170, 0.5, v18
.LBB95_35:                              ;   in Loop: Header=BB95_3 Depth=1
	s_or_b64 exec, exec, s[22:23]
	v_add_u32_e32 v18, s15, v158
	v_mad_u64_u32 v[27:28], s[0:1], v18, 36, v[66:67]
	global_load_dwordx2 v[86:87], v[98:99], off offset:4
	global_load_ubyte v26, v[42:43], off
	global_load_dword v171, v[27:28], off offset:32
	global_load_dwordx4 v[18:21], v[27:28], off offset:16
	global_load_dwordx4 v[22:25], v[27:28], off
	s_mov_b64 s[0:1], 0
	s_waitcnt vmcnt(3)
	v_cmp_lt_i16_e32 vcc, s28, v26
	s_and_saveexec_b64 s[22:23], vcc
	s_xor_b64 s[22:23], exec, s[22:23]
	s_cbranch_execnz .LBB95_146
; %bb.36:                               ;   in Loop: Header=BB95_3 Depth=1
	s_andn2_saveexec_b64 s[22:23], s[22:23]
	s_cbranch_execnz .LBB95_147
.LBB95_37:                              ;   in Loop: Header=BB95_3 Depth=1
	s_or_b64 exec, exec, s[22:23]
	v_mov_b32_e32 v172, 0
	s_and_saveexec_b64 s[22:23], s[0:1]
	s_cbranch_execz .LBB95_39
.LBB95_38:                              ;   in Loop: Header=BB95_3 Depth=1
	v_and_b32_e32 v26, 0xffff, v26
	v_bfe_u32 v27, v26, 3, 4
	v_and_b32_e32 v26, 7, v26
	v_cvt_f32_ubyte0_e32 v26, v26
	v_fma_f32 v28, v26, s30, 1.0
	v_add_u32_e32 v29, -7, v27
	v_cmp_eq_u32_e32 vcc, 0, v27
	v_cndmask_b32_e32 v26, v28, v26, vcc
	v_cndmask_b32_e64 v27, v29, -9, vcc
	v_ldexp_f32 v26, v26, v27
	v_mul_f32_e32 v172, 0.5, v26
.LBB95_39:                              ;   in Loop: Header=BB95_3 Depth=1
	s_or_b64 exec, exec, s[22:23]
	global_load_ubyte v26, v[102:103], off
	global_load_dwordx2 v[88:89], v[98:99], off offset:12
	s_mov_b64 s[0:1], 0
	s_waitcnt vmcnt(1)
	v_cmp_lt_i16_e32 vcc, s28, v26
	s_and_saveexec_b64 s[22:23], vcc
	s_xor_b64 s[22:23], exec, s[22:23]
	s_cbranch_execnz .LBB95_148
; %bb.40:                               ;   in Loop: Header=BB95_3 Depth=1
	s_andn2_saveexec_b64 s[22:23], s[22:23]
	s_cbranch_execnz .LBB95_149
.LBB95_41:                              ;   in Loop: Header=BB95_3 Depth=1
	s_or_b64 exec, exec, s[22:23]
	v_mov_b32_e32 v173, 0
	s_and_saveexec_b64 s[22:23], s[0:1]
	s_cbranch_execz .LBB95_43
.LBB95_42:                              ;   in Loop: Header=BB95_3 Depth=1
	v_and_b32_e32 v26, 0xffff, v26
	v_bfe_u32 v27, v26, 3, 4
	v_and_b32_e32 v26, 7, v26
	v_cvt_f32_ubyte0_e32 v26, v26
	v_fma_f32 v28, v26, s30, 1.0
	v_add_u32_e32 v29, -7, v27
	v_cmp_eq_u32_e32 vcc, 0, v27
	v_cndmask_b32_e32 v26, v28, v26, vcc
	v_cndmask_b32_e64 v27, v29, -9, vcc
	v_ldexp_f32 v26, v26, v27
	v_mul_f32_e32 v173, 0.5, v26
.LBB95_43:                              ;   in Loop: Header=BB95_3 Depth=1
	s_or_b64 exec, exec, s[22:23]
	global_load_ubyte v26, v[104:105], off
	global_load_dwordx2 v[90:91], v[100:101], off offset:4
	s_mov_b64 s[0:1], 0
	s_waitcnt vmcnt(1)
	v_cmp_lt_i16_e32 vcc, s28, v26
	s_and_saveexec_b64 s[22:23], vcc
	s_xor_b64 s[22:23], exec, s[22:23]
	s_cbranch_execnz .LBB95_150
; %bb.44:                               ;   in Loop: Header=BB95_3 Depth=1
	s_andn2_saveexec_b64 s[22:23], s[22:23]
	s_cbranch_execnz .LBB95_151
.LBB95_45:                              ;   in Loop: Header=BB95_3 Depth=1
	s_or_b64 exec, exec, s[22:23]
	v_mov_b32_e32 v174, 0
	s_and_saveexec_b64 s[22:23], s[0:1]
	s_cbranch_execz .LBB95_47
.LBB95_46:                              ;   in Loop: Header=BB95_3 Depth=1
	v_and_b32_e32 v26, 0xffff, v26
	v_bfe_u32 v27, v26, 3, 4
	v_and_b32_e32 v26, 7, v26
	v_cvt_f32_ubyte0_e32 v26, v26
	v_fma_f32 v28, v26, s30, 1.0
	v_add_u32_e32 v29, -7, v27
	v_cmp_eq_u32_e32 vcc, 0, v27
	v_cndmask_b32_e32 v26, v28, v26, vcc
	v_cndmask_b32_e64 v27, v29, -9, vcc
	v_ldexp_f32 v26, v26, v27
	v_mul_f32_e32 v174, 0.5, v26
.LBB95_47:                              ;   in Loop: Header=BB95_3 Depth=1
	s_or_b64 exec, exec, s[22:23]
	global_load_ubyte v26, v[108:109], off
	global_load_dwordx2 v[92:93], v[100:101], off offset:12
	s_mov_b64 s[0:1], 0
	s_waitcnt vmcnt(1)
	v_cmp_lt_i16_e32 vcc, s28, v26
	s_and_saveexec_b64 s[22:23], vcc
	s_xor_b64 s[22:23], exec, s[22:23]
	s_cbranch_execnz .LBB95_152
; %bb.48:                               ;   in Loop: Header=BB95_3 Depth=1
	s_andn2_saveexec_b64 s[22:23], s[22:23]
	s_cbranch_execnz .LBB95_153
.LBB95_49:                              ;   in Loop: Header=BB95_3 Depth=1
	s_or_b64 exec, exec, s[22:23]
	v_mov_b32_e32 v175, 0
	s_and_saveexec_b64 s[22:23], s[0:1]
	s_cbranch_execz .LBB95_51
.LBB95_50:                              ;   in Loop: Header=BB95_3 Depth=1
	v_and_b32_e32 v26, 0xffff, v26
	v_bfe_u32 v27, v26, 3, 4
	v_and_b32_e32 v26, 7, v26
	v_cvt_f32_ubyte0_e32 v26, v26
	v_fma_f32 v28, v26, s30, 1.0
	v_add_u32_e32 v29, -7, v27
	v_cmp_eq_u32_e32 vcc, 0, v27
	v_cndmask_b32_e32 v26, v28, v26, vcc
	v_cndmask_b32_e64 v27, v29, -9, vcc
	v_ldexp_f32 v26, v26, v27
	v_mul_f32_e32 v175, 0.5, v26
.LBB95_51:                              ;   in Loop: Header=BB95_3 Depth=1
	s_or_b64 exec, exec, s[22:23]
	v_add_u32_e32 v26, s19, v158
	v_mad_u64_u32 v[35:36], s[0:1], v26, 36, v[66:67]
	global_load_dwordx2 v[94:95], v[98:99], off offset:4
	global_load_ubyte v34, v[42:43], off
	global_load_dword v176, v[35:36], off offset:32
	global_load_dwordx4 v[26:29], v[35:36], off offset:16
	global_load_dwordx4 v[30:33], v[35:36], off
	s_mov_b64 s[0:1], 0
	s_waitcnt vmcnt(3)
	v_cmp_lt_i16_e32 vcc, s28, v34
	s_and_saveexec_b64 s[22:23], vcc
	s_xor_b64 s[22:23], exec, s[22:23]
	s_cbranch_execnz .LBB95_154
; %bb.52:                               ;   in Loop: Header=BB95_3 Depth=1
	s_andn2_saveexec_b64 s[22:23], s[22:23]
	s_cbranch_execnz .LBB95_155
.LBB95_53:                              ;   in Loop: Header=BB95_3 Depth=1
	s_or_b64 exec, exec, s[22:23]
	v_mov_b32_e32 v177, 0
	s_and_saveexec_b64 s[22:23], s[0:1]
	s_cbranch_execz .LBB95_55
.LBB95_54:                              ;   in Loop: Header=BB95_3 Depth=1
	v_and_b32_e32 v34, 0xffff, v34
	v_bfe_u32 v35, v34, 3, 4
	v_and_b32_e32 v34, 7, v34
	v_cvt_f32_ubyte0_e32 v34, v34
	v_fma_f32 v36, v34, s30, 1.0
	v_add_u32_e32 v37, -7, v35
	v_cmp_eq_u32_e32 vcc, 0, v35
	v_cndmask_b32_e32 v34, v36, v34, vcc
	v_cndmask_b32_e64 v35, v37, -9, vcc
	v_ldexp_f32 v34, v34, v35
	v_mul_f32_e32 v177, 0.5, v34
.LBB95_55:                              ;   in Loop: Header=BB95_3 Depth=1
	s_or_b64 exec, exec, s[22:23]
	global_load_ubyte v34, v[102:103], off
	global_load_dwordx2 v[96:97], v[98:99], off offset:12
	s_mov_b64 s[0:1], 0
	s_waitcnt vmcnt(1)
	v_cmp_lt_i16_e32 vcc, s28, v34
	s_and_saveexec_b64 s[22:23], vcc
	s_xor_b64 s[22:23], exec, s[22:23]
	s_cbranch_execnz .LBB95_156
; %bb.56:                               ;   in Loop: Header=BB95_3 Depth=1
	s_andn2_saveexec_b64 s[22:23], s[22:23]
	s_cbranch_execnz .LBB95_157
.LBB95_57:                              ;   in Loop: Header=BB95_3 Depth=1
	s_or_b64 exec, exec, s[22:23]
	v_mov_b32_e32 v178, 0
	s_and_saveexec_b64 s[22:23], s[0:1]
	s_cbranch_execz .LBB95_59
.LBB95_58:                              ;   in Loop: Header=BB95_3 Depth=1
	v_and_b32_e32 v34, 0xffff, v34
	v_bfe_u32 v35, v34, 3, 4
	v_and_b32_e32 v34, 7, v34
	v_cvt_f32_ubyte0_e32 v34, v34
	v_fma_f32 v36, v34, s30, 1.0
	v_add_u32_e32 v37, -7, v35
	v_cmp_eq_u32_e32 vcc, 0, v35
	v_cndmask_b32_e32 v34, v36, v34, vcc
	v_cndmask_b32_e64 v35, v37, -9, vcc
	v_ldexp_f32 v34, v34, v35
	v_mul_f32_e32 v178, 0.5, v34
.LBB95_59:                              ;   in Loop: Header=BB95_3 Depth=1
	s_or_b64 exec, exec, s[22:23]
	global_load_ubyte v34, v[104:105], off
	global_load_dwordx2 v[106:107], v[100:101], off offset:4
	s_mov_b64 s[0:1], 0
	s_waitcnt vmcnt(1)
	v_cmp_lt_i16_e32 vcc, s28, v34
	s_and_saveexec_b64 s[22:23], vcc
	s_xor_b64 s[22:23], exec, s[22:23]
	s_cbranch_execnz .LBB95_158
; %bb.60:                               ;   in Loop: Header=BB95_3 Depth=1
	s_andn2_saveexec_b64 s[22:23], s[22:23]
	s_cbranch_execnz .LBB95_159
.LBB95_61:                              ;   in Loop: Header=BB95_3 Depth=1
	s_or_b64 exec, exec, s[22:23]
	v_mov_b32_e32 v179, 0
	s_and_saveexec_b64 s[22:23], s[0:1]
	s_cbranch_execz .LBB95_63
.LBB95_62:                              ;   in Loop: Header=BB95_3 Depth=1
	v_and_b32_e32 v34, 0xffff, v34
	v_bfe_u32 v35, v34, 3, 4
	v_and_b32_e32 v34, 7, v34
	v_cvt_f32_ubyte0_e32 v34, v34
	v_fma_f32 v36, v34, s30, 1.0
	v_add_u32_e32 v37, -7, v35
	v_cmp_eq_u32_e32 vcc, 0, v35
	v_cndmask_b32_e32 v34, v36, v34, vcc
	v_cndmask_b32_e64 v35, v37, -9, vcc
	v_ldexp_f32 v34, v34, v35
	v_mul_f32_e32 v179, 0.5, v34
.LBB95_63:                              ;   in Loop: Header=BB95_3 Depth=1
	s_or_b64 exec, exec, s[22:23]
	global_load_ubyte v34, v[108:109], off
	global_load_dwordx2 v[110:111], v[100:101], off offset:12
	s_mov_b64 s[0:1], 0
	s_waitcnt vmcnt(1)
	v_cmp_lt_i16_e32 vcc, s28, v34
	s_and_saveexec_b64 s[22:23], vcc
	s_xor_b64 s[22:23], exec, s[22:23]
	s_cbranch_execnz .LBB95_160
; %bb.64:                               ;   in Loop: Header=BB95_3 Depth=1
	s_andn2_saveexec_b64 s[22:23], s[22:23]
	s_cbranch_execnz .LBB95_161
.LBB95_65:                              ;   in Loop: Header=BB95_3 Depth=1
	s_or_b64 exec, exec, s[22:23]
	v_mov_b32_e32 v180, 0
	s_and_saveexec_b64 s[22:23], s[0:1]
	s_cbranch_execz .LBB95_67
.LBB95_66:                              ;   in Loop: Header=BB95_3 Depth=1
	v_and_b32_e32 v34, 0xffff, v34
	v_bfe_u32 v35, v34, 3, 4
	v_and_b32_e32 v34, 7, v34
	v_cvt_f32_ubyte0_e32 v34, v34
	v_fma_f32 v36, v34, s30, 1.0
	v_add_u32_e32 v37, -7, v35
	v_cmp_eq_u32_e32 vcc, 0, v35
	v_cndmask_b32_e32 v34, v36, v34, vcc
	v_cndmask_b32_e64 v35, v37, -9, vcc
	v_ldexp_f32 v34, v34, v35
	v_mul_f32_e32 v180, 0.5, v34
.LBB95_67:                              ;   in Loop: Header=BB95_3 Depth=1
	s_or_b64 exec, exec, s[22:23]
	v_add_u32_e32 v34, s24, v158
	v_mad_u64_u32 v[38:39], s[0:1], v34, 36, v[66:67]
	global_load_dwordx2 v[112:113], v[98:99], off offset:4
	global_load_ubyte v44, v[42:43], off
	global_load_dword v181, v[38:39], off offset:32
	global_load_dwordx4 v[34:37], v[38:39], off offset:16
	s_nop 0
	global_load_dwordx4 v[38:41], v[38:39], off
	s_mov_b64 s[0:1], 0
	s_waitcnt vmcnt(3)
	v_cmp_lt_i16_e32 vcc, s28, v44
	s_and_saveexec_b64 s[22:23], vcc
	s_xor_b64 s[22:23], exec, s[22:23]
	s_cbranch_execnz .LBB95_162
; %bb.68:                               ;   in Loop: Header=BB95_3 Depth=1
	s_andn2_saveexec_b64 s[22:23], s[22:23]
	s_cbranch_execnz .LBB95_163
.LBB95_69:                              ;   in Loop: Header=BB95_3 Depth=1
	s_or_b64 exec, exec, s[22:23]
	v_mov_b32_e32 v183, 0
	s_and_saveexec_b64 s[22:23], s[0:1]
	s_cbranch_execz .LBB95_71
.LBB95_70:                              ;   in Loop: Header=BB95_3 Depth=1
	v_and_b32_e32 v44, 0xffff, v44
	v_bfe_u32 v45, v44, 3, 4
	v_and_b32_e32 v44, 7, v44
	v_cvt_f32_ubyte0_e32 v44, v44
	v_fma_f32 v46, v44, s30, 1.0
	v_add_u32_e32 v47, -7, v45
	v_cmp_eq_u32_e32 vcc, 0, v45
	v_cndmask_b32_e32 v44, v46, v44, vcc
	v_cndmask_b32_e64 v45, v47, -9, vcc
	v_ldexp_f32 v44, v44, v45
	v_mul_f32_e32 v183, 0.5, v44
.LBB95_71:                              ;   in Loop: Header=BB95_3 Depth=1
	s_or_b64 exec, exec, s[22:23]
	global_load_ubyte v44, v[102:103], off
	global_load_dwordx2 v[114:115], v[98:99], off offset:12
	s_mov_b64 s[0:1], 0
	s_waitcnt vmcnt(1)
	v_cmp_lt_i16_e32 vcc, s28, v44
	s_and_saveexec_b64 s[22:23], vcc
	s_xor_b64 s[22:23], exec, s[22:23]
	s_cbranch_execnz .LBB95_164
; %bb.72:                               ;   in Loop: Header=BB95_3 Depth=1
	s_andn2_saveexec_b64 s[22:23], s[22:23]
	s_cbranch_execnz .LBB95_165
.LBB95_73:                              ;   in Loop: Header=BB95_3 Depth=1
	s_or_b64 exec, exec, s[22:23]
	v_mov_b32_e32 v184, 0
	s_and_saveexec_b64 s[22:23], s[0:1]
	s_cbranch_execz .LBB95_75
.LBB95_74:                              ;   in Loop: Header=BB95_3 Depth=1
	v_and_b32_e32 v44, 0xffff, v44
	v_bfe_u32 v45, v44, 3, 4
	v_and_b32_e32 v44, 7, v44
	v_cvt_f32_ubyte0_e32 v44, v44
	v_fma_f32 v46, v44, s30, 1.0
	v_add_u32_e32 v47, -7, v45
	v_cmp_eq_u32_e32 vcc, 0, v45
	v_cndmask_b32_e32 v44, v46, v44, vcc
	v_cndmask_b32_e64 v45, v47, -9, vcc
	v_ldexp_f32 v44, v44, v45
	v_mul_f32_e32 v184, 0.5, v44
.LBB95_75:                              ;   in Loop: Header=BB95_3 Depth=1
	s_or_b64 exec, exec, s[22:23]
	global_load_ubyte v44, v[104:105], off
	global_load_dwordx2 v[116:117], v[100:101], off offset:4
	s_mov_b64 s[0:1], 0
	s_waitcnt vmcnt(1)
	v_cmp_lt_i16_e32 vcc, s28, v44
	s_and_saveexec_b64 s[22:23], vcc
	s_xor_b64 s[22:23], exec, s[22:23]
	s_cbranch_execnz .LBB95_166
; %bb.76:                               ;   in Loop: Header=BB95_3 Depth=1
	s_andn2_saveexec_b64 s[22:23], s[22:23]
	s_cbranch_execnz .LBB95_167
.LBB95_77:                              ;   in Loop: Header=BB95_3 Depth=1
	s_or_b64 exec, exec, s[22:23]
	v_mov_b32_e32 v185, 0
	s_and_saveexec_b64 s[22:23], s[0:1]
	s_cbranch_execz .LBB95_79
.LBB95_78:                              ;   in Loop: Header=BB95_3 Depth=1
	v_and_b32_e32 v44, 0xffff, v44
	v_bfe_u32 v45, v44, 3, 4
	v_and_b32_e32 v44, 7, v44
	v_cvt_f32_ubyte0_e32 v44, v44
	v_fma_f32 v46, v44, s30, 1.0
	v_add_u32_e32 v47, -7, v45
	v_cmp_eq_u32_e32 vcc, 0, v45
	v_cndmask_b32_e32 v44, v46, v44, vcc
	v_cndmask_b32_e64 v45, v47, -9, vcc
	v_ldexp_f32 v44, v44, v45
	v_mul_f32_e32 v185, 0.5, v44
.LBB95_79:                              ;   in Loop: Header=BB95_3 Depth=1
	s_or_b64 exec, exec, s[22:23]
	global_load_ubyte v44, v[108:109], off
	global_load_dwordx2 v[118:119], v[100:101], off offset:12
	s_mov_b64 s[0:1], 0
	s_waitcnt vmcnt(1)
	v_cmp_lt_i16_e32 vcc, s28, v44
	s_and_saveexec_b64 s[22:23], vcc
	s_xor_b64 s[22:23], exec, s[22:23]
	s_cbranch_execnz .LBB95_168
; %bb.80:                               ;   in Loop: Header=BB95_3 Depth=1
	s_andn2_saveexec_b64 s[22:23], s[22:23]
	s_cbranch_execnz .LBB95_169
.LBB95_81:                              ;   in Loop: Header=BB95_3 Depth=1
	s_or_b64 exec, exec, s[22:23]
	v_mov_b32_e32 v186, 0
	s_and_saveexec_b64 s[22:23], s[0:1]
	s_cbranch_execz .LBB95_83
.LBB95_82:                              ;   in Loop: Header=BB95_3 Depth=1
	v_and_b32_e32 v44, 0xffff, v44
	v_bfe_u32 v45, v44, 3, 4
	v_and_b32_e32 v44, 7, v44
	v_cvt_f32_ubyte0_e32 v44, v44
	v_fma_f32 v46, v44, s30, 1.0
	v_add_u32_e32 v47, -7, v45
	v_cmp_eq_u32_e32 vcc, 0, v45
	v_cndmask_b32_e32 v44, v46, v44, vcc
	v_cndmask_b32_e64 v45, v47, -9, vcc
	v_ldexp_f32 v44, v44, v45
	v_mul_f32_e32 v186, 0.5, v44
.LBB95_83:                              ;   in Loop: Header=BB95_3 Depth=1
	s_or_b64 exec, exec, s[22:23]
	v_add_u32_e32 v44, s25, v158
	v_mad_u64_u32 v[45:46], s[0:1], v44, 36, v[66:67]
	global_load_dwordx2 v[120:121], v[98:99], off offset:4
	global_load_ubyte v44, v[42:43], off
	global_load_dword v187, v[45:46], off offset:32
	global_load_dwordx4 v[50:53], v[45:46], off offset:16
	global_load_dwordx4 v[54:57], v[45:46], off
	s_mov_b64 s[0:1], 0
	s_waitcnt vmcnt(3)
	v_cmp_lt_i16_e32 vcc, s28, v44
	s_and_saveexec_b64 s[22:23], vcc
	s_xor_b64 s[22:23], exec, s[22:23]
	s_cbranch_execnz .LBB95_170
; %bb.84:                               ;   in Loop: Header=BB95_3 Depth=1
	s_andn2_saveexec_b64 s[22:23], s[22:23]
	s_cbranch_execnz .LBB95_171
.LBB95_85:                              ;   in Loop: Header=BB95_3 Depth=1
	s_or_b64 exec, exec, s[22:23]
	v_mov_b32_e32 v188, 0
	s_and_saveexec_b64 s[22:23], s[0:1]
	s_cbranch_execz .LBB95_87
.LBB95_86:                              ;   in Loop: Header=BB95_3 Depth=1
	v_and_b32_e32 v44, 0xffff, v44
	v_bfe_u32 v45, v44, 3, 4
	v_and_b32_e32 v44, 7, v44
	v_cvt_f32_ubyte0_e32 v44, v44
	v_fma_f32 v46, v44, s30, 1.0
	v_add_u32_e32 v47, -7, v45
	v_cmp_eq_u32_e32 vcc, 0, v45
	v_cndmask_b32_e32 v44, v46, v44, vcc
	v_cndmask_b32_e64 v45, v47, -9, vcc
	v_ldexp_f32 v44, v44, v45
	v_mul_f32_e32 v188, 0.5, v44
.LBB95_87:                              ;   in Loop: Header=BB95_3 Depth=1
	s_or_b64 exec, exec, s[22:23]
	global_load_ubyte v44, v[102:103], off
	global_load_dwordx2 v[122:123], v[98:99], off offset:12
	s_mov_b64 s[0:1], 0
	s_waitcnt vmcnt(1)
	v_cmp_lt_i16_e32 vcc, s28, v44
	s_and_saveexec_b64 s[22:23], vcc
	s_xor_b64 s[22:23], exec, s[22:23]
	s_cbranch_execnz .LBB95_172
; %bb.88:                               ;   in Loop: Header=BB95_3 Depth=1
	s_andn2_saveexec_b64 s[22:23], s[22:23]
	s_cbranch_execnz .LBB95_173
.LBB95_89:                              ;   in Loop: Header=BB95_3 Depth=1
	s_or_b64 exec, exec, s[22:23]
	v_mov_b32_e32 v189, 0
	s_and_saveexec_b64 s[22:23], s[0:1]
	s_cbranch_execz .LBB95_91
.LBB95_90:                              ;   in Loop: Header=BB95_3 Depth=1
	v_and_b32_e32 v44, 0xffff, v44
	v_bfe_u32 v45, v44, 3, 4
	v_and_b32_e32 v44, 7, v44
	v_cvt_f32_ubyte0_e32 v44, v44
	v_fma_f32 v46, v44, s30, 1.0
	v_add_u32_e32 v47, -7, v45
	v_cmp_eq_u32_e32 vcc, 0, v45
	v_cndmask_b32_e32 v44, v46, v44, vcc
	v_cndmask_b32_e64 v45, v47, -9, vcc
	v_ldexp_f32 v44, v44, v45
	v_mul_f32_e32 v189, 0.5, v44
.LBB95_91:                              ;   in Loop: Header=BB95_3 Depth=1
	s_or_b64 exec, exec, s[22:23]
	global_load_ubyte v44, v[104:105], off
	global_load_dwordx2 v[124:125], v[100:101], off offset:4
	s_mov_b64 s[0:1], 0
	s_waitcnt vmcnt(1)
	v_cmp_lt_i16_e32 vcc, s28, v44
	s_and_saveexec_b64 s[22:23], vcc
	s_xor_b64 s[22:23], exec, s[22:23]
	s_cbranch_execnz .LBB95_174
; %bb.92:                               ;   in Loop: Header=BB95_3 Depth=1
	s_andn2_saveexec_b64 s[22:23], s[22:23]
	s_cbranch_execnz .LBB95_175
.LBB95_93:                              ;   in Loop: Header=BB95_3 Depth=1
	s_or_b64 exec, exec, s[22:23]
	v_mov_b32_e32 v190, 0
	s_and_saveexec_b64 s[22:23], s[0:1]
	s_cbranch_execz .LBB95_95
.LBB95_94:                              ;   in Loop: Header=BB95_3 Depth=1
	v_and_b32_e32 v44, 0xffff, v44
	v_bfe_u32 v45, v44, 3, 4
	v_and_b32_e32 v44, 7, v44
	v_cvt_f32_ubyte0_e32 v44, v44
	v_fma_f32 v46, v44, s30, 1.0
	v_add_u32_e32 v47, -7, v45
	v_cmp_eq_u32_e32 vcc, 0, v45
	v_cndmask_b32_e32 v44, v46, v44, vcc
	v_cndmask_b32_e64 v45, v47, -9, vcc
	v_ldexp_f32 v44, v44, v45
	v_mul_f32_e32 v190, 0.5, v44
.LBB95_95:                              ;   in Loop: Header=BB95_3 Depth=1
	s_or_b64 exec, exec, s[22:23]
	global_load_ubyte v44, v[108:109], off
	global_load_dwordx2 v[126:127], v[100:101], off offset:12
	s_mov_b64 s[0:1], 0
	s_waitcnt vmcnt(1)
	v_cmp_lt_i16_e32 vcc, s28, v44
	s_and_saveexec_b64 s[22:23], vcc
	s_xor_b64 s[22:23], exec, s[22:23]
	s_cbranch_execnz .LBB95_176
; %bb.96:                               ;   in Loop: Header=BB95_3 Depth=1
	s_andn2_saveexec_b64 s[22:23], s[22:23]
	s_cbranch_execnz .LBB95_177
.LBB95_97:                              ;   in Loop: Header=BB95_3 Depth=1
	s_or_b64 exec, exec, s[22:23]
	v_mov_b32_e32 v191, 0
	s_and_saveexec_b64 s[22:23], s[0:1]
	s_cbranch_execz .LBB95_99
.LBB95_98:                              ;   in Loop: Header=BB95_3 Depth=1
	v_and_b32_e32 v44, 0xffff, v44
	v_bfe_u32 v45, v44, 3, 4
	v_and_b32_e32 v44, 7, v44
	v_cvt_f32_ubyte0_e32 v44, v44
	v_fma_f32 v46, v44, s30, 1.0
	v_add_u32_e32 v47, -7, v45
	v_cmp_eq_u32_e32 vcc, 0, v45
	v_cndmask_b32_e32 v44, v46, v44, vcc
	v_cndmask_b32_e64 v45, v47, -9, vcc
	v_ldexp_f32 v44, v44, v45
	v_mul_f32_e32 v191, 0.5, v44
.LBB95_99:                              ;   in Loop: Header=BB95_3 Depth=1
	s_or_b64 exec, exec, s[22:23]
	v_add_u32_e32 v44, s26, v158
	v_mad_u64_u32 v[45:46], s[0:1], v44, 36, v[66:67]
	global_load_dwordx2 v[128:129], v[98:99], off offset:4
	global_load_ubyte v44, v[42:43], off
	global_load_dword v192, v[45:46], off offset:32
	global_load_dwordx4 v[58:61], v[45:46], off offset:16
	global_load_dwordx4 v[62:65], v[45:46], off
	s_mov_b64 s[0:1], 0
	s_waitcnt vmcnt(3)
	v_cmp_lt_i16_e32 vcc, s28, v44
	s_and_saveexec_b64 s[22:23], vcc
	s_xor_b64 s[22:23], exec, s[22:23]
	s_cbranch_execnz .LBB95_178
; %bb.100:                              ;   in Loop: Header=BB95_3 Depth=1
	s_andn2_saveexec_b64 s[22:23], s[22:23]
	s_cbranch_execnz .LBB95_179
.LBB95_101:                             ;   in Loop: Header=BB95_3 Depth=1
	s_or_b64 exec, exec, s[22:23]
	v_mov_b32_e32 v193, 0
	s_and_saveexec_b64 s[22:23], s[0:1]
	s_cbranch_execz .LBB95_103
.LBB95_102:                             ;   in Loop: Header=BB95_3 Depth=1
	v_and_b32_e32 v44, 0xffff, v44
	v_bfe_u32 v45, v44, 3, 4
	v_and_b32_e32 v44, 7, v44
	v_cvt_f32_ubyte0_e32 v44, v44
	v_fma_f32 v46, v44, s30, 1.0
	v_add_u32_e32 v47, -7, v45
	v_cmp_eq_u32_e32 vcc, 0, v45
	v_cndmask_b32_e32 v44, v46, v44, vcc
	v_cndmask_b32_e64 v45, v47, -9, vcc
	v_ldexp_f32 v44, v44, v45
	v_mul_f32_e32 v193, 0.5, v44
.LBB95_103:                             ;   in Loop: Header=BB95_3 Depth=1
	s_or_b64 exec, exec, s[22:23]
	global_load_ubyte v44, v[102:103], off
	global_load_dwordx2 v[130:131], v[98:99], off offset:12
	s_mov_b64 s[0:1], 0
	s_waitcnt vmcnt(1)
	v_cmp_lt_i16_e32 vcc, s28, v44
	s_and_saveexec_b64 s[22:23], vcc
	s_xor_b64 s[22:23], exec, s[22:23]
	s_cbranch_execnz .LBB95_180
; %bb.104:                              ;   in Loop: Header=BB95_3 Depth=1
	s_andn2_saveexec_b64 s[22:23], s[22:23]
	s_cbranch_execnz .LBB95_181
.LBB95_105:                             ;   in Loop: Header=BB95_3 Depth=1
	s_or_b64 exec, exec, s[22:23]
	v_mov_b32_e32 v194, 0
	s_and_saveexec_b64 s[22:23], s[0:1]
	s_cbranch_execz .LBB95_107
.LBB95_106:                             ;   in Loop: Header=BB95_3 Depth=1
	v_and_b32_e32 v44, 0xffff, v44
	v_bfe_u32 v45, v44, 3, 4
	v_and_b32_e32 v44, 7, v44
	v_cvt_f32_ubyte0_e32 v44, v44
	v_fma_f32 v46, v44, s30, 1.0
	v_add_u32_e32 v47, -7, v45
	v_cmp_eq_u32_e32 vcc, 0, v45
	v_cndmask_b32_e32 v44, v46, v44, vcc
	v_cndmask_b32_e64 v45, v47, -9, vcc
	v_ldexp_f32 v44, v44, v45
	v_mul_f32_e32 v194, 0.5, v44
.LBB95_107:                             ;   in Loop: Header=BB95_3 Depth=1
	s_or_b64 exec, exec, s[22:23]
	global_load_ubyte v44, v[104:105], off
	global_load_dwordx2 v[132:133], v[100:101], off offset:4
	s_mov_b64 s[0:1], 0
	s_waitcnt vmcnt(1)
	v_cmp_lt_i16_e32 vcc, s28, v44
	s_and_saveexec_b64 s[22:23], vcc
	s_xor_b64 s[22:23], exec, s[22:23]
	s_cbranch_execnz .LBB95_182
; %bb.108:                              ;   in Loop: Header=BB95_3 Depth=1
	s_andn2_saveexec_b64 s[22:23], s[22:23]
	s_cbranch_execnz .LBB95_183
.LBB95_109:                             ;   in Loop: Header=BB95_3 Depth=1
	s_or_b64 exec, exec, s[22:23]
	v_mov_b32_e32 v195, 0
	s_and_saveexec_b64 s[22:23], s[0:1]
	s_cbranch_execz .LBB95_111
.LBB95_110:                             ;   in Loop: Header=BB95_3 Depth=1
	v_and_b32_e32 v44, 0xffff, v44
	v_bfe_u32 v45, v44, 3, 4
	v_and_b32_e32 v44, 7, v44
	v_cvt_f32_ubyte0_e32 v44, v44
	v_fma_f32 v46, v44, s30, 1.0
	v_add_u32_e32 v47, -7, v45
	v_cmp_eq_u32_e32 vcc, 0, v45
	v_cndmask_b32_e32 v44, v46, v44, vcc
	v_cndmask_b32_e64 v45, v47, -9, vcc
	v_ldexp_f32 v44, v44, v45
	v_mul_f32_e32 v195, 0.5, v44
.LBB95_111:                             ;   in Loop: Header=BB95_3 Depth=1
	s_or_b64 exec, exec, s[22:23]
	global_load_ubyte v44, v[108:109], off
	global_load_dwordx2 v[134:135], v[100:101], off offset:12
	s_mov_b64 s[0:1], 0
	s_waitcnt vmcnt(1)
	v_cmp_lt_i16_e32 vcc, s28, v44
	s_and_saveexec_b64 s[22:23], vcc
	s_xor_b64 s[22:23], exec, s[22:23]
	s_cbranch_execnz .LBB95_184
; %bb.112:                              ;   in Loop: Header=BB95_3 Depth=1
	s_andn2_saveexec_b64 s[22:23], s[22:23]
	s_cbranch_execnz .LBB95_185
.LBB95_113:                             ;   in Loop: Header=BB95_3 Depth=1
	s_or_b64 exec, exec, s[22:23]
	v_mov_b32_e32 v196, 0
	s_and_saveexec_b64 s[22:23], s[0:1]
	s_cbranch_execz .LBB95_115
.LBB95_114:                             ;   in Loop: Header=BB95_3 Depth=1
	v_and_b32_e32 v44, 0xffff, v44
	v_bfe_u32 v45, v44, 3, 4
	v_and_b32_e32 v44, 7, v44
	v_cvt_f32_ubyte0_e32 v44, v44
	v_fma_f32 v46, v44, s30, 1.0
	v_add_u32_e32 v47, -7, v45
	v_cmp_eq_u32_e32 vcc, 0, v45
	v_cndmask_b32_e32 v44, v46, v44, vcc
	v_cndmask_b32_e64 v45, v47, -9, vcc
	v_ldexp_f32 v44, v44, v45
	v_mul_f32_e32 v196, 0.5, v44
.LBB95_115:                             ;   in Loop: Header=BB95_3 Depth=1
	s_or_b64 exec, exec, s[22:23]
	v_add_u32_e32 v44, s27, v158
	v_mad_u64_u32 v[46:47], s[0:1], v44, 36, v[66:67]
	global_load_dwordx2 v[136:137], v[98:99], off offset:4
	global_load_ubyte v198, v[42:43], off
	global_load_dword v182, v[46:47], off offset:32
	s_nop 0
	global_load_dwordx4 v[42:45], v[46:47], off offset:16
	s_nop 0
	global_load_dwordx4 v[46:49], v[46:47], off
	s_mov_b64 s[0:1], 0
	s_waitcnt vmcnt(3)
	v_cmp_lt_i16_e32 vcc, s28, v198
	s_and_saveexec_b64 s[22:23], vcc
	s_xor_b64 s[22:23], exec, s[22:23]
	s_cbranch_execnz .LBB95_186
; %bb.116:                              ;   in Loop: Header=BB95_3 Depth=1
	s_andn2_saveexec_b64 s[22:23], s[22:23]
	s_cbranch_execnz .LBB95_187
.LBB95_117:                             ;   in Loop: Header=BB95_3 Depth=1
	s_or_b64 exec, exec, s[22:23]
	v_mov_b32_e32 v197, 0
	s_and_saveexec_b64 s[22:23], s[0:1]
	s_cbranch_execz .LBB95_119
.LBB95_118:                             ;   in Loop: Header=BB95_3 Depth=1
	v_and_b32_e32 v197, 0xffff, v198
	v_bfe_u32 v198, v197, 3, 4
	v_and_b32_e32 v197, 7, v197
	v_cvt_f32_ubyte0_e32 v197, v197
	v_fma_f32 v199, v197, s30, 1.0
	v_add_u32_e32 v200, -7, v198
	v_cmp_eq_u32_e32 vcc, 0, v198
	v_cndmask_b32_e32 v197, v199, v197, vcc
	v_cndmask_b32_e64 v198, v200, -9, vcc
	v_ldexp_f32 v197, v197, v198
	v_mul_f32_e32 v197, 0.5, v197
.LBB95_119:                             ;   in Loop: Header=BB95_3 Depth=1
	s_or_b64 exec, exec, s[22:23]
	global_load_ubyte v199, v[102:103], off
	s_nop 0
	global_load_dwordx2 v[102:103], v[98:99], off offset:12
	s_mov_b64 s[0:1], 0
	s_waitcnt vmcnt(1)
	v_cmp_lt_i16_e32 vcc, s28, v199
	s_and_saveexec_b64 s[22:23], vcc
	s_xor_b64 s[22:23], exec, s[22:23]
	s_cbranch_execnz .LBB95_188
; %bb.120:                              ;   in Loop: Header=BB95_3 Depth=1
	s_andn2_saveexec_b64 s[22:23], s[22:23]
	s_cbranch_execnz .LBB95_189
.LBB95_121:                             ;   in Loop: Header=BB95_3 Depth=1
	s_or_b64 exec, exec, s[22:23]
	v_mov_b32_e32 v198, 0
	s_and_saveexec_b64 s[22:23], s[0:1]
	s_cbranch_execz .LBB95_123
.LBB95_122:                             ;   in Loop: Header=BB95_3 Depth=1
	v_and_b32_e32 v98, 0xffff, v199
	v_bfe_u32 v99, v98, 3, 4
	v_and_b32_e32 v98, 7, v98
	v_cvt_f32_ubyte0_e32 v98, v98
	v_fma_f32 v198, v98, s30, 1.0
	v_add_u32_e32 v199, -7, v99
	v_cmp_eq_u32_e32 vcc, 0, v99
	v_cndmask_b32_e32 v98, v198, v98, vcc
	v_cndmask_b32_e64 v99, v199, -9, vcc
	v_ldexp_f32 v98, v98, v99
	v_mul_f32_e32 v198, 0.5, v98
.LBB95_123:                             ;   in Loop: Header=BB95_3 Depth=1
	s_or_b64 exec, exec, s[22:23]
	global_load_ubyte v105, v[104:105], off
	s_nop 0
	global_load_dwordx2 v[98:99], v[100:101], off offset:4
	s_mov_b64 s[0:1], 0
	s_waitcnt vmcnt(1)
	v_cmp_lt_i16_e32 vcc, s28, v105
	s_and_saveexec_b64 s[22:23], vcc
	s_xor_b64 s[22:23], exec, s[22:23]
	s_cbranch_execnz .LBB95_190
; %bb.124:                              ;   in Loop: Header=BB95_3 Depth=1
	s_andn2_saveexec_b64 s[22:23], s[22:23]
	s_cbranch_execnz .LBB95_191
.LBB95_125:                             ;   in Loop: Header=BB95_3 Depth=1
	s_or_b64 exec, exec, s[22:23]
	v_mov_b32_e32 v104, 0
	s_and_saveexec_b64 s[22:23], s[0:1]
	s_cbranch_execz .LBB95_127
.LBB95_126:                             ;   in Loop: Header=BB95_3 Depth=1
	v_and_b32_e32 v104, 0xffff, v105
	v_bfe_u32 v105, v104, 3, 4
	v_and_b32_e32 v104, 7, v104
	v_cvt_f32_ubyte0_e32 v104, v104
	v_fma_f32 v199, v104, s30, 1.0
	v_add_u32_e32 v200, -7, v105
	v_cmp_eq_u32_e32 vcc, 0, v105
	v_cndmask_b32_e32 v104, v199, v104, vcc
	v_cndmask_b32_e64 v105, v200, -9, vcc
	v_ldexp_f32 v104, v104, v105
	v_mul_f32_e32 v104, 0.5, v104
.LBB95_127:                             ;   in Loop: Header=BB95_3 Depth=1
	s_or_b64 exec, exec, s[22:23]
	global_load_ubyte v108, v[108:109], off
	s_nop 0
	global_load_dwordx2 v[100:101], v[100:101], off offset:12
	s_mov_b64 s[0:1], 0
	s_waitcnt vmcnt(1)
	v_cmp_lt_i16_e32 vcc, s28, v108
	s_and_saveexec_b64 s[22:23], vcc
	s_xor_b64 s[22:23], exec, s[22:23]
	s_cbranch_execnz .LBB95_192
; %bb.128:                              ;   in Loop: Header=BB95_3 Depth=1
	s_andn2_saveexec_b64 s[22:23], s[22:23]
	s_cbranch_execnz .LBB95_193
.LBB95_129:                             ;   in Loop: Header=BB95_3 Depth=1
	s_or_b64 exec, exec, s[22:23]
	v_mov_b32_e32 v105, 0
	s_and_saveexec_b64 s[22:23], s[0:1]
	s_cbranch_execz .LBB95_2
	s_branch .LBB95_194
.LBB95_130:                             ;   in Loop: Header=BB95_3 Depth=1
	v_cmp_ne_u16_e32 vcc, s29, v13
	s_and_b64 s[0:1], vcc, exec
	s_andn2_saveexec_b64 s[22:23], s[22:23]
	s_cbranch_execz .LBB95_5
.LBB95_131:                             ;   in Loop: Header=BB95_3 Depth=1
	v_cmp_ne_u16_e32 vcc, 0, v13
	s_andn2_b64 s[0:1], s[0:1], exec
	s_and_b64 s[34:35], vcc, exec
	s_or_b64 s[0:1], s[0:1], s[34:35]
	s_or_b64 exec, exec, s[22:23]
	v_mov_b32_e32 v162, 0
	s_and_saveexec_b64 s[22:23], s[0:1]
	s_cbranch_execnz .LBB95_6
	s_branch .LBB95_7
.LBB95_132:                             ;   in Loop: Header=BB95_3 Depth=1
	v_cmp_ne_u16_e32 vcc, s29, v10
	s_and_b64 s[0:1], vcc, exec
	s_andn2_saveexec_b64 s[22:23], s[22:23]
	s_cbranch_execz .LBB95_9
.LBB95_133:                             ;   in Loop: Header=BB95_3 Depth=1
	v_cmp_ne_u16_e32 vcc, 0, v10
	s_andn2_b64 s[0:1], s[0:1], exec
	s_and_b64 s[34:35], vcc, exec
	s_or_b64 s[0:1], s[0:1], s[34:35]
	s_or_b64 exec, exec, s[22:23]
	v_mov_b32_e32 v163, 0
	s_and_saveexec_b64 s[22:23], s[0:1]
	s_cbranch_execnz .LBB95_10
	s_branch .LBB95_11
.LBB95_134:                             ;   in Loop: Header=BB95_3 Depth=1
	v_cmp_ne_u16_e32 vcc, s29, v13
	s_and_b64 s[0:1], vcc, exec
	s_andn2_saveexec_b64 s[22:23], s[22:23]
	s_cbranch_execz .LBB95_13
.LBB95_135:                             ;   in Loop: Header=BB95_3 Depth=1
	v_cmp_ne_u16_e32 vcc, 0, v13
	s_andn2_b64 s[0:1], s[0:1], exec
	s_and_b64 s[34:35], vcc, exec
	s_or_b64 s[0:1], s[0:1], s[34:35]
	s_or_b64 exec, exec, s[22:23]
	v_mov_b32_e32 v164, 0
	s_and_saveexec_b64 s[22:23], s[0:1]
	s_cbranch_execnz .LBB95_14
	s_branch .LBB95_15
.LBB95_136:                             ;   in Loop: Header=BB95_3 Depth=1
	v_cmp_ne_u16_e32 vcc, s29, v10
	s_and_b64 s[0:1], vcc, exec
	s_andn2_saveexec_b64 s[22:23], s[22:23]
	s_cbranch_execz .LBB95_17
.LBB95_137:                             ;   in Loop: Header=BB95_3 Depth=1
	v_cmp_ne_u16_e32 vcc, 0, v10
	s_andn2_b64 s[0:1], s[0:1], exec
	s_and_b64 s[34:35], vcc, exec
	s_or_b64 s[0:1], s[0:1], s[34:35]
	s_or_b64 exec, exec, s[22:23]
	v_mov_b32_e32 v165, 0
	s_and_saveexec_b64 s[22:23], s[0:1]
	s_cbranch_execnz .LBB95_18
	s_branch .LBB95_19
.LBB95_138:                             ;   in Loop: Header=BB95_3 Depth=1
	v_cmp_ne_u16_e32 vcc, s29, v18
	s_and_b64 s[0:1], vcc, exec
	s_andn2_saveexec_b64 s[22:23], s[22:23]
	s_cbranch_execz .LBB95_21
.LBB95_139:                             ;   in Loop: Header=BB95_3 Depth=1
	v_cmp_ne_u16_e32 vcc, 0, v18
	s_andn2_b64 s[0:1], s[0:1], exec
	s_and_b64 s[34:35], vcc, exec
	s_or_b64 s[0:1], s[0:1], s[34:35]
	s_or_b64 exec, exec, s[22:23]
	v_mov_b32_e32 v167, 0
	s_and_saveexec_b64 s[22:23], s[0:1]
	s_cbranch_execnz .LBB95_22
	s_branch .LBB95_23
.LBB95_140:                             ;   in Loop: Header=BB95_3 Depth=1
	v_cmp_ne_u16_e32 vcc, s29, v18
	s_and_b64 s[0:1], vcc, exec
	s_andn2_saveexec_b64 s[22:23], s[22:23]
	s_cbranch_execz .LBB95_25
.LBB95_141:                             ;   in Loop: Header=BB95_3 Depth=1
	v_cmp_ne_u16_e32 vcc, 0, v18
	s_andn2_b64 s[0:1], s[0:1], exec
	s_and_b64 s[34:35], vcc, exec
	s_or_b64 s[0:1], s[0:1], s[34:35]
	s_or_b64 exec, exec, s[22:23]
	v_mov_b32_e32 v168, 0
	s_and_saveexec_b64 s[22:23], s[0:1]
	s_cbranch_execnz .LBB95_26
	s_branch .LBB95_27
.LBB95_142:                             ;   in Loop: Header=BB95_3 Depth=1
	v_cmp_ne_u16_e32 vcc, s29, v18
	s_and_b64 s[0:1], vcc, exec
	s_andn2_saveexec_b64 s[22:23], s[22:23]
	s_cbranch_execz .LBB95_29
.LBB95_143:                             ;   in Loop: Header=BB95_3 Depth=1
	v_cmp_ne_u16_e32 vcc, 0, v18
	s_andn2_b64 s[0:1], s[0:1], exec
	s_and_b64 s[34:35], vcc, exec
	s_or_b64 s[0:1], s[0:1], s[34:35]
	s_or_b64 exec, exec, s[22:23]
	v_mov_b32_e32 v169, 0
	s_and_saveexec_b64 s[22:23], s[0:1]
	s_cbranch_execnz .LBB95_30
	s_branch .LBB95_31
.LBB95_144:                             ;   in Loop: Header=BB95_3 Depth=1
	v_cmp_ne_u16_e32 vcc, s29, v18
	s_and_b64 s[0:1], vcc, exec
	s_andn2_saveexec_b64 s[22:23], s[22:23]
	s_cbranch_execz .LBB95_33
.LBB95_145:                             ;   in Loop: Header=BB95_3 Depth=1
	v_cmp_ne_u16_e32 vcc, 0, v18
	s_andn2_b64 s[0:1], s[0:1], exec
	s_and_b64 s[34:35], vcc, exec
	s_or_b64 s[0:1], s[0:1], s[34:35]
	s_or_b64 exec, exec, s[22:23]
	v_mov_b32_e32 v170, 0
	s_and_saveexec_b64 s[22:23], s[0:1]
	s_cbranch_execnz .LBB95_34
	s_branch .LBB95_35
.LBB95_146:                             ;   in Loop: Header=BB95_3 Depth=1
	v_cmp_ne_u16_e32 vcc, s29, v26
	s_and_b64 s[0:1], vcc, exec
	s_andn2_saveexec_b64 s[22:23], s[22:23]
	s_cbranch_execz .LBB95_37
.LBB95_147:                             ;   in Loop: Header=BB95_3 Depth=1
	v_cmp_ne_u16_e32 vcc, 0, v26
	s_andn2_b64 s[0:1], s[0:1], exec
	s_and_b64 s[34:35], vcc, exec
	s_or_b64 s[0:1], s[0:1], s[34:35]
	s_or_b64 exec, exec, s[22:23]
	v_mov_b32_e32 v172, 0
	s_and_saveexec_b64 s[22:23], s[0:1]
	s_cbranch_execnz .LBB95_38
	s_branch .LBB95_39
.LBB95_148:                             ;   in Loop: Header=BB95_3 Depth=1
	v_cmp_ne_u16_e32 vcc, s29, v26
	s_and_b64 s[0:1], vcc, exec
	s_andn2_saveexec_b64 s[22:23], s[22:23]
	s_cbranch_execz .LBB95_41
.LBB95_149:                             ;   in Loop: Header=BB95_3 Depth=1
	v_cmp_ne_u16_e32 vcc, 0, v26
	s_andn2_b64 s[0:1], s[0:1], exec
	s_and_b64 s[34:35], vcc, exec
	s_or_b64 s[0:1], s[0:1], s[34:35]
	s_or_b64 exec, exec, s[22:23]
	v_mov_b32_e32 v173, 0
	s_and_saveexec_b64 s[22:23], s[0:1]
	s_cbranch_execnz .LBB95_42
	s_branch .LBB95_43
.LBB95_150:                             ;   in Loop: Header=BB95_3 Depth=1
	v_cmp_ne_u16_e32 vcc, s29, v26
	s_and_b64 s[0:1], vcc, exec
	s_andn2_saveexec_b64 s[22:23], s[22:23]
	s_cbranch_execz .LBB95_45
.LBB95_151:                             ;   in Loop: Header=BB95_3 Depth=1
	v_cmp_ne_u16_e32 vcc, 0, v26
	s_andn2_b64 s[0:1], s[0:1], exec
	s_and_b64 s[34:35], vcc, exec
	s_or_b64 s[0:1], s[0:1], s[34:35]
	s_or_b64 exec, exec, s[22:23]
	v_mov_b32_e32 v174, 0
	s_and_saveexec_b64 s[22:23], s[0:1]
	s_cbranch_execnz .LBB95_46
	s_branch .LBB95_47
.LBB95_152:                             ;   in Loop: Header=BB95_3 Depth=1
	v_cmp_ne_u16_e32 vcc, s29, v26
	s_and_b64 s[0:1], vcc, exec
	s_andn2_saveexec_b64 s[22:23], s[22:23]
	s_cbranch_execz .LBB95_49
.LBB95_153:                             ;   in Loop: Header=BB95_3 Depth=1
	v_cmp_ne_u16_e32 vcc, 0, v26
	s_andn2_b64 s[0:1], s[0:1], exec
	s_and_b64 s[34:35], vcc, exec
	s_or_b64 s[0:1], s[0:1], s[34:35]
	s_or_b64 exec, exec, s[22:23]
	v_mov_b32_e32 v175, 0
	s_and_saveexec_b64 s[22:23], s[0:1]
	s_cbranch_execnz .LBB95_50
	s_branch .LBB95_51
.LBB95_154:                             ;   in Loop: Header=BB95_3 Depth=1
	v_cmp_ne_u16_e32 vcc, s29, v34
	s_and_b64 s[0:1], vcc, exec
	s_andn2_saveexec_b64 s[22:23], s[22:23]
	s_cbranch_execz .LBB95_53
.LBB95_155:                             ;   in Loop: Header=BB95_3 Depth=1
	v_cmp_ne_u16_e32 vcc, 0, v34
	s_andn2_b64 s[0:1], s[0:1], exec
	s_and_b64 s[34:35], vcc, exec
	s_or_b64 s[0:1], s[0:1], s[34:35]
	s_or_b64 exec, exec, s[22:23]
	v_mov_b32_e32 v177, 0
	s_and_saveexec_b64 s[22:23], s[0:1]
	s_cbranch_execnz .LBB95_54
	s_branch .LBB95_55
.LBB95_156:                             ;   in Loop: Header=BB95_3 Depth=1
	v_cmp_ne_u16_e32 vcc, s29, v34
	s_and_b64 s[0:1], vcc, exec
	s_andn2_saveexec_b64 s[22:23], s[22:23]
	s_cbranch_execz .LBB95_57
.LBB95_157:                             ;   in Loop: Header=BB95_3 Depth=1
	v_cmp_ne_u16_e32 vcc, 0, v34
	s_andn2_b64 s[0:1], s[0:1], exec
	s_and_b64 s[34:35], vcc, exec
	s_or_b64 s[0:1], s[0:1], s[34:35]
	s_or_b64 exec, exec, s[22:23]
	v_mov_b32_e32 v178, 0
	s_and_saveexec_b64 s[22:23], s[0:1]
	s_cbranch_execnz .LBB95_58
	s_branch .LBB95_59
.LBB95_158:                             ;   in Loop: Header=BB95_3 Depth=1
	v_cmp_ne_u16_e32 vcc, s29, v34
	s_and_b64 s[0:1], vcc, exec
	s_andn2_saveexec_b64 s[22:23], s[22:23]
	s_cbranch_execz .LBB95_61
.LBB95_159:                             ;   in Loop: Header=BB95_3 Depth=1
	v_cmp_ne_u16_e32 vcc, 0, v34
	s_andn2_b64 s[0:1], s[0:1], exec
	s_and_b64 s[34:35], vcc, exec
	s_or_b64 s[0:1], s[0:1], s[34:35]
	s_or_b64 exec, exec, s[22:23]
	v_mov_b32_e32 v179, 0
	s_and_saveexec_b64 s[22:23], s[0:1]
	s_cbranch_execnz .LBB95_62
	s_branch .LBB95_63
.LBB95_160:                             ;   in Loop: Header=BB95_3 Depth=1
	v_cmp_ne_u16_e32 vcc, s29, v34
	s_and_b64 s[0:1], vcc, exec
	s_andn2_saveexec_b64 s[22:23], s[22:23]
	s_cbranch_execz .LBB95_65
.LBB95_161:                             ;   in Loop: Header=BB95_3 Depth=1
	v_cmp_ne_u16_e32 vcc, 0, v34
	s_andn2_b64 s[0:1], s[0:1], exec
	s_and_b64 s[34:35], vcc, exec
	s_or_b64 s[0:1], s[0:1], s[34:35]
	s_or_b64 exec, exec, s[22:23]
	v_mov_b32_e32 v180, 0
	s_and_saveexec_b64 s[22:23], s[0:1]
	s_cbranch_execnz .LBB95_66
	s_branch .LBB95_67
.LBB95_162:                             ;   in Loop: Header=BB95_3 Depth=1
	v_cmp_ne_u16_e32 vcc, s29, v44
	s_and_b64 s[0:1], vcc, exec
	s_andn2_saveexec_b64 s[22:23], s[22:23]
	s_cbranch_execz .LBB95_69
.LBB95_163:                             ;   in Loop: Header=BB95_3 Depth=1
	v_cmp_ne_u16_e32 vcc, 0, v44
	s_andn2_b64 s[0:1], s[0:1], exec
	s_and_b64 s[34:35], vcc, exec
	s_or_b64 s[0:1], s[0:1], s[34:35]
	s_or_b64 exec, exec, s[22:23]
	v_mov_b32_e32 v183, 0
	s_and_saveexec_b64 s[22:23], s[0:1]
	s_cbranch_execnz .LBB95_70
	s_branch .LBB95_71
.LBB95_164:                             ;   in Loop: Header=BB95_3 Depth=1
	v_cmp_ne_u16_e32 vcc, s29, v44
	s_and_b64 s[0:1], vcc, exec
	s_andn2_saveexec_b64 s[22:23], s[22:23]
	s_cbranch_execz .LBB95_73
.LBB95_165:                             ;   in Loop: Header=BB95_3 Depth=1
	v_cmp_ne_u16_e32 vcc, 0, v44
	s_andn2_b64 s[0:1], s[0:1], exec
	s_and_b64 s[34:35], vcc, exec
	s_or_b64 s[0:1], s[0:1], s[34:35]
	s_or_b64 exec, exec, s[22:23]
	v_mov_b32_e32 v184, 0
	s_and_saveexec_b64 s[22:23], s[0:1]
	s_cbranch_execnz .LBB95_74
	s_branch .LBB95_75
.LBB95_166:                             ;   in Loop: Header=BB95_3 Depth=1
	v_cmp_ne_u16_e32 vcc, s29, v44
	s_and_b64 s[0:1], vcc, exec
	s_andn2_saveexec_b64 s[22:23], s[22:23]
	s_cbranch_execz .LBB95_77
.LBB95_167:                             ;   in Loop: Header=BB95_3 Depth=1
	v_cmp_ne_u16_e32 vcc, 0, v44
	s_andn2_b64 s[0:1], s[0:1], exec
	s_and_b64 s[34:35], vcc, exec
	s_or_b64 s[0:1], s[0:1], s[34:35]
	s_or_b64 exec, exec, s[22:23]
	v_mov_b32_e32 v185, 0
	s_and_saveexec_b64 s[22:23], s[0:1]
	s_cbranch_execnz .LBB95_78
	s_branch .LBB95_79
.LBB95_168:                             ;   in Loop: Header=BB95_3 Depth=1
	v_cmp_ne_u16_e32 vcc, s29, v44
	s_and_b64 s[0:1], vcc, exec
	s_andn2_saveexec_b64 s[22:23], s[22:23]
	s_cbranch_execz .LBB95_81
.LBB95_169:                             ;   in Loop: Header=BB95_3 Depth=1
	v_cmp_ne_u16_e32 vcc, 0, v44
	s_andn2_b64 s[0:1], s[0:1], exec
	s_and_b64 s[34:35], vcc, exec
	s_or_b64 s[0:1], s[0:1], s[34:35]
	s_or_b64 exec, exec, s[22:23]
	v_mov_b32_e32 v186, 0
	s_and_saveexec_b64 s[22:23], s[0:1]
	s_cbranch_execnz .LBB95_82
	s_branch .LBB95_83
.LBB95_170:                             ;   in Loop: Header=BB95_3 Depth=1
	v_cmp_ne_u16_e32 vcc, s29, v44
	s_and_b64 s[0:1], vcc, exec
	s_andn2_saveexec_b64 s[22:23], s[22:23]
	s_cbranch_execz .LBB95_85
.LBB95_171:                             ;   in Loop: Header=BB95_3 Depth=1
	v_cmp_ne_u16_e32 vcc, 0, v44
	s_andn2_b64 s[0:1], s[0:1], exec
	s_and_b64 s[34:35], vcc, exec
	s_or_b64 s[0:1], s[0:1], s[34:35]
	s_or_b64 exec, exec, s[22:23]
	v_mov_b32_e32 v188, 0
	s_and_saveexec_b64 s[22:23], s[0:1]
	s_cbranch_execnz .LBB95_86
	s_branch .LBB95_87
.LBB95_172:                             ;   in Loop: Header=BB95_3 Depth=1
	v_cmp_ne_u16_e32 vcc, s29, v44
	s_and_b64 s[0:1], vcc, exec
	s_andn2_saveexec_b64 s[22:23], s[22:23]
	s_cbranch_execz .LBB95_89
.LBB95_173:                             ;   in Loop: Header=BB95_3 Depth=1
	v_cmp_ne_u16_e32 vcc, 0, v44
	s_andn2_b64 s[0:1], s[0:1], exec
	s_and_b64 s[34:35], vcc, exec
	s_or_b64 s[0:1], s[0:1], s[34:35]
	s_or_b64 exec, exec, s[22:23]
	v_mov_b32_e32 v189, 0
	s_and_saveexec_b64 s[22:23], s[0:1]
	s_cbranch_execnz .LBB95_90
	s_branch .LBB95_91
.LBB95_174:                             ;   in Loop: Header=BB95_3 Depth=1
	v_cmp_ne_u16_e32 vcc, s29, v44
	s_and_b64 s[0:1], vcc, exec
	s_andn2_saveexec_b64 s[22:23], s[22:23]
	s_cbranch_execz .LBB95_93
.LBB95_175:                             ;   in Loop: Header=BB95_3 Depth=1
	v_cmp_ne_u16_e32 vcc, 0, v44
	s_andn2_b64 s[0:1], s[0:1], exec
	s_and_b64 s[34:35], vcc, exec
	s_or_b64 s[0:1], s[0:1], s[34:35]
	s_or_b64 exec, exec, s[22:23]
	v_mov_b32_e32 v190, 0
	s_and_saveexec_b64 s[22:23], s[0:1]
	s_cbranch_execnz .LBB95_94
	s_branch .LBB95_95
.LBB95_176:                             ;   in Loop: Header=BB95_3 Depth=1
	v_cmp_ne_u16_e32 vcc, s29, v44
	s_and_b64 s[0:1], vcc, exec
	s_andn2_saveexec_b64 s[22:23], s[22:23]
	s_cbranch_execz .LBB95_97
.LBB95_177:                             ;   in Loop: Header=BB95_3 Depth=1
	v_cmp_ne_u16_e32 vcc, 0, v44
	s_andn2_b64 s[0:1], s[0:1], exec
	s_and_b64 s[34:35], vcc, exec
	s_or_b64 s[0:1], s[0:1], s[34:35]
	s_or_b64 exec, exec, s[22:23]
	v_mov_b32_e32 v191, 0
	s_and_saveexec_b64 s[22:23], s[0:1]
	s_cbranch_execnz .LBB95_98
	s_branch .LBB95_99
.LBB95_178:                             ;   in Loop: Header=BB95_3 Depth=1
	v_cmp_ne_u16_e32 vcc, s29, v44
	s_and_b64 s[0:1], vcc, exec
	s_andn2_saveexec_b64 s[22:23], s[22:23]
	s_cbranch_execz .LBB95_101
.LBB95_179:                             ;   in Loop: Header=BB95_3 Depth=1
	v_cmp_ne_u16_e32 vcc, 0, v44
	s_andn2_b64 s[0:1], s[0:1], exec
	s_and_b64 s[34:35], vcc, exec
	s_or_b64 s[0:1], s[0:1], s[34:35]
	s_or_b64 exec, exec, s[22:23]
	v_mov_b32_e32 v193, 0
	s_and_saveexec_b64 s[22:23], s[0:1]
	s_cbranch_execnz .LBB95_102
	s_branch .LBB95_103
.LBB95_180:                             ;   in Loop: Header=BB95_3 Depth=1
	v_cmp_ne_u16_e32 vcc, s29, v44
	s_and_b64 s[0:1], vcc, exec
	s_andn2_saveexec_b64 s[22:23], s[22:23]
	s_cbranch_execz .LBB95_105
.LBB95_181:                             ;   in Loop: Header=BB95_3 Depth=1
	v_cmp_ne_u16_e32 vcc, 0, v44
	s_andn2_b64 s[0:1], s[0:1], exec
	s_and_b64 s[34:35], vcc, exec
	s_or_b64 s[0:1], s[0:1], s[34:35]
	s_or_b64 exec, exec, s[22:23]
	v_mov_b32_e32 v194, 0
	s_and_saveexec_b64 s[22:23], s[0:1]
	s_cbranch_execnz .LBB95_106
	s_branch .LBB95_107
.LBB95_182:                             ;   in Loop: Header=BB95_3 Depth=1
	v_cmp_ne_u16_e32 vcc, s29, v44
	s_and_b64 s[0:1], vcc, exec
	s_andn2_saveexec_b64 s[22:23], s[22:23]
	s_cbranch_execz .LBB95_109
.LBB95_183:                             ;   in Loop: Header=BB95_3 Depth=1
	v_cmp_ne_u16_e32 vcc, 0, v44
	s_andn2_b64 s[0:1], s[0:1], exec
	s_and_b64 s[34:35], vcc, exec
	s_or_b64 s[0:1], s[0:1], s[34:35]
	s_or_b64 exec, exec, s[22:23]
	v_mov_b32_e32 v195, 0
	s_and_saveexec_b64 s[22:23], s[0:1]
	s_cbranch_execnz .LBB95_110
	s_branch .LBB95_111
.LBB95_184:                             ;   in Loop: Header=BB95_3 Depth=1
	v_cmp_ne_u16_e32 vcc, s29, v44
	s_and_b64 s[0:1], vcc, exec
	s_andn2_saveexec_b64 s[22:23], s[22:23]
	s_cbranch_execz .LBB95_113
.LBB95_185:                             ;   in Loop: Header=BB95_3 Depth=1
	v_cmp_ne_u16_e32 vcc, 0, v44
	s_andn2_b64 s[0:1], s[0:1], exec
	s_and_b64 s[34:35], vcc, exec
	s_or_b64 s[0:1], s[0:1], s[34:35]
	s_or_b64 exec, exec, s[22:23]
	v_mov_b32_e32 v196, 0
	s_and_saveexec_b64 s[22:23], s[0:1]
	s_cbranch_execnz .LBB95_114
	s_branch .LBB95_115
.LBB95_186:                             ;   in Loop: Header=BB95_3 Depth=1
	v_cmp_ne_u16_e32 vcc, s29, v198
	s_and_b64 s[0:1], vcc, exec
	s_andn2_saveexec_b64 s[22:23], s[22:23]
	s_cbranch_execz .LBB95_117
.LBB95_187:                             ;   in Loop: Header=BB95_3 Depth=1
	v_cmp_ne_u16_e32 vcc, 0, v198
	s_andn2_b64 s[0:1], s[0:1], exec
	s_and_b64 s[34:35], vcc, exec
	s_or_b64 s[0:1], s[0:1], s[34:35]
	s_or_b64 exec, exec, s[22:23]
	v_mov_b32_e32 v197, 0
	s_and_saveexec_b64 s[22:23], s[0:1]
	s_cbranch_execnz .LBB95_118
	s_branch .LBB95_119
.LBB95_188:                             ;   in Loop: Header=BB95_3 Depth=1
	v_cmp_ne_u16_e32 vcc, s29, v199
	s_and_b64 s[0:1], vcc, exec
	s_andn2_saveexec_b64 s[22:23], s[22:23]
	s_cbranch_execz .LBB95_121
.LBB95_189:                             ;   in Loop: Header=BB95_3 Depth=1
	v_cmp_ne_u16_e32 vcc, 0, v199
	s_andn2_b64 s[0:1], s[0:1], exec
	s_and_b64 s[34:35], vcc, exec
	s_or_b64 s[0:1], s[0:1], s[34:35]
	s_or_b64 exec, exec, s[22:23]
	v_mov_b32_e32 v198, 0
	s_and_saveexec_b64 s[22:23], s[0:1]
	s_cbranch_execnz .LBB95_122
	s_branch .LBB95_123
.LBB95_190:                             ;   in Loop: Header=BB95_3 Depth=1
	v_cmp_ne_u16_e32 vcc, s29, v105
	s_and_b64 s[0:1], vcc, exec
	s_andn2_saveexec_b64 s[22:23], s[22:23]
	s_cbranch_execz .LBB95_125
.LBB95_191:                             ;   in Loop: Header=BB95_3 Depth=1
	v_cmp_ne_u16_e32 vcc, 0, v105
	s_andn2_b64 s[0:1], s[0:1], exec
	s_and_b64 s[34:35], vcc, exec
	s_or_b64 s[0:1], s[0:1], s[34:35]
	s_or_b64 exec, exec, s[22:23]
	v_mov_b32_e32 v104, 0
	s_and_saveexec_b64 s[22:23], s[0:1]
	s_cbranch_execnz .LBB95_126
	s_branch .LBB95_127
.LBB95_192:                             ;   in Loop: Header=BB95_3 Depth=1
	v_cmp_ne_u16_e32 vcc, s29, v108
	s_and_b64 s[0:1], vcc, exec
	s_andn2_saveexec_b64 s[22:23], s[22:23]
	s_cbranch_execz .LBB95_129
.LBB95_193:                             ;   in Loop: Header=BB95_3 Depth=1
	v_cmp_ne_u16_e32 vcc, 0, v108
	s_andn2_b64 s[0:1], s[0:1], exec
	s_and_b64 s[34:35], vcc, exec
	s_or_b64 s[0:1], s[0:1], s[34:35]
	s_or_b64 exec, exec, s[22:23]
	v_mov_b32_e32 v105, 0
	s_and_saveexec_b64 s[22:23], s[0:1]
	s_cbranch_execz .LBB95_2
.LBB95_194:                             ;   in Loop: Header=BB95_3 Depth=1
	v_and_b32_e32 v105, 0xffff, v108
	v_bfe_u32 v108, v105, 3, 4
	v_and_b32_e32 v105, 7, v105
	v_cvt_f32_ubyte0_e32 v105, v105
	v_fma_f32 v109, v105, s30, 1.0
	v_add_u32_e32 v199, -7, v108
	v_cmp_eq_u32_e32 vcc, 0, v108
	v_cndmask_b32_e32 v105, v109, v105, vcc
	v_cndmask_b32_e64 v108, v199, -9, vcc
	v_ldexp_f32 v105, v105, v108
	v_mul_f32_e32 v105, 0.5, v105
	s_branch .LBB95_2
.LBB95_195:
	s_or_b64 exec, exec, s[16:17]
.LBB95_196:
	s_or_b64 exec, exec, s[10:11]
	s_mov_b32 s1, 0
	v_cmp_eq_u32_e32 vcc, 0, v1
	; wave barrier
	s_and_saveexec_b64 s[10:11], vcc
	s_cbranch_execz .LBB95_213
; %bb.197:
	v_mbcnt_lo_u32_b32 v1, -1, 0
	v_mbcnt_hi_u32_b32 v6, -1, v1
	v_and_b32_e32 v1, 64, v6
	v_add_u32_e32 v7, 64, v1
	v_xor_b32_e32 v1, 32, v6
	v_cmp_lt_i32_e32 vcc, v1, v7
	v_cndmask_b32_e32 v1, v6, v1, vcc
	v_lshlrev_b32_e32 v1, 2, v1
	ds_bpermute_b32 v5, v1, v154
	ds_bpermute_b32 v8, v1, v153
	v_xor_b32_e32 v2, 16, v6
	v_cmp_lt_i32_e32 vcc, v2, v7
	v_cndmask_b32_e32 v2, v6, v2, vcc
	v_lshlrev_b32_e32 v2, 2, v2
	s_waitcnt lgkmcnt(1)
	v_add_f32_e32 v5, v154, v5
	s_waitcnt lgkmcnt(0)
	v_add_f32_e32 v8, v153, v8
	ds_bpermute_b32 v10, v2, v5
	ds_bpermute_b32 v11, v2, v8
	v_xor_b32_e32 v3, 8, v6
	v_cmp_lt_i32_e32 vcc, v3, v7
	v_cndmask_b32_e32 v3, v6, v3, vcc
	v_lshlrev_b32_e32 v3, 2, v3
	s_waitcnt lgkmcnt(1)
	v_add_f32_e32 v10, v5, v10
	s_waitcnt lgkmcnt(0)
	v_add_f32_e32 v8, v8, v11
	ds_bpermute_b32 v12, v3, v10
	ds_bpermute_b32 v11, v3, v8
	v_xor_b32_e32 v4, 4, v6
	v_cmp_lt_i32_e32 vcc, v4, v7
	v_cndmask_b32_e32 v4, v6, v4, vcc
	v_lshlrev_b32_e32 v4, 2, v4
	s_waitcnt lgkmcnt(1)
	v_add_f32_e32 v10, v10, v12
	s_waitcnt lgkmcnt(0)
	v_add_f32_e32 v8, v8, v11
	ds_bpermute_b32 v12, v4, v10
	ds_bpermute_b32 v11, v4, v8
	v_xor_b32_e32 v9, 2, v6
	v_cmp_lt_i32_e32 vcc, v9, v7
	v_cndmask_b32_e32 v9, v6, v9, vcc
	v_lshlrev_b32_e32 v5, 2, v9
	v_xor_b32_e32 v9, 1, v6
	v_cmp_lt_i32_e32 vcc, v9, v7
	s_waitcnt lgkmcnt(1)
	v_add_f32_e32 v7, v10, v12
	s_waitcnt lgkmcnt(0)
	v_add_f32_e32 v10, v8, v11
	v_cndmask_b32_e32 v6, v6, v9, vcc
	ds_bpermute_b32 v9, v5, v7
	ds_bpermute_b32 v11, v5, v10
	s_load_dwordx2 s[4:5], s[4:5], 0x38
	s_mul_i32 s2, s2, s7
	v_lshlrev_b32_e32 v8, 2, v6
	s_waitcnt lgkmcnt(0)
	v_add_f32_e32 v6, v7, v9
	v_add_f32_e32 v9, v10, v11
	s_mul_i32 s0, s18, s8
	s_add_i32 s2, s2, s6
	ds_bpermute_b32 v7, v8, v6
	ds_bpermute_b32 v10, v8, v9
	s_add_i32 s0, s2, s0
	s_lshl_b64 s[0:1], s[0:1], 2
	s_add_u32 s2, s4, s0
	v_add_u32_e32 v11, s6, v0
	s_addc_u32 s3, s5, s1
	v_cmp_gt_u32_e32 vcc, 2, v0
	v_cmp_gt_u32_e64 s[0:1], s14, v11
	s_and_b64 s[0:1], vcc, s[0:1]
	s_waitcnt lgkmcnt(1)
	v_add_f32_e32 v6, v6, v7
	s_waitcnt lgkmcnt(0)
	v_add_f32_e32 v7, v9, v10
	s_and_saveexec_b64 s[4:5], s[0:1]
	s_cbranch_execz .LBB95_199
; %bb.198:
	v_cmp_eq_u32_e32 vcc, 1, v0
	v_cndmask_b32_e32 v9, v6, v7, vcc
	v_cmp_eq_u32_e32 vcc, 2, v0
	v_cndmask_b32_e32 v9, v9, v151, vcc
	;; [unrolled: 2-line block ×15, first 2 shown]
	v_lshlrev_b32_e32 v10, 2, v0
	global_store_dword v10, v9, s[2:3]
.LBB95_199:
	s_or_b64 exec, exec, s[4:5]
	ds_bpermute_b32 v9, v1, v151
	ds_bpermute_b32 v10, v1, v150
	s_waitcnt lgkmcnt(1)
	v_add_f32_e32 v9, v151, v9
	s_waitcnt lgkmcnt(0)
	v_add_f32_e32 v10, v150, v10
	ds_bpermute_b32 v11, v2, v9
	ds_bpermute_b32 v12, v2, v10
	s_waitcnt lgkmcnt(1)
	v_add_f32_e32 v9, v9, v11
	s_waitcnt lgkmcnt(0)
	v_add_f32_e32 v10, v10, v12
	;; [unrolled: 6-line block ×6, first 2 shown]
	s_and_saveexec_b64 s[4:5], s[0:1]
	s_cbranch_execz .LBB95_201
; %bb.200:
	v_add_u32_e32 v11, 2, v0
	v_cmp_eq_u32_e32 vcc, 1, v11
	v_cndmask_b32_e32 v12, v6, v7, vcc
	v_cmp_eq_u32_e32 vcc, 2, v11
	v_cndmask_b32_e32 v12, v12, v10, vcc
	;; [unrolled: 2-line block ×15, first 2 shown]
	v_add_u32_e32 v11, s14, v0
	v_mov_b32_e32 v12, 0
	v_lshlrev_b64 v[11:12], 2, v[11:12]
	v_mov_b32_e32 v14, s3
	v_add_co_u32_e32 v11, vcc, s2, v11
	v_addc_co_u32_e32 v12, vcc, v14, v12, vcc
	global_store_dword v[11:12], v13, off
.LBB95_201:
	s_or_b64 exec, exec, s[4:5]
	ds_bpermute_b32 v11, v1, v149
	ds_bpermute_b32 v12, v1, v148
	s_waitcnt lgkmcnt(1)
	v_add_f32_e32 v11, v149, v11
	s_waitcnt lgkmcnt(0)
	v_add_f32_e32 v12, v148, v12
	ds_bpermute_b32 v13, v2, v11
	ds_bpermute_b32 v14, v2, v12
	s_waitcnt lgkmcnt(1)
	v_add_f32_e32 v11, v11, v13
	s_waitcnt lgkmcnt(0)
	v_add_f32_e32 v12, v12, v14
	;; [unrolled: 6-line block ×6, first 2 shown]
	s_and_saveexec_b64 s[4:5], s[0:1]
	s_cbranch_execz .LBB95_203
; %bb.202:
	v_add_u32_e32 v13, 4, v0
	v_cmp_eq_u32_e32 vcc, 1, v13
	v_cndmask_b32_e32 v14, v6, v7, vcc
	v_cmp_eq_u32_e32 vcc, 2, v13
	v_cndmask_b32_e32 v14, v14, v10, vcc
	v_cmp_eq_u32_e32 vcc, 3, v13
	v_cndmask_b32_e32 v14, v14, v9, vcc
	v_cmp_eq_u32_e32 vcc, 4, v13
	v_cndmask_b32_e32 v14, v14, v12, vcc
	v_cmp_eq_u32_e32 vcc, 5, v13
	v_cndmask_b32_e32 v14, v14, v11, vcc
	v_cmp_eq_u32_e32 vcc, 6, v13
	v_cndmask_b32_e32 v14, v14, v147, vcc
	v_cmp_eq_u32_e32 vcc, 7, v13
	v_cndmask_b32_e32 v14, v14, v146, vcc
	v_cmp_eq_u32_e32 vcc, 8, v13
	v_cndmask_b32_e32 v14, v14, v145, vcc
	v_cmp_eq_u32_e32 vcc, 9, v13
	v_cndmask_b32_e32 v14, v14, v144, vcc
	v_cmp_eq_u32_e32 vcc, 10, v13
	v_cndmask_b32_e32 v14, v14, v143, vcc
	v_cmp_eq_u32_e32 vcc, 11, v13
	v_cndmask_b32_e32 v14, v14, v142, vcc
	v_cmp_eq_u32_e32 vcc, 12, v13
	v_cndmask_b32_e32 v14, v14, v141, vcc
	v_cmp_eq_u32_e32 vcc, 13, v13
	v_cndmask_b32_e32 v14, v14, v140, vcc
	v_cmp_eq_u32_e32 vcc, 14, v13
	v_cndmask_b32_e32 v14, v14, v139, vcc
	v_cmp_eq_u32_e32 vcc, 15, v13
	v_cndmask_b32_e32 v15, v14, v138, vcc
	v_lshl_or_b32 v13, s14, 1, v0
	v_mov_b32_e32 v14, 0
	v_lshlrev_b64 v[13:14], 2, v[13:14]
	v_mov_b32_e32 v16, s3
	v_add_co_u32_e32 v13, vcc, s2, v13
	v_addc_co_u32_e32 v14, vcc, v16, v14, vcc
	global_store_dword v[13:14], v15, off
.LBB95_203:
	s_or_b64 exec, exec, s[4:5]
	ds_bpermute_b32 v13, v1, v147
	ds_bpermute_b32 v14, v1, v146
	s_waitcnt lgkmcnt(1)
	v_add_f32_e32 v13, v147, v13
	s_waitcnt lgkmcnt(0)
	v_add_f32_e32 v14, v146, v14
	ds_bpermute_b32 v15, v2, v13
	ds_bpermute_b32 v16, v2, v14
	s_waitcnt lgkmcnt(1)
	v_add_f32_e32 v13, v13, v15
	s_waitcnt lgkmcnt(0)
	v_add_f32_e32 v14, v14, v16
	ds_bpermute_b32 v15, v3, v13
	ds_bpermute_b32 v16, v3, v14
	s_waitcnt lgkmcnt(1)
	v_add_f32_e32 v13, v13, v15
	s_waitcnt lgkmcnt(0)
	v_add_f32_e32 v14, v14, v16
	ds_bpermute_b32 v15, v4, v13
	ds_bpermute_b32 v16, v4, v14
	s_waitcnt lgkmcnt(1)
	v_add_f32_e32 v13, v13, v15
	s_waitcnt lgkmcnt(0)
	v_add_f32_e32 v14, v14, v16
	ds_bpermute_b32 v15, v5, v13
	ds_bpermute_b32 v16, v5, v14
	s_waitcnt lgkmcnt(1)
	v_add_f32_e32 v13, v13, v15
	s_waitcnt lgkmcnt(0)
	v_add_f32_e32 v15, v14, v16
	ds_bpermute_b32 v14, v8, v13
	ds_bpermute_b32 v16, v8, v15
	s_waitcnt lgkmcnt(1)
	v_add_f32_e32 v14, v13, v14
	s_waitcnt lgkmcnt(0)
	v_add_f32_e32 v13, v15, v16
	s_and_saveexec_b64 s[4:5], s[0:1]
	s_cbranch_execz .LBB95_205
; %bb.204:
	v_add_u32_e32 v17, 6, v0
	v_cmp_eq_u32_e32 vcc, 1, v17
	v_cndmask_b32_e32 v15, v6, v7, vcc
	v_cmp_eq_u32_e32 vcc, 2, v17
	v_cndmask_b32_e32 v15, v15, v10, vcc
	;; [unrolled: 2-line block ×14, first 2 shown]
	v_mad_u64_u32 v[15:16], s[6:7], s14, 3, v[0:1]
	v_mov_b32_e32 v16, 0
	v_cmp_eq_u32_e32 vcc, 15, v17
	v_lshlrev_b64 v[15:16], 2, v[15:16]
	v_cndmask_b32_e32 v17, v18, v138, vcc
	v_mov_b32_e32 v18, s3
	v_add_co_u32_e32 v15, vcc, s2, v15
	v_addc_co_u32_e32 v16, vcc, v18, v16, vcc
	global_store_dword v[15:16], v17, off
.LBB95_205:
	s_or_b64 exec, exec, s[4:5]
	ds_bpermute_b32 v15, v1, v145
	ds_bpermute_b32 v16, v1, v144
	s_waitcnt lgkmcnt(1)
	v_add_f32_e32 v15, v145, v15
	s_waitcnt lgkmcnt(0)
	v_add_f32_e32 v16, v144, v16
	ds_bpermute_b32 v17, v2, v15
	ds_bpermute_b32 v18, v2, v16
	s_waitcnt lgkmcnt(1)
	v_add_f32_e32 v15, v15, v17
	s_waitcnt lgkmcnt(0)
	v_add_f32_e32 v16, v16, v18
	;; [unrolled: 6-line block ×6, first 2 shown]
	s_and_saveexec_b64 s[4:5], s[0:1]
	s_cbranch_execz .LBB95_207
; %bb.206:
	v_add_u32_e32 v17, 8, v0
	v_cmp_eq_u32_e32 vcc, 1, v17
	v_cndmask_b32_e32 v18, v6, v7, vcc
	v_cmp_eq_u32_e32 vcc, 2, v17
	v_cndmask_b32_e32 v18, v18, v10, vcc
	;; [unrolled: 2-line block ×15, first 2 shown]
	v_lshl_or_b32 v17, s14, 2, v0
	v_mov_b32_e32 v18, 0
	v_lshlrev_b64 v[17:18], 2, v[17:18]
	v_mov_b32_e32 v20, s3
	v_add_co_u32_e32 v17, vcc, s2, v17
	v_addc_co_u32_e32 v18, vcc, v20, v18, vcc
	global_store_dword v[17:18], v19, off
.LBB95_207:
	s_or_b64 exec, exec, s[4:5]
	ds_bpermute_b32 v17, v1, v143
	ds_bpermute_b32 v18, v1, v142
	s_waitcnt lgkmcnt(1)
	v_add_f32_e32 v17, v143, v17
	s_waitcnt lgkmcnt(0)
	v_add_f32_e32 v18, v142, v18
	ds_bpermute_b32 v19, v2, v17
	ds_bpermute_b32 v20, v2, v18
	s_waitcnt lgkmcnt(1)
	v_add_f32_e32 v17, v17, v19
	s_waitcnt lgkmcnt(0)
	v_add_f32_e32 v18, v18, v20
	;; [unrolled: 6-line block ×6, first 2 shown]
	s_and_saveexec_b64 s[4:5], s[0:1]
	s_cbranch_execz .LBB95_209
; %bb.208:
	v_add_u32_e32 v21, 10, v0
	v_cmp_eq_u32_e32 vcc, 1, v21
	v_cndmask_b32_e32 v19, v6, v7, vcc
	v_cmp_eq_u32_e32 vcc, 2, v21
	v_cndmask_b32_e32 v19, v19, v10, vcc
	;; [unrolled: 2-line block ×14, first 2 shown]
	v_mad_u64_u32 v[19:20], s[6:7], s14, 5, v[0:1]
	v_mov_b32_e32 v20, 0
	v_cmp_eq_u32_e32 vcc, 15, v21
	v_lshlrev_b64 v[19:20], 2, v[19:20]
	v_cndmask_b32_e32 v21, v22, v138, vcc
	v_mov_b32_e32 v22, s3
	v_add_co_u32_e32 v19, vcc, s2, v19
	v_addc_co_u32_e32 v20, vcc, v22, v20, vcc
	global_store_dword v[19:20], v21, off
.LBB95_209:
	s_or_b64 exec, exec, s[4:5]
	ds_bpermute_b32 v19, v1, v141
	ds_bpermute_b32 v20, v1, v140
	s_waitcnt lgkmcnt(1)
	v_add_f32_e32 v19, v141, v19
	s_waitcnt lgkmcnt(0)
	v_add_f32_e32 v20, v140, v20
	ds_bpermute_b32 v21, v2, v19
	ds_bpermute_b32 v22, v2, v20
	s_waitcnt lgkmcnt(1)
	v_add_f32_e32 v19, v19, v21
	s_waitcnt lgkmcnt(0)
	v_add_f32_e32 v20, v20, v22
	;; [unrolled: 6-line block ×6, first 2 shown]
	s_and_saveexec_b64 s[4:5], s[0:1]
	s_cbranch_execz .LBB95_211
; %bb.210:
	v_add_u32_e32 v21, 12, v0
	v_cmp_eq_u32_e32 vcc, 1, v21
	v_cndmask_b32_e32 v22, v6, v7, vcc
	v_cmp_eq_u32_e32 vcc, 2, v21
	v_cndmask_b32_e32 v22, v22, v10, vcc
	;; [unrolled: 2-line block ×14, first 2 shown]
	v_cmp_eq_u32_e32 vcc, 15, v21
	s_mul_i32 s6, s14, 6
	v_cndmask_b32_e32 v23, v22, v138, vcc
	v_or_b32_e32 v21, s6, v0
	v_mov_b32_e32 v22, 0
	v_lshlrev_b64 v[21:22], 2, v[21:22]
	v_mov_b32_e32 v24, s3
	v_add_co_u32_e32 v21, vcc, s2, v21
	v_addc_co_u32_e32 v22, vcc, v24, v22, vcc
	global_store_dword v[21:22], v23, off
.LBB95_211:
	s_or_b64 exec, exec, s[4:5]
	ds_bpermute_b32 v21, v1, v139
	ds_bpermute_b32 v1, v1, v138
	s_waitcnt lgkmcnt(1)
	v_add_f32_e32 v21, v139, v21
	s_waitcnt lgkmcnt(0)
	v_add_f32_e32 v1, v138, v1
	ds_bpermute_b32 v22, v2, v21
	ds_bpermute_b32 v2, v2, v1
	s_waitcnt lgkmcnt(1)
	v_add_f32_e32 v21, v21, v22
	s_waitcnt lgkmcnt(0)
	v_add_f32_e32 v1, v1, v2
	;; [unrolled: 6-line block ×5, first 2 shown]
	ds_bpermute_b32 v3, v8, v1
	ds_bpermute_b32 v4, v8, v2
	s_and_b64 exec, exec, s[0:1]
	s_cbranch_execz .LBB95_213
; %bb.212:
	s_waitcnt lgkmcnt(1)
	v_add_f32_e32 v1, v1, v3
	v_add_u32_e32 v3, 14, v0
	v_cmp_eq_u32_e32 vcc, 1, v3
	s_waitcnt lgkmcnt(0)
	v_add_f32_e32 v2, v2, v4
	v_cndmask_b32_e32 v4, v6, v7, vcc
	v_cmp_eq_u32_e32 vcc, 2, v3
	v_cndmask_b32_e32 v4, v4, v10, vcc
	v_cmp_eq_u32_e32 vcc, 3, v3
	;; [unrolled: 2-line block ×13, first 2 shown]
	v_cndmask_b32_e32 v4, v4, v1, vcc
	v_mad_u64_u32 v[0:1], s[0:1], s14, 7, v[0:1]
	v_mov_b32_e32 v1, 0
	v_cmp_eq_u32_e32 vcc, 15, v3
	v_lshlrev_b64 v[0:1], 2, v[0:1]
	v_cndmask_b32_e32 v2, v4, v2, vcc
	v_mov_b32_e32 v3, s3
	v_add_co_u32_e32 v0, vcc, s2, v0
	v_addc_co_u32_e32 v1, vcc, v3, v1, vcc
	global_store_dword v[0:1], v2, off
.LBB95_213:
	s_endpgm
	.section	.rodata,"a",@progbits
	.p2align	6, 0x0
	.amdhsa_kernel _ZL13mul_mat_vec_qIL9ggml_type40ELi8ELb0ELb0EEvPKvS2_PKi31ggml_cuda_mm_fusion_args_devicePfj15HIP_vector_typeIjLj3EEjjjS8_jjjS8_jjjj
		.amdhsa_group_segment_fixed_size 0
		.amdhsa_private_segment_fixed_size 0
		.amdhsa_kernarg_size 144
		.amdhsa_user_sgpr_count 6
		.amdhsa_user_sgpr_private_segment_buffer 1
		.amdhsa_user_sgpr_dispatch_ptr 0
		.amdhsa_user_sgpr_queue_ptr 0
		.amdhsa_user_sgpr_kernarg_segment_ptr 1
		.amdhsa_user_sgpr_dispatch_id 0
		.amdhsa_user_sgpr_flat_scratch_init 0
		.amdhsa_user_sgpr_private_segment_size 0
		.amdhsa_uses_dynamic_stack 0
		.amdhsa_system_sgpr_private_segment_wavefront_offset 0
		.amdhsa_system_sgpr_workgroup_id_x 1
		.amdhsa_system_sgpr_workgroup_id_y 1
		.amdhsa_system_sgpr_workgroup_id_z 1
		.amdhsa_system_sgpr_workgroup_info 0
		.amdhsa_system_vgpr_workitem_id 1
		.amdhsa_next_free_vgpr 201
		.amdhsa_next_free_sgpr 36
		.amdhsa_reserve_vcc 1
		.amdhsa_reserve_flat_scratch 0
		.amdhsa_float_round_mode_32 0
		.amdhsa_float_round_mode_16_64 0
		.amdhsa_float_denorm_mode_32 3
		.amdhsa_float_denorm_mode_16_64 3
		.amdhsa_dx10_clamp 1
		.amdhsa_ieee_mode 1
		.amdhsa_fp16_overflow 0
		.amdhsa_exception_fp_ieee_invalid_op 0
		.amdhsa_exception_fp_denorm_src 0
		.amdhsa_exception_fp_ieee_div_zero 0
		.amdhsa_exception_fp_ieee_overflow 0
		.amdhsa_exception_fp_ieee_underflow 0
		.amdhsa_exception_fp_ieee_inexact 0
		.amdhsa_exception_int_div_zero 0
	.end_amdhsa_kernel
	.section	.text._ZL13mul_mat_vec_qIL9ggml_type40ELi8ELb0ELb0EEvPKvS2_PKi31ggml_cuda_mm_fusion_args_devicePfj15HIP_vector_typeIjLj3EEjjjS8_jjjS8_jjjj,"axG",@progbits,_ZL13mul_mat_vec_qIL9ggml_type40ELi8ELb0ELb0EEvPKvS2_PKi31ggml_cuda_mm_fusion_args_devicePfj15HIP_vector_typeIjLj3EEjjjS8_jjjS8_jjjj,comdat
.Lfunc_end95:
	.size	_ZL13mul_mat_vec_qIL9ggml_type40ELi8ELb0ELb0EEvPKvS2_PKi31ggml_cuda_mm_fusion_args_devicePfj15HIP_vector_typeIjLj3EEjjjS8_jjjS8_jjjj, .Lfunc_end95-_ZL13mul_mat_vec_qIL9ggml_type40ELi8ELb0ELb0EEvPKvS2_PKi31ggml_cuda_mm_fusion_args_devicePfj15HIP_vector_typeIjLj3EEjjjS8_jjjS8_jjjj
                                        ; -- End function
	.set _ZL13mul_mat_vec_qIL9ggml_type40ELi8ELb0ELb0EEvPKvS2_PKi31ggml_cuda_mm_fusion_args_devicePfj15HIP_vector_typeIjLj3EEjjjS8_jjjS8_jjjj.num_vgpr, 201
	.set _ZL13mul_mat_vec_qIL9ggml_type40ELi8ELb0ELb0EEvPKvS2_PKi31ggml_cuda_mm_fusion_args_devicePfj15HIP_vector_typeIjLj3EEjjjS8_jjjS8_jjjj.num_agpr, 0
	.set _ZL13mul_mat_vec_qIL9ggml_type40ELi8ELb0ELb0EEvPKvS2_PKi31ggml_cuda_mm_fusion_args_devicePfj15HIP_vector_typeIjLj3EEjjjS8_jjjS8_jjjj.numbered_sgpr, 36
	.set _ZL13mul_mat_vec_qIL9ggml_type40ELi8ELb0ELb0EEvPKvS2_PKi31ggml_cuda_mm_fusion_args_devicePfj15HIP_vector_typeIjLj3EEjjjS8_jjjS8_jjjj.num_named_barrier, 0
	.set _ZL13mul_mat_vec_qIL9ggml_type40ELi8ELb0ELb0EEvPKvS2_PKi31ggml_cuda_mm_fusion_args_devicePfj15HIP_vector_typeIjLj3EEjjjS8_jjjS8_jjjj.private_seg_size, 0
	.set _ZL13mul_mat_vec_qIL9ggml_type40ELi8ELb0ELb0EEvPKvS2_PKi31ggml_cuda_mm_fusion_args_devicePfj15HIP_vector_typeIjLj3EEjjjS8_jjjS8_jjjj.uses_vcc, 1
	.set _ZL13mul_mat_vec_qIL9ggml_type40ELi8ELb0ELb0EEvPKvS2_PKi31ggml_cuda_mm_fusion_args_devicePfj15HIP_vector_typeIjLj3EEjjjS8_jjjS8_jjjj.uses_flat_scratch, 0
	.set _ZL13mul_mat_vec_qIL9ggml_type40ELi8ELb0ELb0EEvPKvS2_PKi31ggml_cuda_mm_fusion_args_devicePfj15HIP_vector_typeIjLj3EEjjjS8_jjjS8_jjjj.has_dyn_sized_stack, 0
	.set _ZL13mul_mat_vec_qIL9ggml_type40ELi8ELb0ELb0EEvPKvS2_PKi31ggml_cuda_mm_fusion_args_devicePfj15HIP_vector_typeIjLj3EEjjjS8_jjjS8_jjjj.has_recursion, 0
	.set _ZL13mul_mat_vec_qIL9ggml_type40ELi8ELb0ELb0EEvPKvS2_PKi31ggml_cuda_mm_fusion_args_devicePfj15HIP_vector_typeIjLj3EEjjjS8_jjjS8_jjjj.has_indirect_call, 0
	.section	.AMDGPU.csdata,"",@progbits
; Kernel info:
; codeLenInByte = 18408
; TotalNumSgprs: 40
; NumVgprs: 201
; ScratchSize: 0
; MemoryBound: 0
; FloatMode: 240
; IeeeMode: 1
; LDSByteSize: 0 bytes/workgroup (compile time only)
; SGPRBlocks: 4
; VGPRBlocks: 50
; NumSGPRsForWavesPerEU: 40
; NumVGPRsForWavesPerEU: 201
; Occupancy: 1
; WaveLimiterHint : 0
; COMPUTE_PGM_RSRC2:SCRATCH_EN: 0
; COMPUTE_PGM_RSRC2:USER_SGPR: 6
; COMPUTE_PGM_RSRC2:TRAP_HANDLER: 0
; COMPUTE_PGM_RSRC2:TGID_X_EN: 1
; COMPUTE_PGM_RSRC2:TGID_Y_EN: 1
; COMPUTE_PGM_RSRC2:TGID_Z_EN: 1
; COMPUTE_PGM_RSRC2:TIDIG_COMP_CNT: 1
	.section	.text._ZL17mul_mat_vec_q_moeIL9ggml_type10ELi2EEvPKvS2_PKiPfj15HIP_vector_typeIjLj3EEjjjjjjjjj,"axG",@progbits,_ZL17mul_mat_vec_q_moeIL9ggml_type10ELi2EEvPKvS2_PKiPfj15HIP_vector_typeIjLj3EEjjjjjjjjj,comdat
	.globl	_ZL17mul_mat_vec_q_moeIL9ggml_type10ELi2EEvPKvS2_PKiPfj15HIP_vector_typeIjLj3EEjjjjjjjjj ; -- Begin function _ZL17mul_mat_vec_q_moeIL9ggml_type10ELi2EEvPKvS2_PKiPfj15HIP_vector_typeIjLj3EEjjjjjjjjj
	.p2align	8
	.type	_ZL17mul_mat_vec_q_moeIL9ggml_type10ELi2EEvPKvS2_PKiPfj15HIP_vector_typeIjLj3EEjjjjjjjjj,@function
_ZL17mul_mat_vec_q_moeIL9ggml_type10ELi2EEvPKvS2_PKiPfj15HIP_vector_typeIjLj3EEjjjjjjjjj: ; @_ZL17mul_mat_vec_q_moeIL9ggml_type10ELi2EEvPKvS2_PKiPfj15HIP_vector_typeIjLj3EEjjjjjjjjj
; %bb.0:
	s_load_dwordx8 s[8:15], s[4:5], 0x30
	s_waitcnt lgkmcnt(0)
	v_cmp_gt_u32_e32 vcc, s15, v1
	s_and_saveexec_b64 s[0:1], vcc
	s_cbranch_execz .LBB96_7
; %bb.1:
	s_load_dword s1, s[4:5], 0x20
	s_load_dword s0, s[4:5], 0x50
	s_load_dwordx8 s[16:23], s[4:5], 0x0
	v_lshrrev_b32_e32 v6, 4, v0
	s_lshl_b32 s6, s6, 1
	s_waitcnt lgkmcnt(0)
	s_lshr_b32 s15, s1, 8
	v_cmp_gt_u32_e32 vcc, s15, v6
	v_mov_b32_e32 v2, 0
	v_mov_b32_e32 v3, 0
	s_and_saveexec_b64 s[24:25], vcc
	s_cbranch_execz .LBB96_5
; %bb.2:
	v_mul_lo_u32 v2, s0, v1
	v_mov_b32_e32 v3, 0
	v_mov_b32_e32 v7, s21
	s_load_dwordx4 s[0:3], s[4:5], 0x24
	v_add_u32_e32 v2, s7, v2
	v_lshlrev_b64 v[4:5], 2, v[2:3]
	v_bfe_u32 v12, v0, 3, 1
	v_add_co_u32_e32 v4, vcc, s20, v4
	v_addc_co_u32_e32 v5, vcc, v7, v5, vcc
	global_load_dword v2, v[4:5], off
	v_and_b32_e32 v4, 7, v0
	v_bfe_u32 v5, v0, 2, 1
	s_add_i32 s20, s6, 1
	v_lshrrev_b32_e32 v11, 4, v0
	s_movk_i32 s21, 0x120
	v_and_or_b32 v7, v0, 8, v5
	v_lshlrev_b32_e32 v8, 2, v4
	v_mul_hi_u32_u24_e32 v5, 0x90, v12
	v_mul_u32_u24_e32 v4, 0x90, v12
	s_waitcnt lgkmcnt(0)
	s_mul_hi_u32 s0, s0, s7
	v_mul_lo_u32 v10, s10, v1
	s_mul_i32 s26, s6, s9
	s_mul_i32 s9, s9, s20
	v_mad_u64_u32 v[4:5], s[20:21], v11, s21, v[4:5]
	s_add_i32 s0, s7, s0
	s_lshr_b32 s0, s0, s1
	s_mul_i32 s0, s0, s2
	s_sub_i32 s0, s7, s0
	v_mad_u64_u32 v[4:5], s[20:21], v10, 36, v[4:5]
	s_mul_i32 s0, s0, s13
	s_mul_hi_u32 s1, s0, 36
	s_mul_i32 s0, s0, 36
	s_add_u32 s0, s18, s0
	s_addc_u32 s1, s19, s1
	v_and_b32_e32 v9, 15, v0
	v_mov_b32_e32 v10, s1
	v_add_co_u32_e32 v4, vcc, s0, v4
	s_mov_b64 s[4:5], 0
	s_movk_i32 s3, 0x54
	s_mov_b32 s10, 0x1010101
	v_lshlrev_b32_e32 v9, 2, v9
	v_addc_co_u32_e32 v5, vcc, v10, v5, vcc
	s_waitcnt vmcnt(0)
	v_mul_lo_u32 v2, v2, s12
	v_add_u32_e32 v10, s26, v2
	v_add_u32_e32 v11, s9, v2
	v_mov_b32_e32 v2, v3
.LBB96_3:                               ; =>This Inner Loop Header: Depth=1
	v_add_co_u32_e32 v12, vcc, v4, v8
	v_mov_b32_e32 v14, s16
	v_addc_co_u32_e32 v13, vcc, 0, v5, vcc
	v_add_u32_e32 v16, v10, v6
	v_mov_b32_e32 v15, s17
	global_load_dword v24, v[12:13], off offset:4
	global_load_dword v25, v[12:13], off offset:40
	;; [unrolled: 1-line block ×4, first 2 shown]
	v_mad_i64_i32 v[12:13], s[0:1], v16, s3, v[14:15]
	v_add_u32_e32 v17, v11, v6
	v_mad_i64_i32 v[14:15], s[0:1], v17, s3, v[14:15]
	v_add_co_u32_e32 v16, vcc, v12, v9
	v_addc_co_u32_e32 v17, vcc, 0, v13, vcc
	v_add_co_u32_e32 v18, vcc, v12, v7
	v_addc_co_u32_e32 v19, vcc, 0, v13, vcc
	;; [unrolled: 2-line block ×4, first 2 shown]
	global_load_dword v28, v[16:17], off offset:16
	global_load_ubyte v29, v[18:19], off
	global_load_dword v30, v[20:21], off offset:16
	global_load_ubyte v31, v[22:23], off
	global_load_ubyte v32, v[18:19], off offset:2
	global_load_ubyte v33, v[22:23], off offset:2
	;; [unrolled: 1-line block ×6, first 2 shown]
	global_load_dword v38, v[14:15], off offset:80
	global_load_dword v39, v[12:13], off offset:80
	v_add_u32_e32 v6, 4, v6
	s_waitcnt vmcnt(11)
	v_and_b32_e32 v12, 0x3030303, v28
	v_lshrrev_b32_e32 v16, 2, v28
	s_waitcnt vmcnt(9)
	v_and_b32_e32 v14, 0x3030303, v30
	s_waitcnt vmcnt(8)
	v_and_b32_e32 v15, 15, v31
	v_dot4_i32_i8 v14, v14, v24, 0
	v_and_b32_e32 v13, 15, v29
	v_dot4_i32_i8 v12, v12, v24, 0
	v_mul_lo_u32 v14, v15, v14
	v_lshrrev_b32_e32 v15, 2, v30
	v_and_b32_e32 v16, 0x3030303, v16
	v_mul_lo_u32 v12, v13, v12
	s_waitcnt vmcnt(7)
	v_and_b32_e32 v13, 15, v32
	v_dot4_i32_i8 v16, v16, v25, 0
	v_and_b32_e32 v15, 0x3030303, v15
	v_mul_lo_u32 v13, v13, v16
	s_waitcnt vmcnt(6)
	v_and_b32_e32 v16, 15, v33
	v_dot4_i32_i8 v15, v15, v25, 0
	v_mul_lo_u32 v15, v16, v15
	v_lshrrev_b32_e32 v16, 4, v28
	v_and_b32_e32 v16, 0x3030303, v16
	v_dot4_i32_i8 v16, v16, v26, 0
	s_waitcnt vmcnt(5)
	v_and_b32_e32 v17, 15, v34
	v_mul_lo_u32 v16, v17, v16
	v_lshrrev_b32_e32 v17, 4, v30
	v_and_b32_e32 v17, 0x3030303, v17
	v_dot4_i32_i8 v17, v17, v26, 0
	s_waitcnt vmcnt(4)
	v_and_b32_e32 v18, 15, v35
	;; [unrolled: 6-line block ×3, first 2 shown]
	v_mul_lo_u32 v18, v19, v18
	v_lshrrev_b32_e32 v19, 6, v30
	v_lshrrev_b32_e32 v22, 4, v32
	v_lshrrev_b32_e32 v23, 4, v33
	v_and_b32_e32 v19, 0x3030303, v19
	v_mul_lo_u32 v22, v22, s10
	v_mul_lo_u32 v23, v23, s10
	v_dot4_i32_i8 v19, v19, v27, 0
	s_waitcnt vmcnt(2)
	v_and_b32_e32 v20, 15, v37
	v_mul_lo_u32 v19, v20, v19
	v_lshrrev_b32_e32 v20, 4, v29
	v_lshrrev_b32_e32 v21, 4, v31
	v_mul_lo_u32 v20, v20, s10
	v_mul_lo_u32 v21, v21, s10
	v_dot4_i32_i8 v22, v22, v25, 0
	v_dot4_i32_i8 v23, v23, v25, 0
	v_lshrrev_b32_e32 v25, 4, v34
	v_lshrrev_b32_e32 v28, 4, v35
	v_mul_lo_u32 v25, v25, s10
	v_mul_lo_u32 v28, v28, s10
	v_lshrrev_b32_e32 v29, 4, v36
	v_lshrrev_b32_e32 v30, 4, v37
	v_dot4_i32_i8 v20, v20, v24, 0
	v_dot4_i32_i8 v21, v21, v24, 0
	global_load_dword v24, v[4:5], off
	global_load_dword v31, v[4:5], off offset:108
	v_mul_lo_u32 v29, v29, s10
	v_mul_lo_u32 v30, v30, s10
	v_dot4_i32_i8 v25, v25, v26, 0
	v_dot4_i32_i8 v26, v28, v26, 0
	global_load_dword v28, v[4:5], off offset:36
	v_dot4_i32_i8 v29, v29, v27, 0
	v_dot4_i32_i8 v27, v30, v27, 0
	global_load_dword v30, v[4:5], off offset:72
	v_cvt_f32_i32_e32 v12, v12
	v_cvt_f32_i32_e32 v20, v20
	v_cvt_f32_i32_e32 v14, v14
	v_cvt_f32_i32_e32 v21, v21
	v_cvt_f32_i32_e32 v13, v13
	v_cvt_f32_i32_e32 v22, v22
	v_cvt_f32_i32_e32 v23, v23
	v_cvt_f32_i32_e32 v15, v15
	v_cvt_f32_i32_e32 v16, v16
	v_cvt_f32_i32_e32 v27, v27
	v_cvt_f32_i32_e32 v17, v17
	v_cvt_f32_i32_e32 v18, v18
	v_cvt_f32_i32_e32 v19, v19
	v_add_co_u32_e32 v4, vcc, 0x480, v4
	v_addc_co_u32_e32 v5, vcc, 0, v5, vcc
	v_cmp_le_u32_e32 vcc, s15, v6
	s_or_b64 s[4:5], vcc, s[4:5]
	s_waitcnt vmcnt(3)
	v_fma_mix_f32 v12, v24, v12, 0 op_sel_hi:[1,0,0]
	v_fma_mix_f32 v20, v24, v20, 0 op_sel_hi:[1,0,0]
	;; [unrolled: 1-line block ×4, first 2 shown]
	v_cvt_f32_i32_e32 v24, v25
	v_cvt_f32_i32_e32 v25, v26
	;; [unrolled: 1-line block ×3, first 2 shown]
	s_waitcnt vmcnt(1)
	v_fma_mix_f32 v12, v28, v13, v12 op_sel_hi:[1,0,0]
	v_cvt_f32_f16_sdwa v13, v39 dst_sel:DWORD dst_unused:UNUSED_PAD src0_sel:WORD_1
	v_fma_mix_f32 v20, v28, v22, v20 op_sel_hi:[1,0,0]
	v_cvt_f32_f16_sdwa v22, v38 dst_sel:DWORD dst_unused:UNUSED_PAD src0_sel:WORD_1
	v_fma_mix_f32 v14, v28, v15, v14 op_sel_hi:[1,0,0]
	v_fma_mix_f32 v15, v28, v23, v21 op_sel_hi:[1,0,0]
	s_waitcnt vmcnt(0)
	v_fma_mix_f32 v12, v30, v16, v12 op_sel_hi:[1,0,0]
	v_fma_mix_f32 v16, v30, v24, v20 op_sel_hi:[1,0,0]
	;; [unrolled: 1-line block ×8, first 2 shown]
	v_mul_f32_e32 v13, v16, v13
	v_mul_f32_e32 v15, v15, v22
	v_fma_mix_f32 v12, v12, v39, -v13 op_sel_hi:[0,1,0]
	v_fma_mix_f32 v13, v14, v38, -v15 op_sel_hi:[0,1,0]
	v_add_f32_e32 v3, v3, v12
	v_add_f32_e32 v2, v2, v13
	s_andn2_b64 exec, exec, s[4:5]
	s_cbranch_execnz .LBB96_3
; %bb.4:
	s_or_b64 exec, exec, s[4:5]
.LBB96_5:
	s_or_b64 exec, exec, s[24:25]
	v_mbcnt_lo_u32_b32 v4, -1, 0
	v_mbcnt_hi_u32_b32 v4, -1, v4
	v_and_b32_e32 v5, 64, v4
	v_add_u32_e32 v5, 64, v5
	v_xor_b32_e32 v6, 32, v4
	v_cmp_lt_i32_e32 vcc, v6, v5
	v_cndmask_b32_e32 v6, v4, v6, vcc
	v_lshlrev_b32_e32 v6, 2, v6
	ds_bpermute_b32 v9, v6, v3
	ds_bpermute_b32 v6, v6, v2
	v_xor_b32_e32 v7, 16, v4
	v_cmp_lt_i32_e32 vcc, v7, v5
	v_cndmask_b32_e32 v7, v4, v7, vcc
	v_lshlrev_b32_e32 v7, 2, v7
	s_waitcnt lgkmcnt(1)
	v_add_f32_e32 v3, v3, v9
	s_waitcnt lgkmcnt(0)
	v_add_f32_e32 v2, v2, v6
	ds_bpermute_b32 v9, v7, v3
	ds_bpermute_b32 v6, v7, v2
	v_xor_b32_e32 v8, 8, v4
	v_cmp_lt_i32_e32 vcc, v8, v5
	v_cndmask_b32_e32 v8, v4, v8, vcc
	v_lshlrev_b32_e32 v8, 2, v8
	s_waitcnt lgkmcnt(1)
	v_add_f32_e32 v3, v3, v9
	s_waitcnt lgkmcnt(0)
	v_add_f32_e32 v2, v2, v6
	;; [unrolled: 10-line block ×5, first 2 shown]
	ds_bpermute_b32 v3, v5, v2
	ds_bpermute_b32 v5, v5, v4
	v_add_u32_e32 v6, s6, v0
	v_cmp_gt_u32_e32 vcc, 2, v0
	v_cmp_gt_u32_e64 s[0:1], s8, v6
	s_and_b64 s[0:1], vcc, s[0:1]
	s_and_b64 exec, exec, s[0:1]
	s_cbranch_execz .LBB96_7
; %bb.6:
	v_mul_lo_u32 v1, s11, v1
	v_cmp_eq_u32_e32 vcc, 1, v0
	s_mul_i32 s0, s14, s7
	v_or_b32_e32 v0, s6, v0
	v_add3_u32 v0, v0, v1, s0
	v_mov_b32_e32 v1, 0
	v_lshlrev_b64 v[0:1], 2, v[0:1]
	s_waitcnt lgkmcnt(1)
	v_add_f32_e32 v2, v2, v3
	s_waitcnt lgkmcnt(0)
	v_add_f32_e32 v3, v4, v5
	v_cndmask_b32_e32 v2, v2, v3, vcc
	v_mov_b32_e32 v3, s23
	v_add_co_u32_e32 v0, vcc, s22, v0
	v_addc_co_u32_e32 v1, vcc, v3, v1, vcc
	global_store_dword v[0:1], v2, off
.LBB96_7:
	s_endpgm
	.section	.rodata,"a",@progbits
	.p2align	6, 0x0
	.amdhsa_kernel _ZL17mul_mat_vec_q_moeIL9ggml_type10ELi2EEvPKvS2_PKiPfj15HIP_vector_typeIjLj3EEjjjjjjjjj
		.amdhsa_group_segment_fixed_size 0
		.amdhsa_private_segment_fixed_size 0
		.amdhsa_kernarg_size 84
		.amdhsa_user_sgpr_count 6
		.amdhsa_user_sgpr_private_segment_buffer 1
		.amdhsa_user_sgpr_dispatch_ptr 0
		.amdhsa_user_sgpr_queue_ptr 0
		.amdhsa_user_sgpr_kernarg_segment_ptr 1
		.amdhsa_user_sgpr_dispatch_id 0
		.amdhsa_user_sgpr_flat_scratch_init 0
		.amdhsa_user_sgpr_private_segment_size 0
		.amdhsa_uses_dynamic_stack 0
		.amdhsa_system_sgpr_private_segment_wavefront_offset 0
		.amdhsa_system_sgpr_workgroup_id_x 1
		.amdhsa_system_sgpr_workgroup_id_y 1
		.amdhsa_system_sgpr_workgroup_id_z 0
		.amdhsa_system_sgpr_workgroup_info 0
		.amdhsa_system_vgpr_workitem_id 1
		.amdhsa_next_free_vgpr 40
		.amdhsa_next_free_sgpr 27
		.amdhsa_reserve_vcc 1
		.amdhsa_reserve_flat_scratch 0
		.amdhsa_float_round_mode_32 0
		.amdhsa_float_round_mode_16_64 0
		.amdhsa_float_denorm_mode_32 3
		.amdhsa_float_denorm_mode_16_64 3
		.amdhsa_dx10_clamp 1
		.amdhsa_ieee_mode 1
		.amdhsa_fp16_overflow 0
		.amdhsa_exception_fp_ieee_invalid_op 0
		.amdhsa_exception_fp_denorm_src 0
		.amdhsa_exception_fp_ieee_div_zero 0
		.amdhsa_exception_fp_ieee_overflow 0
		.amdhsa_exception_fp_ieee_underflow 0
		.amdhsa_exception_fp_ieee_inexact 0
		.amdhsa_exception_int_div_zero 0
	.end_amdhsa_kernel
	.section	.text._ZL17mul_mat_vec_q_moeIL9ggml_type10ELi2EEvPKvS2_PKiPfj15HIP_vector_typeIjLj3EEjjjjjjjjj,"axG",@progbits,_ZL17mul_mat_vec_q_moeIL9ggml_type10ELi2EEvPKvS2_PKiPfj15HIP_vector_typeIjLj3EEjjjjjjjjj,comdat
.Lfunc_end96:
	.size	_ZL17mul_mat_vec_q_moeIL9ggml_type10ELi2EEvPKvS2_PKiPfj15HIP_vector_typeIjLj3EEjjjjjjjjj, .Lfunc_end96-_ZL17mul_mat_vec_q_moeIL9ggml_type10ELi2EEvPKvS2_PKiPfj15HIP_vector_typeIjLj3EEjjjjjjjjj
                                        ; -- End function
	.set _ZL17mul_mat_vec_q_moeIL9ggml_type10ELi2EEvPKvS2_PKiPfj15HIP_vector_typeIjLj3EEjjjjjjjjj.num_vgpr, 40
	.set _ZL17mul_mat_vec_q_moeIL9ggml_type10ELi2EEvPKvS2_PKiPfj15HIP_vector_typeIjLj3EEjjjjjjjjj.num_agpr, 0
	.set _ZL17mul_mat_vec_q_moeIL9ggml_type10ELi2EEvPKvS2_PKiPfj15HIP_vector_typeIjLj3EEjjjjjjjjj.numbered_sgpr, 27
	.set _ZL17mul_mat_vec_q_moeIL9ggml_type10ELi2EEvPKvS2_PKiPfj15HIP_vector_typeIjLj3EEjjjjjjjjj.num_named_barrier, 0
	.set _ZL17mul_mat_vec_q_moeIL9ggml_type10ELi2EEvPKvS2_PKiPfj15HIP_vector_typeIjLj3EEjjjjjjjjj.private_seg_size, 0
	.set _ZL17mul_mat_vec_q_moeIL9ggml_type10ELi2EEvPKvS2_PKiPfj15HIP_vector_typeIjLj3EEjjjjjjjjj.uses_vcc, 1
	.set _ZL17mul_mat_vec_q_moeIL9ggml_type10ELi2EEvPKvS2_PKiPfj15HIP_vector_typeIjLj3EEjjjjjjjjj.uses_flat_scratch, 0
	.set _ZL17mul_mat_vec_q_moeIL9ggml_type10ELi2EEvPKvS2_PKiPfj15HIP_vector_typeIjLj3EEjjjjjjjjj.has_dyn_sized_stack, 0
	.set _ZL17mul_mat_vec_q_moeIL9ggml_type10ELi2EEvPKvS2_PKiPfj15HIP_vector_typeIjLj3EEjjjjjjjjj.has_recursion, 0
	.set _ZL17mul_mat_vec_q_moeIL9ggml_type10ELi2EEvPKvS2_PKiPfj15HIP_vector_typeIjLj3EEjjjjjjjjj.has_indirect_call, 0
	.section	.AMDGPU.csdata,"",@progbits
; Kernel info:
; codeLenInByte = 1708
; TotalNumSgprs: 31
; NumVgprs: 40
; ScratchSize: 0
; MemoryBound: 0
; FloatMode: 240
; IeeeMode: 1
; LDSByteSize: 0 bytes/workgroup (compile time only)
; SGPRBlocks: 3
; VGPRBlocks: 9
; NumSGPRsForWavesPerEU: 31
; NumVGPRsForWavesPerEU: 40
; Occupancy: 6
; WaveLimiterHint : 1
; COMPUTE_PGM_RSRC2:SCRATCH_EN: 0
; COMPUTE_PGM_RSRC2:USER_SGPR: 6
; COMPUTE_PGM_RSRC2:TRAP_HANDLER: 0
; COMPUTE_PGM_RSRC2:TGID_X_EN: 1
; COMPUTE_PGM_RSRC2:TGID_Y_EN: 1
; COMPUTE_PGM_RSRC2:TGID_Z_EN: 0
; COMPUTE_PGM_RSRC2:TIDIG_COMP_CNT: 1
	.section	.text._ZL13mul_mat_vec_qIL9ggml_type10ELi1ELb1ELb1EEvPKvS2_PKi31ggml_cuda_mm_fusion_args_devicePfj15HIP_vector_typeIjLj3EEjjjS8_jjjS8_jjjj,"axG",@progbits,_ZL13mul_mat_vec_qIL9ggml_type10ELi1ELb1ELb1EEvPKvS2_PKi31ggml_cuda_mm_fusion_args_devicePfj15HIP_vector_typeIjLj3EEjjjS8_jjjS8_jjjj,comdat
	.globl	_ZL13mul_mat_vec_qIL9ggml_type10ELi1ELb1ELb1EEvPKvS2_PKi31ggml_cuda_mm_fusion_args_devicePfj15HIP_vector_typeIjLj3EEjjjS8_jjjS8_jjjj ; -- Begin function _ZL13mul_mat_vec_qIL9ggml_type10ELi1ELb1ELb1EEvPKvS2_PKi31ggml_cuda_mm_fusion_args_devicePfj15HIP_vector_typeIjLj3EEjjjS8_jjjS8_jjjj
	.p2align	8
	.type	_ZL13mul_mat_vec_qIL9ggml_type10ELi1ELb1ELb1EEvPKvS2_PKi31ggml_cuda_mm_fusion_args_devicePfj15HIP_vector_typeIjLj3EEjjjS8_jjjS8_jjjj,@function
_ZL13mul_mat_vec_qIL9ggml_type10ELi1ELb1ELb1EEvPKvS2_PKi31ggml_cuda_mm_fusion_args_devicePfj15HIP_vector_typeIjLj3EEjjjS8_jjjS8_jjjj: ; @_ZL13mul_mat_vec_qIL9ggml_type10ELi1ELb1ELb1EEvPKvS2_PKi31ggml_cuda_mm_fusion_args_devicePfj15HIP_vector_typeIjLj3EEjjjS8_jjjS8_jjjj
; %bb.0:
	s_load_dwordx8 s[12:19], s[4:5], 0x0
	s_load_dwordx4 s[28:31], s[4:5], 0x20
	s_load_dwordx4 s[36:39], s[4:5], 0x40
	;; [unrolled: 1-line block ×3, first 2 shown]
	s_mov_b32 s34, s7
	s_waitcnt lgkmcnt(0)
	s_cmp_lg_u64 s[16:17], 0
	s_cselect_b64 s[0:1], -1, 0
	s_cmp_eq_u64 s[16:17], 0
	s_mov_b64 s[2:3], 0
	s_cbranch_scc1 .LBB97_5
; %bb.1:
	s_mov_b32 s35, 0
	s_lshl_b64 s[10:11], s[34:35], 2
	s_add_u32 s10, s16, s10
	s_addc_u32 s11, s17, s11
	s_load_dword s35, s[10:11], 0x0
	s_load_dword s33, s[4:5], 0x50
	;; [unrolled: 1-line block ×3, first 2 shown]
	s_andn2_b64 vcc, exec, s[2:3]
	s_cbranch_vccnz .LBB97_3
.LBB97_2:
	s_load_dwordx2 s[2:3], s[4:5], 0x5c
	s_waitcnt lgkmcnt(0)
	s_mul_hi_u32 s2, s2, s34
	s_add_i32 s2, s34, s2
	s_lshr_b32 s35, s2, s3
.LBB97_3:
	s_andn2_b64 vcc, exec, s[0:1]
	s_cbranch_vccnz .LBB97_6
; %bb.4:
	s_mul_hi_u32 s0, s37, s34
	s_add_i32 s0, s34, s0
	s_lshr_b32 s0, s0, s38
	s_mul_i32 s0, s0, s39
	s_sub_i32 s37, s34, s0
	s_waitcnt lgkmcnt(0)
	s_mov_b32 s43, s35
	s_branch .LBB97_7
.LBB97_5:
                                        ; implicit-def: $sgpr35
	s_load_dword s33, s[4:5], 0x50
	s_load_dword s42, s[4:5], 0x78
	s_branch .LBB97_2
.LBB97_6:
	s_mov_b32 s43, s34
	s_mov_b32 s37, s34
.LBB97_7:
	s_load_dword s9, s[4:5], 0x58
	s_load_dwordx4 s[24:27], s[4:5], 0x80
	s_lshl_b32 s16, s6, 1
	s_cmp_eq_u64 s[18:19], 0
	s_cselect_b64 s[0:1], -1, 0
	v_mov_b32_e32 v10, 0
	s_and_b64 vcc, exec, s[0:1]
	v_cmp_gt_u32_e64 s[2:3], 2, v0
	v_cmp_eq_u32_e64 s[6:7], 0, v1
	v_add_u32_e32 v9, s16, v0
	v_mov_b32_e32 v11, 0
	s_cbranch_vccnz .LBB97_11
; %bb.8:
	s_waitcnt lgkmcnt(0)
	v_cmp_gt_u32_e32 vcc, s9, v9
	s_and_b64 s[2:3], s[2:3], vcc
	s_mov_b32 s11, 0
	s_and_b64 s[6:7], s[2:3], s[6:7]
	v_mov_b32_e32 v11, 0
	s_and_saveexec_b64 s[2:3], s[6:7]
	s_cbranch_execz .LBB97_10
; %bb.9:
	s_mul_i32 s10, s26, s8
	s_lshl_b64 s[6:7], s[10:11], 2
	s_add_u32 s17, s18, s6
	s_mul_i32 s10, s43, s22
	s_addc_u32 s18, s19, s7
	s_lshl_b64 s[6:7], s[10:11], 2
	s_add_u32 s10, s17, s6
	s_addc_u32 s11, s18, s7
	s_ashr_i32 s17, s16, 31
	s_lshl_b64 s[6:7], s[16:17], 2
	s_add_u32 s6, s10, s6
	s_addc_u32 s7, s11, s7
	v_lshlrev_b32_e32 v2, 2, v0
	global_load_dword v11, v2, s[6:7]
.LBB97_10:
	s_or_b64 exec, exec, s[2:3]
.LBB97_11:
	s_cmp_lg_u64 s[28:29], 0
	s_cselect_b64 s[18:19], -1, 0
	s_cmp_eq_u64 s[28:29], 0
	s_cselect_b64 s[38:39], -1, 0
	s_cmp_lg_u64 s[30:31], 0
	s_cselect_b64 s[2:3], -1, 0
	s_and_b64 s[6:7], s[2:3], s[18:19]
	s_andn2_b64 vcc, exec, s[6:7]
	s_waitcnt lgkmcnt(0)
	v_cmp_gt_u32_e64 s[6:7], s9, v9
	s_cbranch_vccnz .LBB97_15
; %bb.12:
	v_cmp_gt_u32_e32 vcc, 2, v0
	v_cmp_eq_u32_e64 s[10:11], 0, v1
	s_and_b64 s[6:7], vcc, s[6:7]
	s_mov_b32 s41, 0
	s_and_b64 s[10:11], s[6:7], s[10:11]
	v_mov_b32_e32 v10, 0
	s_and_saveexec_b64 s[6:7], s[10:11]
	s_cbranch_execz .LBB97_14
; %bb.13:
	s_mul_i32 s40, s26, s8
	s_lshl_b64 s[10:11], s[40:41], 2
	s_add_u32 s17, s30, s10
	s_mul_i32 s40, s43, s22
	s_addc_u32 s27, s31, s11
	s_lshl_b64 s[10:11], s[40:41], 2
	s_add_u32 s30, s17, s10
	s_addc_u32 s27, s27, s11
	s_ashr_i32 s17, s16, 31
	s_lshl_b64 s[10:11], s[16:17], 2
	s_add_u32 s10, s30, s10
	s_addc_u32 s11, s27, s11
	v_lshlrev_b32_e32 v2, 2, v0
	global_load_dword v10, v2, s[10:11]
.LBB97_14:
	s_or_b64 exec, exec, s[6:7]
.LBB97_15:
	v_lshl_add_u32 v6, v1, 6, v0
	v_mov_b32_e32 v4, 0
	s_lshr_b32 s17, s36, 8
	v_lshrrev_b32_e32 v14, 4, v6
	v_mov_b32_e32 v5, v4
	v_mov_b32_e32 v2, v4
	v_cmp_gt_u32_e32 vcc, s17, v14
	v_cndmask_b32_e64 v12, 0, 1, s[18:19]
	v_mov_b32_e32 v13, v4
	v_mov_b32_e32 v3, v5
	s_and_saveexec_b64 s[30:31], vcc
	s_cbranch_execz .LBB97_23
; %bb.16:
	s_mul_hi_u32 s6, s23, s8
	s_add_i32 s6, s8, s6
	s_lshr_b32 s6, s6, s42
	s_mul_i32 s7, s35, s20
	s_mul_i32 s6, s6, s24
	;; [unrolled: 1-line block ×3, first 2 shown]
	s_add_i32 s21, s7, s6
	v_and_b32_e32 v3, 7, v0
	s_mul_i32 s6, s16, s33
	v_bfe_u32 v4, v0, 2, 1
	s_add_i32 s20, s21, s6
	s_add_i32 s6, s16, 1
	v_lshlrev_b32_e32 v16, 2, v3
	v_bfe_u32 v3, v0, 3, 1
	v_and_or_b32 v15, v0, 8, v4
	s_mul_i32 s33, s33, s6
	v_lshrrev_b32_e32 v5, 4, v6
	v_mul_hi_u32_u24_e32 v4, 0x90, v3
	v_mul_u32_u24_e32 v3, 0x90, v3
	s_movk_i32 s6, 0x120
	s_mul_i32 s10, s25, s8
	v_mad_u64_u32 v[3:4], s[6:7], v5, s6, v[3:4]
	s_add_i32 s21, s21, s33
	s_mul_hi_u32 s7, s10, 36
	s_mul_i32 s10, s10, 36
	s_add_u32 s10, s14, s10
	s_mul_hi_u32 s6, s11, 36
	s_mul_i32 s11, s11, 36
	s_addc_u32 s7, s15, s7
	s_add_u32 s10, s10, s11
	v_and_b32_e32 v7, 15, v0
	s_addc_u32 s6, s7, s6
	v_mov_b32_e32 v2, 0
	v_mov_b32_e32 v6, s6
	v_add_co_u32_e32 v5, vcc, s10, v3
	v_lshlrev_b32_e32 v17, 2, v7
	v_mov_b32_e32 v7, s12
	v_addc_co_u32_e32 v6, vcc, v6, v4, vcc
	v_mov_b32_e32 v3, v2
	s_mov_b64 s[14:15], 0
	s_movk_i32 s23, 0x54
	s_mov_b32 s24, 0x1010101
	v_mov_b32_e32 v8, s13
	v_cmp_ne_u32_e64 s[6:7], 1, v12
	v_mov_b32_e32 v13, v2
	v_mov_b32_e32 v4, v2
	s_branch .LBB97_18
.LBB97_17:                              ;   in Loop: Header=BB97_18 Depth=1
	s_waitcnt vmcnt(11)
	v_and_b32_e32 v38, 0x3030303, v28
	v_dot4_i32_i8 v38, v38, v23, 0
	s_waitcnt vmcnt(10)
	v_and_b32_e32 v39, 15, v31
	v_mul_lo_u32 v38, v39, v38
	v_bfe_u32 v31, v31, 4, 4
	v_lshrrev_b32_e32 v39, 2, v28
	v_mul_lo_u32 v31, v31, s24
	v_and_b32_e32 v39, 0x3030303, v39
	s_waitcnt vmcnt(9)
	v_and_b32_e32 v40, 15, v30
	v_bfe_u32 v30, v30, 4, 4
	v_dot4_i32_i8 v39, v39, v20, 0
	v_mul_lo_u32 v30, v30, s24
	v_mul_lo_u32 v39, v40, v39
	v_lshrrev_b32_e32 v40, 4, v28
	v_dot4_i32_i8 v31, v31, v23, 0
	v_and_b32_e32 v40, 0x3030303, v40
	v_cvt_f32_i32_e32 v38, v38
	v_cvt_f32_i32_e32 v31, v31
	v_dot4_i32_i8 v30, v30, v20, 0
	v_dot4_i32_i8 v40, v40, v19, 0
	s_waitcnt vmcnt(8)
	v_and_b32_e32 v41, 15, v29
	v_cvt_f32_i32_e32 v39, v39
	v_cvt_f32_i32_e32 v30, v30
	v_mul_lo_u32 v40, v41, v40
	v_bfe_u32 v29, v29, 4, 4
	v_mul_lo_u32 v29, v29, s24
	v_fma_f32 v38, v25, v38, 0
	v_fma_f32 v31, v25, v31, 0
	v_lshrrev_b32_e32 v28, 6, v28
	v_fmac_f32_e32 v38, v24, v39
	v_fmac_f32_e32 v31, v24, v30
	v_cvt_f32_i32_e32 v30, v40
	v_and_b32_e32 v28, 0x3030303, v28
	s_waitcnt vmcnt(7)
	v_and_b32_e32 v39, 15, v27
	v_bfe_u32 v27, v27, 4, 4
	v_dot4_i32_i8 v28, v28, v18, 0
	v_mul_lo_u32 v27, v27, s24
	v_dot4_i32_i8 v29, v29, v19, 0
	v_mul_lo_u32 v28, v39, v28
	v_cvt_f32_i32_e32 v29, v29
	v_fmac_f32_e32 v38, v22, v30
	s_waitcnt vmcnt(5)
	v_and_b32_e32 v30, 0x3030303, v34
	v_dot4_i32_i8 v27, v27, v18, 0
	v_dot4_i32_i8 v30, v30, v23, 0
	s_waitcnt vmcnt(4)
	v_and_b32_e32 v39, 15, v37
	v_cvt_f32_i32_e32 v28, v28
	v_cvt_f32_i32_e32 v27, v27
	v_mul_lo_u32 v30, v39, v30
	v_fmac_f32_e32 v31, v22, v29
	v_cvt_f32_f16_sdwa v29, v26 dst_sel:DWORD dst_unused:UNUSED_PAD src0_sel:WORD_1
	v_fmac_f32_e32 v38, v21, v28
	v_fmac_f32_e32 v31, v21, v27
	v_cvt_f32_i32_e32 v28, v30
	v_mul_f32_e32 v27, v31, v29
	v_fma_mix_f32 v26, v38, v26, -v27 op_sel_hi:[0,1,0]
	v_lshrrev_b32_e32 v27, 2, v34
	v_and_b32_e32 v27, 0x3030303, v27
	v_lshrrev_b32_e32 v29, 4, v37
	v_add_f32_e32 v13, v13, v26
	v_fma_f32 v26, v25, v28, 0
	v_dot4_i32_i8 v27, v27, v20, 0
	s_waitcnt vmcnt(3)
	v_and_b32_e32 v28, 15, v36
	v_mul_lo_u32 v29, v29, s24
	v_mul_lo_u32 v27, v28, v27
	v_lshrrev_b32_e32 v28, 4, v36
	v_mul_lo_u32 v28, v28, s24
	v_dot4_i32_i8 v23, v29, v23, 0
	v_cvt_f32_i32_e32 v23, v23
	v_cvt_f32_i32_e32 v27, v27
	v_dot4_i32_i8 v20, v28, v20, 0
	v_cvt_f32_i32_e32 v20, v20
	v_fma_f32 v23, v25, v23, 0
	v_fmac_f32_e32 v26, v24, v27
	v_lshrrev_b32_e32 v29, 4, v34
	v_fmac_f32_e32 v23, v24, v20
	v_lshrrev_b32_e32 v24, 6, v34
	v_and_b32_e32 v24, 0x3030303, v24
	s_waitcnt vmcnt(2)
	v_lshrrev_b32_e32 v20, 4, v35
	v_dot4_i32_i8 v24, v24, v18, 0
	s_waitcnt vmcnt(1)
	v_and_b32_e32 v25, 15, v33
	v_and_b32_e32 v29, 0x3030303, v29
	v_mul_lo_u32 v20, v20, s24
	v_mul_lo_u32 v24, v25, v24
	v_lshrrev_b32_e32 v25, 4, v33
	v_dot4_i32_i8 v29, v29, v19, 0
	v_and_b32_e32 v30, 15, v35
	v_mul_lo_u32 v25, v25, s24
	v_mul_lo_u32 v29, v30, v29
	v_dot4_i32_i8 v19, v20, v19, 0
	v_cvt_f32_i32_e32 v19, v19
	v_dot4_i32_i8 v18, v25, v18, 0
	v_cvt_f32_i32_e32 v28, v29
	v_cvt_f32_i32_e32 v18, v18
	;; [unrolled: 1-line block ×3, first 2 shown]
	s_waitcnt vmcnt(0)
	v_cvt_f32_f16_sdwa v24, v32 dst_sel:DWORD dst_unused:UNUSED_PAD src0_sel:WORD_1
	v_fmac_f32_e32 v23, v22, v19
	v_fmac_f32_e32 v26, v22, v28
	;; [unrolled: 1-line block ×4, first 2 shown]
	v_mul_f32_e32 v18, v23, v24
	v_add_u32_e32 v14, 8, v14
	v_fma_mix_f32 v18, v26, v32, -v18 op_sel_hi:[0,1,0]
	v_add_co_u32_e32 v5, vcc, 0x900, v5
	v_cmp_le_u32_e64 s[10:11], s17, v14
	v_add_f32_e32 v4, v4, v18
	s_or_b64 s[14:15], s[10:11], s[14:15]
	v_addc_co_u32_e32 v6, vcc, 0, v6, vcc
	s_andn2_b64 exec, exec, s[14:15]
	s_cbranch_execz .LBB97_22
.LBB97_18:                              ; =>This Inner Loop Header: Depth=1
	v_add_u32_e32 v32, s20, v14
	v_mad_i64_i32 v[24:25], s[10:11], v32, s23, v[7:8]
	v_add_co_u32_e32 v21, vcc, v5, v16
	v_addc_co_u32_e32 v22, vcc, 0, v6, vcc
	global_load_dword v23, v[21:22], off offset:4
	global_load_dword v20, v[21:22], off offset:40
	;; [unrolled: 1-line block ×4, first 2 shown]
	v_add_co_u32_e32 v21, vcc, v24, v17
	v_addc_co_u32_e32 v22, vcc, 0, v25, vcc
	v_add_co_u32_e32 v33, vcc, v24, v15
	v_addc_co_u32_e32 v34, vcc, 0, v25, vcc
	global_load_dword v35, v[5:6], off
	global_load_dword v36, v[5:6], off offset:36
	global_load_dword v37, v[5:6], off offset:72
	;; [unrolled: 1-line block ×4, first 2 shown]
	global_load_ubyte v31, v[33:34], off
	global_load_ubyte v30, v[33:34], off offset:2
	global_load_ubyte v29, v[33:34], off offset:4
	;; [unrolled: 1-line block ×3, first 2 shown]
	global_load_dword v26, v[24:25], off offset:80
	s_and_b64 vcc, exec, s[6:7]
	s_waitcnt vmcnt(9)
	v_cvt_f32_f16_e32 v25, v35
	s_waitcnt vmcnt(8)
	v_cvt_f32_f16_e32 v24, v36
	s_waitcnt vmcnt(7)
	v_cvt_f32_f16_e32 v22, v37
	s_waitcnt vmcnt(6)
	v_cvt_f32_f16_e32 v21, v38
	s_cbranch_vccnz .LBB97_20
; %bb.19:                               ;   in Loop: Header=BB97_18 Depth=1
	v_mov_b32_e32 v34, s29
	v_mov_b32_e32 v33, s28
	v_mad_i64_i32 v[32:33], s[10:11], v32, s23, v[33:34]
	v_add_co_u32_e32 v34, vcc, v32, v17
	v_addc_co_u32_e32 v35, vcc, 0, v33, vcc
	v_add_co_u32_e32 v36, vcc, v32, v15
	v_addc_co_u32_e32 v37, vcc, 0, v33, vcc
	global_load_dword v38, v[32:33], off offset:80
	global_load_dword v39, v[34:35], off offset:16
	global_load_ubyte v40, v[36:37], off
	global_load_ubyte v41, v[36:37], off offset:2
	global_load_ubyte v42, v[36:37], off offset:4
	;; [unrolled: 1-line block ×3, first 2 shown]
	s_waitcnt vmcnt(5)
	v_cvt_f32_f16_sdwa v32, v38 dst_sel:DWORD dst_unused:UNUSED_PAD src0_sel:WORD_1
	s_waitcnt vmcnt(4)
	v_and_b32_e32 v33, 0x3030303, v39
	s_waitcnt vmcnt(3)
	v_lshrrev_b32_e32 v35, 4, v40
	v_and_b32_e32 v34, 15, v40
	v_lshrrev_b32_e32 v36, 2, v39
	s_waitcnt vmcnt(2)
	v_lshrrev_b32_e32 v40, 4, v41
	v_mul_lo_u32 v35, v35, s24
	v_and_b32_e32 v37, 15, v41
	v_lshrrev_b32_e32 v41, 4, v39
	s_waitcnt vmcnt(1)
	v_and_b32_e32 v44, 15, v42
	v_lshrrev_b32_e32 v42, 4, v42
	v_dot4_i32_i8 v33, v33, v23, 0
	v_and_b32_e32 v36, 0x3030303, v36
	v_mul_lo_u32 v40, v40, s24
	v_lshrrev_b32_e32 v39, 6, v39
	s_waitcnt vmcnt(0)
	v_and_b32_e32 v45, 15, v43
	v_lshrrev_b32_e32 v43, 4, v43
	v_and_b32_e32 v41, 0x3030303, v41
	v_mul_lo_u32 v42, v42, s24
	v_mul_lo_u32 v33, v34, v33
	v_dot4_i32_i8 v34, v36, v20, 0
	v_and_b32_e32 v39, 0x3030303, v39
	v_mul_lo_u32 v43, v43, s24
	v_dot4_i32_i8 v36, v41, v19, 0
	v_mul_lo_u32 v34, v37, v34
	v_dot4_i32_i8 v39, v39, v18, 0
	;; [unrolled: 2-line block ×4, first 2 shown]
	v_cvt_f32_i32_e32 v35, v35
	v_dot4_i32_i8 v40, v42, v19, 0
	v_cvt_f32_i32_e32 v33, v33
	v_cvt_f32_i32_e32 v39, v39
	v_dot4_i32_i8 v41, v43, v18, 0
	v_cvt_f32_i32_e32 v40, v40
	v_cvt_f32_i32_e32 v34, v34
	;; [unrolled: 1-line block ×5, first 2 shown]
	v_fma_f32 v35, v25, v35, 0
	v_fma_f32 v33, v25, v33, 0
	v_fmac_f32_e32 v35, v24, v39
	v_fmac_f32_e32 v33, v24, v34
	;; [unrolled: 1-line block ×6, first 2 shown]
	v_mul_f32_e32 v32, v35, v32
	v_fma_mix_f32 v32, v33, v38, -v32 op_sel_hi:[0,1,0]
	v_add_f32_e32 v2, v2, v32
.LBB97_20:                              ;   in Loop: Header=BB97_18 Depth=1
	v_mov_b32_e32 v33, s13
	v_add_u32_e32 v38, s21, v14
	v_mov_b32_e32 v32, s12
	v_mad_i64_i32 v[39:40], s[10:11], v38, s23, v[32:33]
	v_add_co_u32_e32 v41, vcc, v39, v17
	v_addc_co_u32_e32 v42, vcc, 0, v40, vcc
	v_add_co_u32_e32 v43, vcc, v39, v15
	v_addc_co_u32_e32 v44, vcc, 0, v40, vcc
	global_load_dword v34, v[41:42], off offset:16
	global_load_ubyte v37, v[43:44], off
	global_load_ubyte v36, v[43:44], off offset:2
	global_load_ubyte v35, v[43:44], off offset:4
	;; [unrolled: 1-line block ×3, first 2 shown]
	global_load_dword v32, v[39:40], off offset:80
	s_and_b64 vcc, exec, s[6:7]
	s_cbranch_vccnz .LBB97_17
; %bb.21:                               ;   in Loop: Header=BB97_18 Depth=1
	v_mov_b32_e32 v40, s29
	v_mov_b32_e32 v39, s28
	v_mad_i64_i32 v[38:39], s[10:11], v38, s23, v[39:40]
	v_add_co_u32_e32 v40, vcc, v38, v17
	v_addc_co_u32_e32 v41, vcc, 0, v39, vcc
	global_load_dword v42, v[40:41], off offset:16
	v_add_co_u32_e32 v40, vcc, v38, v15
	v_addc_co_u32_e32 v41, vcc, 0, v39, vcc
	global_load_dword v43, v[38:39], off offset:80
	global_load_ubyte v44, v[40:41], off
	s_waitcnt vmcnt(2)
	v_and_b32_e32 v38, 0x3030303, v42
	v_dot4_i32_i8 v38, v38, v23, 0
	v_lshrrev_b32_e32 v45, 2, v42
	v_and_b32_e32 v45, 0x3030303, v45
	v_dot4_i32_i8 v45, v45, v20, 0
	s_waitcnt vmcnt(0)
	v_and_b32_e32 v39, 15, v44
	v_mul_lo_u32 v38, v39, v38
	v_lshrrev_b32_e32 v39, 4, v44
	global_load_ubyte v44, v[40:41], off offset:2
	v_mul_lo_u32 v39, v39, s24
	v_cvt_f32_i32_e32 v38, v38
	v_dot4_i32_i8 v39, v39, v23, 0
	v_cvt_f32_i32_e32 v39, v39
	v_fma_f32 v38, v25, v38, 0
	v_fma_f32 v39, v25, v39, 0
	s_waitcnt vmcnt(0)
	v_and_b32_e32 v46, 15, v44
	v_lshrrev_b32_e32 v44, 4, v44
	v_mul_lo_u32 v44, v44, s24
	v_mul_lo_u32 v45, v46, v45
	v_dot4_i32_i8 v44, v44, v20, 0
	v_cvt_f32_i32_e32 v44, v44
	v_cvt_f32_i32_e32 v45, v45
	v_fmac_f32_e32 v39, v24, v44
	global_load_ubyte v44, v[40:41], off offset:4
	v_fmac_f32_e32 v38, v24, v45
	global_load_ubyte v40, v[40:41], off offset:6
	v_lshrrev_b32_e32 v45, 4, v42
	v_lshrrev_b32_e32 v41, 6, v42
	v_and_b32_e32 v45, 0x3030303, v45
	v_dot4_i32_i8 v45, v45, v19, 0
	v_and_b32_e32 v41, 0x3030303, v41
	v_dot4_i32_i8 v41, v41, v18, 0
	s_waitcnt vmcnt(1)
	v_and_b32_e32 v46, 15, v44
	v_lshrrev_b32_e32 v44, 4, v44
	v_mul_lo_u32 v44, v44, s24
	s_waitcnt vmcnt(0)
	v_and_b32_e32 v42, 15, v40
	v_lshrrev_b32_e32 v40, 4, v40
	v_mul_lo_u32 v40, v40, s24
	v_dot4_i32_i8 v44, v44, v19, 0
	v_mul_lo_u32 v45, v46, v45
	v_cvt_f32_i32_e32 v44, v44
	v_dot4_i32_i8 v40, v40, v18, 0
	v_mul_lo_u32 v41, v42, v41
	v_cvt_f32_i32_e32 v40, v40
	v_cvt_f32_i32_e32 v45, v45
	v_fmac_f32_e32 v39, v22, v44
	v_cvt_f32_i32_e32 v41, v41
	v_fmac_f32_e32 v39, v21, v40
	v_cvt_f32_f16_sdwa v40, v43 dst_sel:DWORD dst_unused:UNUSED_PAD src0_sel:WORD_1
	v_fmac_f32_e32 v38, v22, v45
	v_fmac_f32_e32 v38, v21, v41
	v_mul_f32_e32 v39, v39, v40
	v_fma_mix_f32 v38, v38, v43, -v39 op_sel_hi:[0,1,0]
	v_add_f32_e32 v3, v3, v38
	s_branch .LBB97_17
.LBB97_22:
	s_or_b64 exec, exec, s[14:15]
.LBB97_23:
	s_or_b64 exec, exec, s[30:31]
	s_load_dword s14, s[4:5], 0x30
	v_cmp_eq_u32_e64 s[6:7], 0, v1
	v_cmp_ne_u32_e32 vcc, 0, v1
	v_lshlrev_b32_e32 v5, 2, v0
	s_and_saveexec_b64 s[10:11], vcc
	s_cbranch_execz .LBB97_28
; %bb.24:
	v_lshl_or_b32 v1, v1, 9, v5
	v_add_u32_e32 v6, 0xfffffe00, v1
	s_mov_b64 s[12:13], -1
	s_and_b64 vcc, exec, s[38:39]
	ds_write_b32 v6, v13
	s_cbranch_vccz .LBB97_26
; %bb.25:
	ds_write_b32 v6, v4 offset:256
	s_mov_b64 s[12:13], 0
.LBB97_26:
	s_andn2_b64 vcc, exec, s[12:13]
	s_cbranch_vccnz .LBB97_28
; %bb.27:
	ds_write_b32 v6, v4 offset:256
	ds_write2st64_b32 v1, v2, v3 offset1:1
.LBB97_28:
	s_or_b64 exec, exec, s[10:11]
	s_waitcnt vmcnt(0) lgkmcnt(0)
	s_barrier
	s_and_saveexec_b64 s[10:11], s[6:7]
	s_cbranch_execz .LBB97_61
; %bb.29:
	ds_read_b32 v7, v5
	v_cmp_ne_u32_e64 s[6:7], 1, v12
	s_andn2_b64 vcc, exec, s[18:19]
	v_or_b32_e32 v6, 0x200, v5
	s_cbranch_vccnz .LBB97_31
; %bb.30:
	ds_read_b32 v1, v6
	s_waitcnt lgkmcnt(0)
	v_add_f32_e32 v2, v2, v1
.LBB97_31:
	v_mbcnt_lo_u32_b32 v1, -1, 0
	v_mbcnt_hi_u32_b32 v8, -1, v1
	v_and_b32_e32 v1, 64, v8
	v_add_u32_e32 v16, 64, v1
	v_xor_b32_e32 v1, 32, v8
	v_cmp_lt_i32_e32 vcc, v1, v16
	v_cndmask_b32_e32 v1, v8, v1, vcc
	v_lshlrev_b32_e32 v1, 2, v1
	s_waitcnt lgkmcnt(0)
	v_add_f32_e32 v7, v13, v7
	ds_bpermute_b32 v13, v1, v7
	v_xor_b32_e32 v12, 16, v8
	v_cmp_lt_i32_e32 vcc, v12, v16
	v_cndmask_b32_e32 v12, v8, v12, vcc
	v_lshlrev_b32_e32 v12, 2, v12
	s_waitcnt lgkmcnt(0)
	v_add_f32_e32 v7, v7, v13
	ds_bpermute_b32 v14, v12, v7
	;; [unrolled: 7-line block ×6, first 2 shown]
	s_and_b64 vcc, exec, s[6:7]
	s_cbranch_vccnz .LBB97_33
; %bb.32:
	ds_bpermute_b32 v17, v1, v2
	s_waitcnt lgkmcnt(0)
	v_add_f32_e32 v2, v2, v17
	ds_bpermute_b32 v17, v12, v2
	s_waitcnt lgkmcnt(0)
	v_add_f32_e32 v2, v2, v17
	ds_bpermute_b32 v17, v13, v2
	s_waitcnt lgkmcnt(0)
	v_add_f32_e32 v2, v2, v17
	ds_bpermute_b32 v17, v14, v2
	s_waitcnt lgkmcnt(0)
	v_add_f32_e32 v2, v2, v17
	ds_bpermute_b32 v17, v15, v2
	s_waitcnt lgkmcnt(0)
	v_add_f32_e32 v2, v2, v17
	ds_bpermute_b32 v17, v16, v2
	s_waitcnt lgkmcnt(0)
	v_add_f32_e32 v2, v2, v17
.LBB97_33:
	ds_read_b32 v17, v5 offset:256
	s_and_b64 vcc, exec, s[6:7]
	s_cbranch_vccnz .LBB97_35
; %bb.34:
	ds_read_b32 v6, v6 offset:256
	s_waitcnt lgkmcnt(0)
	v_add_f32_e32 v3, v3, v6
.LBB97_35:
	s_waitcnt lgkmcnt(0)
	v_add_f32_e32 v4, v4, v17
	ds_bpermute_b32 v6, v1, v4
	s_and_b64 vcc, exec, s[6:7]
	s_waitcnt lgkmcnt(0)
	v_add_f32_e32 v4, v4, v6
	ds_bpermute_b32 v6, v12, v4
	s_waitcnt lgkmcnt(0)
	v_add_f32_e32 v4, v4, v6
	ds_bpermute_b32 v6, v13, v4
	;; [unrolled: 3-line block ×5, first 2 shown]
	s_cbranch_vccnz .LBB97_37
; %bb.36:
	ds_bpermute_b32 v1, v1, v3
	s_waitcnt lgkmcnt(0)
	v_add_f32_e32 v1, v3, v1
	ds_bpermute_b32 v3, v12, v1
	s_waitcnt lgkmcnt(0)
	v_add_f32_e32 v1, v1, v3
	ds_bpermute_b32 v3, v13, v1
	s_waitcnt lgkmcnt(0)
	v_add_f32_e32 v1, v1, v3
	ds_bpermute_b32 v3, v14, v1
	s_waitcnt lgkmcnt(0)
	v_add_f32_e32 v1, v1, v3
	ds_bpermute_b32 v3, v15, v1
	s_waitcnt lgkmcnt(0)
	v_add_f32_e32 v1, v1, v3
	ds_bpermute_b32 v3, v16, v1
	s_waitcnt lgkmcnt(0)
	v_add_f32_e32 v3, v1, v3
.LBB97_37:
	v_cmp_gt_u32_e32 vcc, s9, v9
	v_cmp_gt_u32_e64 s[10:11], 2, v0
	s_and_b64 s[10:11], s[10:11], vcc
	s_and_b64 exec, exec, s[10:11]
	s_cbranch_execz .LBB97_61
; %bb.38:
	v_add_f32_e32 v1, v7, v8
	s_waitcnt lgkmcnt(0)
	v_add_f32_e32 v4, v4, v6
	v_cmp_eq_u32_e64 s[10:11], 1, v0
	v_cndmask_b32_e64 v0, v1, v4, s[10:11]
	v_add_f32_e32 v1, v11, v0
	s_and_b64 vcc, exec, s[6:7]
	v_cndmask_b32_e64 v0, v1, v0, s[0:1]
	s_cbranch_vccnz .LBB97_60
; %bb.39:
	v_cndmask_b32_e64 v1, v2, v3, s[10:11]
	v_add_f32_e32 v2, v10, v1
	v_cndmask_b32_e64 v1, v1, v2, s[2:3]
	s_cmp_lt_i32 s14, 2
	s_mov_b64 s[0:1], 0
	s_cbranch_scc1 .LBB97_43
; %bb.40:
	s_cmp_gt_i32 s14, 2
	s_cbranch_scc0 .LBB97_44
; %bb.41:
	s_cmp_eq_u32 s14, 3
	s_cbranch_scc0 .LBB97_45
; %bb.42:
	v_max_f32_e32 v2, v1, v1
	v_min_f32_e32 v2, 0x40e00000, v2
	v_mul_f32_e32 v3, 0xbfd9db23, v2
	s_mov_b32 s2, 0x3fb8aa3b
	v_mul_f32_e32 v4, 0x3fb8aa3b, v3
	v_fma_f32 v6, v3, s2, -v4
	v_rndne_f32_e32 v7, v4
	v_fmac_f32_e32 v6, 0x32a5705f, v3
	v_sub_f32_e32 v4, v4, v7
	v_add_f32_e32 v4, v4, v6
	v_exp_f32_e32 v4, v4
	v_cvt_i32_f32_e32 v6, v7
	s_mov_b32 s2, 0xc2ce8ed0
	v_cmp_ngt_f32_e32 vcc, s2, v3
	s_mov_b32 s2, 0x42b17218
	v_ldexp_f32 v4, v4, v6
	v_cndmask_b32_e32 v4, 0, v4, vcc
	v_mov_b32_e32 v6, 0x7f800000
	v_cmp_nlt_f32_e32 vcc, s2, v3
	v_cndmask_b32_e32 v3, v6, v4, vcc
	v_add_f32_e32 v3, 1.0, v3
	v_div_scale_f32 v4, s[2:3], v3, v3, v2
	v_div_scale_f32 v6, vcc, v2, v3, v2
	s_mov_b64 s[2:3], 0
	v_rcp_f32_e32 v7, v4
	v_fma_f32 v8, -v4, v7, 1.0
	v_fmac_f32_e32 v7, v8, v7
	v_mul_f32_e32 v8, v6, v7
	v_fma_f32 v9, -v4, v8, v6
	v_fmac_f32_e32 v8, v9, v7
	v_fma_f32 v4, -v4, v8, v6
	v_div_fmas_f32 v4, v4, v7, v8
	v_max_f32_e32 v6, v0, v0
	v_min_f32_e32 v6, 0x40e00000, v6
	v_max_f32_e32 v6, 0xc0e00000, v6
	v_add_f32_e32 v6, 1.0, v6
	v_div_fixup_f32 v2, v4, v3, v2
	v_mul_f32_e32 v2, v6, v2
	s_branch .LBB97_46
.LBB97_43:
                                        ; implicit-def: $vgpr2
	s_mov_b64 s[2:3], 0
	s_cbranch_execnz .LBB97_50
	s_branch .LBB97_51
.LBB97_44:
	s_mov_b64 s[6:7], -1
	s_mov_b64 s[2:3], 0
                                        ; implicit-def: $vgpr2
	s_branch .LBB97_47
.LBB97_45:
	s_mov_b64 s[2:3], -1
                                        ; implicit-def: $vgpr2
.LBB97_46:
	s_mov_b64 s[6:7], 0
.LBB97_47:
	s_and_b64 vcc, exec, s[6:7]
	s_cbranch_vccz .LBB97_49
; %bb.48:
	v_mul_f32_e32 v2, 0xbfb8aa3b, v1
	s_mov_b32 s6, 0xbfb8aa3b
	v_rndne_f32_e32 v3, v2
	v_sub_f32_e32 v4, v2, v3
	v_fma_f32 v2, v1, s6, -v2
	v_fmac_f32_e32 v2, 0xb2a5705f, v1
	v_add_f32_e32 v2, v4, v2
	v_exp_f32_e32 v2, v2
	v_cvt_i32_f32_e32 v3, v3
	s_mov_b32 s6, 0x42ce8ed0
	v_cmp_nlt_f32_e32 vcc, s6, v1
	s_mov_b32 s6, 0xc2b17218
	v_ldexp_f32 v2, v2, v3
	v_cndmask_b32_e32 v2, 0, v2, vcc
	v_mov_b32_e32 v3, 0x7f800000
	v_cmp_ngt_f32_e32 vcc, s6, v1
	v_cndmask_b32_e32 v2, v3, v2, vcc
	v_add_f32_e32 v2, 1.0, v2
	v_div_scale_f32 v3, s[6:7], v2, v2, v1
	v_div_scale_f32 v4, vcc, v1, v2, v1
	v_rcp_f32_e32 v6, v3
	v_fma_f32 v7, -v3, v6, 1.0
	v_fmac_f32_e32 v6, v7, v6
	v_mul_f32_e32 v7, v4, v6
	v_fma_f32 v8, -v3, v7, v4
	v_fmac_f32_e32 v7, v8, v6
	v_fma_f32 v3, -v3, v7, v4
	v_div_fmas_f32 v3, v3, v6, v7
	v_div_fixup_f32 v2, v3, v2, v1
	v_mul_f32_e32 v2, v0, v2
.LBB97_49:
	s_branch .LBB97_51
.LBB97_50:
	s_cmp_lg_u32 s14, 1
	s_mov_b64 s[0:1], -1
	s_cselect_b64 s[2:3], -1, 0
.LBB97_51:
	s_andn2_b64 vcc, exec, s[2:3]
	s_cbranch_vccz .LBB97_53
; %bb.52:
	s_andn2_b64 vcc, exec, s[0:1]
	s_cbranch_vccz .LBB97_54
	s_branch .LBB97_59
.LBB97_53:
	v_mul_f32_e32 v2, v1, v0
	s_cbranch_execnz .LBB97_59
.LBB97_54:
	v_mul_f32_e32 v3, 0x3d372713, v1
	v_mul_f32_e32 v2, 0x3f4c422a, v1
	v_fma_f32 v3, v1, v3, 1.0
	v_mul_f32_e32 v2, v2, v3
	s_mov_b32 s0, 0x3f200000
	v_cmp_nlt_f32_e64 s[0:1], |v2|, s0
                                        ; implicit-def: $vgpr3
	s_and_saveexec_b64 s[2:3], s[0:1]
	s_xor_b64 s[0:1], exec, s[2:3]
	s_cbranch_execz .LBB97_56
; %bb.55:
	v_add_f32_e64 v3, |v2|, |v2|
	v_mul_f32_e32 v4, 0x3fb8aa3b, v3
	s_mov_b32 s2, 0x3fb8aa3b
	v_rndne_f32_e32 v6, v4
	v_sub_f32_e32 v7, v4, v6
	v_fma_f32 v4, v3, s2, -v4
	v_fmac_f32_e32 v4, 0x32a5705f, v3
	v_add_f32_e32 v4, v7, v4
	v_exp_f32_e32 v4, v4
	v_cvt_i32_f32_e32 v6, v6
	s_mov_b32 s2, 0xc2ce8ed0
	v_cmp_ngt_f32_e32 vcc, s2, v3
	s_mov_b32 s2, 0x42b17218
	v_ldexp_f32 v4, v4, v6
	v_cndmask_b32_e32 v4, 0, v4, vcc
	v_mov_b32_e32 v6, 0x7f800000
	v_cmp_nlt_f32_e32 vcc, s2, v3
	v_cndmask_b32_e32 v3, v6, v4, vcc
	v_add_f32_e32 v3, 1.0, v3
	v_rcp_f32_e32 v3, v3
	v_fma_f32 v3, v3, -2.0, 1.0
.LBB97_56:
	s_andn2_saveexec_b64 s[0:1], s[0:1]
	s_cbranch_execz .LBB97_58
; %bb.57:
	v_mul_f32_e32 v3, v2, v2
	v_mov_b32_e32 v4, 0x3ca908c9
	v_fmac_f32_e32 v4, 0xbbbac73d, v3
	v_mov_b32_e32 v6, 0xbd5c1c4e
	v_fmac_f32_e32 v6, v3, v4
	;; [unrolled: 2-line block ×4, first 2 shown]
	v_mul_f32_e64 v4, |v2|, v6
	v_fma_f32 v3, v3, v4, |v2|
.LBB97_58:
	s_or_b64 exec, exec, s[0:1]
	s_brev_b32 s0, -2
	v_bfi_b32 v2, s0, v3, v2
	v_mul_f32_e32 v1, 0.5, v1
	v_add_f32_e32 v2, 1.0, v2
	v_mul_f32_e32 v1, v1, v2
	v_mul_f32_e32 v2, v0, v1
.LBB97_59:
	v_mov_b32_e32 v0, v2
.LBB97_60:
	s_load_dwordx2 s[0:1], s[4:5], 0x38
	s_mul_i32 s3, s22, s34
	s_mul_i32 s2, s26, s8
	s_add_i32 s3, s3, s16
	s_add_i32 s2, s3, s2
	s_mov_b32 s3, 0
	s_lshl_b64 s[2:3], s[2:3], 2
	s_waitcnt lgkmcnt(0)
	s_add_u32 s0, s0, s2
	s_addc_u32 s1, s1, s3
	global_store_dword v5, v0, s[0:1]
.LBB97_61:
	s_endpgm
	.section	.rodata,"a",@progbits
	.p2align	6, 0x0
	.amdhsa_kernel _ZL13mul_mat_vec_qIL9ggml_type10ELi1ELb1ELb1EEvPKvS2_PKi31ggml_cuda_mm_fusion_args_devicePfj15HIP_vector_typeIjLj3EEjjjS8_jjjS8_jjjj
		.amdhsa_group_segment_fixed_size 1024
		.amdhsa_private_segment_fixed_size 0
		.amdhsa_kernarg_size 144
		.amdhsa_user_sgpr_count 6
		.amdhsa_user_sgpr_private_segment_buffer 1
		.amdhsa_user_sgpr_dispatch_ptr 0
		.amdhsa_user_sgpr_queue_ptr 0
		.amdhsa_user_sgpr_kernarg_segment_ptr 1
		.amdhsa_user_sgpr_dispatch_id 0
		.amdhsa_user_sgpr_flat_scratch_init 0
		.amdhsa_user_sgpr_private_segment_size 0
		.amdhsa_uses_dynamic_stack 0
		.amdhsa_system_sgpr_private_segment_wavefront_offset 0
		.amdhsa_system_sgpr_workgroup_id_x 1
		.amdhsa_system_sgpr_workgroup_id_y 1
		.amdhsa_system_sgpr_workgroup_id_z 1
		.amdhsa_system_sgpr_workgroup_info 0
		.amdhsa_system_vgpr_workitem_id 1
		.amdhsa_next_free_vgpr 47
		.amdhsa_next_free_sgpr 44
		.amdhsa_reserve_vcc 1
		.amdhsa_reserve_flat_scratch 0
		.amdhsa_float_round_mode_32 0
		.amdhsa_float_round_mode_16_64 0
		.amdhsa_float_denorm_mode_32 3
		.amdhsa_float_denorm_mode_16_64 3
		.amdhsa_dx10_clamp 1
		.amdhsa_ieee_mode 1
		.amdhsa_fp16_overflow 0
		.amdhsa_exception_fp_ieee_invalid_op 0
		.amdhsa_exception_fp_denorm_src 0
		.amdhsa_exception_fp_ieee_div_zero 0
		.amdhsa_exception_fp_ieee_overflow 0
		.amdhsa_exception_fp_ieee_underflow 0
		.amdhsa_exception_fp_ieee_inexact 0
		.amdhsa_exception_int_div_zero 0
	.end_amdhsa_kernel
	.section	.text._ZL13mul_mat_vec_qIL9ggml_type10ELi1ELb1ELb1EEvPKvS2_PKi31ggml_cuda_mm_fusion_args_devicePfj15HIP_vector_typeIjLj3EEjjjS8_jjjS8_jjjj,"axG",@progbits,_ZL13mul_mat_vec_qIL9ggml_type10ELi1ELb1ELb1EEvPKvS2_PKi31ggml_cuda_mm_fusion_args_devicePfj15HIP_vector_typeIjLj3EEjjjS8_jjjS8_jjjj,comdat
.Lfunc_end97:
	.size	_ZL13mul_mat_vec_qIL9ggml_type10ELi1ELb1ELb1EEvPKvS2_PKi31ggml_cuda_mm_fusion_args_devicePfj15HIP_vector_typeIjLj3EEjjjS8_jjjS8_jjjj, .Lfunc_end97-_ZL13mul_mat_vec_qIL9ggml_type10ELi1ELb1ELb1EEvPKvS2_PKi31ggml_cuda_mm_fusion_args_devicePfj15HIP_vector_typeIjLj3EEjjjS8_jjjS8_jjjj
                                        ; -- End function
	.set _ZL13mul_mat_vec_qIL9ggml_type10ELi1ELb1ELb1EEvPKvS2_PKi31ggml_cuda_mm_fusion_args_devicePfj15HIP_vector_typeIjLj3EEjjjS8_jjjS8_jjjj.num_vgpr, 47
	.set _ZL13mul_mat_vec_qIL9ggml_type10ELi1ELb1ELb1EEvPKvS2_PKi31ggml_cuda_mm_fusion_args_devicePfj15HIP_vector_typeIjLj3EEjjjS8_jjjS8_jjjj.num_agpr, 0
	.set _ZL13mul_mat_vec_qIL9ggml_type10ELi1ELb1ELb1EEvPKvS2_PKi31ggml_cuda_mm_fusion_args_devicePfj15HIP_vector_typeIjLj3EEjjjS8_jjjS8_jjjj.numbered_sgpr, 44
	.set _ZL13mul_mat_vec_qIL9ggml_type10ELi1ELb1ELb1EEvPKvS2_PKi31ggml_cuda_mm_fusion_args_devicePfj15HIP_vector_typeIjLj3EEjjjS8_jjjS8_jjjj.num_named_barrier, 0
	.set _ZL13mul_mat_vec_qIL9ggml_type10ELi1ELb1ELb1EEvPKvS2_PKi31ggml_cuda_mm_fusion_args_devicePfj15HIP_vector_typeIjLj3EEjjjS8_jjjS8_jjjj.private_seg_size, 0
	.set _ZL13mul_mat_vec_qIL9ggml_type10ELi1ELb1ELb1EEvPKvS2_PKi31ggml_cuda_mm_fusion_args_devicePfj15HIP_vector_typeIjLj3EEjjjS8_jjjS8_jjjj.uses_vcc, 1
	.set _ZL13mul_mat_vec_qIL9ggml_type10ELi1ELb1ELb1EEvPKvS2_PKi31ggml_cuda_mm_fusion_args_devicePfj15HIP_vector_typeIjLj3EEjjjS8_jjjS8_jjjj.uses_flat_scratch, 0
	.set _ZL13mul_mat_vec_qIL9ggml_type10ELi1ELb1ELb1EEvPKvS2_PKi31ggml_cuda_mm_fusion_args_devicePfj15HIP_vector_typeIjLj3EEjjjS8_jjjS8_jjjj.has_dyn_sized_stack, 0
	.set _ZL13mul_mat_vec_qIL9ggml_type10ELi1ELb1ELb1EEvPKvS2_PKi31ggml_cuda_mm_fusion_args_devicePfj15HIP_vector_typeIjLj3EEjjjS8_jjjS8_jjjj.has_recursion, 0
	.set _ZL13mul_mat_vec_qIL9ggml_type10ELi1ELb1ELb1EEvPKvS2_PKi31ggml_cuda_mm_fusion_args_devicePfj15HIP_vector_typeIjLj3EEjjjS8_jjjS8_jjjj.has_indirect_call, 0
	.section	.AMDGPU.csdata,"",@progbits
; Kernel info:
; codeLenInByte = 4268
; TotalNumSgprs: 48
; NumVgprs: 47
; ScratchSize: 0
; MemoryBound: 0
; FloatMode: 240
; IeeeMode: 1
; LDSByteSize: 1024 bytes/workgroup (compile time only)
; SGPRBlocks: 5
; VGPRBlocks: 11
; NumSGPRsForWavesPerEU: 48
; NumVGPRsForWavesPerEU: 47
; Occupancy: 5
; WaveLimiterHint : 0
; COMPUTE_PGM_RSRC2:SCRATCH_EN: 0
; COMPUTE_PGM_RSRC2:USER_SGPR: 6
; COMPUTE_PGM_RSRC2:TRAP_HANDLER: 0
; COMPUTE_PGM_RSRC2:TGID_X_EN: 1
; COMPUTE_PGM_RSRC2:TGID_Y_EN: 1
; COMPUTE_PGM_RSRC2:TGID_Z_EN: 1
; COMPUTE_PGM_RSRC2:TIDIG_COMP_CNT: 1
	.section	.text._ZL13mul_mat_vec_qIL9ggml_type10ELi1ELb0ELb1EEvPKvS2_PKi31ggml_cuda_mm_fusion_args_devicePfj15HIP_vector_typeIjLj3EEjjjS8_jjjS8_jjjj,"axG",@progbits,_ZL13mul_mat_vec_qIL9ggml_type10ELi1ELb0ELb1EEvPKvS2_PKi31ggml_cuda_mm_fusion_args_devicePfj15HIP_vector_typeIjLj3EEjjjS8_jjjS8_jjjj,comdat
	.globl	_ZL13mul_mat_vec_qIL9ggml_type10ELi1ELb0ELb1EEvPKvS2_PKi31ggml_cuda_mm_fusion_args_devicePfj15HIP_vector_typeIjLj3EEjjjS8_jjjS8_jjjj ; -- Begin function _ZL13mul_mat_vec_qIL9ggml_type10ELi1ELb0ELb1EEvPKvS2_PKi31ggml_cuda_mm_fusion_args_devicePfj15HIP_vector_typeIjLj3EEjjjS8_jjjS8_jjjj
	.p2align	8
	.type	_ZL13mul_mat_vec_qIL9ggml_type10ELi1ELb0ELb1EEvPKvS2_PKi31ggml_cuda_mm_fusion_args_devicePfj15HIP_vector_typeIjLj3EEjjjS8_jjjS8_jjjj,@function
_ZL13mul_mat_vec_qIL9ggml_type10ELi1ELb0ELb1EEvPKvS2_PKi31ggml_cuda_mm_fusion_args_devicePfj15HIP_vector_typeIjLj3EEjjjS8_jjjS8_jjjj: ; @_ZL13mul_mat_vec_qIL9ggml_type10ELi1ELb0ELb1EEvPKvS2_PKi31ggml_cuda_mm_fusion_args_devicePfj15HIP_vector_typeIjLj3EEjjjS8_jjjS8_jjjj
; %bb.0:
	s_load_dwordx2 s[0:1], s[4:5], 0x10
	s_load_dwordx4 s[16:19], s[4:5], 0x40
	s_mov_b32 s10, s7
	s_mov_b64 s[14:15], 0
	s_waitcnt lgkmcnt(0)
	s_cmp_lg_u64 s[0:1], 0
	s_cselect_b64 s[12:13], -1, 0
	s_cmp_eq_u64 s[0:1], 0
	s_cbranch_scc1 .LBB98_5
; %bb.1:
	s_mov_b32 s11, 0
	s_lshl_b64 s[2:3], s[10:11], 2
	s_add_u32 s0, s0, s2
	s_addc_u32 s1, s1, s3
	s_load_dword s21, s[0:1], 0x0
	s_nop 0
	s_load_dwordx4 s[0:3], s[4:5], 0x68
	s_load_dword s20, s[4:5], 0x50
	s_andn2_b64 vcc, exec, s[14:15]
	s_cbranch_vccnz .LBB98_3
.LBB98_2:
	s_load_dwordx2 s[14:15], s[4:5], 0x5c
	s_waitcnt lgkmcnt(0)
	s_mul_hi_u32 s7, s14, s10
	s_add_i32 s7, s10, s7
	s_lshr_b32 s21, s7, s15
.LBB98_3:
	s_load_dword s22, s[4:5], 0x78
	s_andn2_b64 vcc, exec, s[12:13]
	s_cbranch_vccnz .LBB98_6
; %bb.4:
	s_mul_hi_u32 s7, s17, s10
	s_add_i32 s7, s10, s7
	s_lshr_b32 s7, s7, s18
	s_mul_i32 s7, s7, s19
	s_sub_i32 s23, s10, s7
	s_branch .LBB98_7
.LBB98_5:
                                        ; implicit-def: $sgpr21
	s_load_dwordx4 s[0:3], s[4:5], 0x68
	s_load_dword s20, s[4:5], 0x50
	s_branch .LBB98_2
.LBB98_6:
	s_mov_b32 s23, s10
.LBB98_7:
	s_load_dwordx4 s[12:15], s[4:5], 0x80
	v_lshl_add_u32 v2, v1, 6, v0
	s_lshr_b32 s11, s16, 8
	v_lshrrev_b32_e32 v8, 4, v2
	s_lshl_b32 s9, s6, 1
	v_cmp_gt_u32_e32 vcc, s11, v8
	v_mov_b32_e32 v7, 0
	v_mov_b32_e32 v6, 0
	s_and_saveexec_b64 s[6:7], vcc
	s_cbranch_execz .LBB98_11
; %bb.8:
	s_waitcnt lgkmcnt(0)
	s_mul_hi_u32 s3, s3, s8
	s_add_i32 s3, s8, s3
	s_lshr_b32 s3, s3, s22
	s_mul_i32 s0, s21, s0
	s_mul_i32 s3, s3, s12
	s_load_dwordx4 s[16:19], s[4:5], 0x0
	s_add_i32 s12, s0, s3
	v_bfe_u32 v4, v0, 2, 1
	s_mul_i32 s0, s9, s20
	v_and_b32_e32 v3, 7, v0
	v_and_or_b32 v9, v0, 8, v4
	s_add_i32 s3, s12, s0
	s_add_i32 s0, s9, 1
	v_lshrrev_b32_e32 v4, 4, v2
	v_bfe_u32 v2, v0, 3, 1
	s_mul_i32 s20, s20, s0
	v_lshlrev_b32_e32 v10, 2, v3
	v_mul_hi_u32_u24_e32 v3, 0x90, v2
	v_mul_u32_u24_e32 v2, 0x90, v2
	s_movk_i32 s0, 0x120
	s_mul_i32 s13, s13, s8
	s_mul_i32 s15, s23, s1
	v_mad_u64_u32 v[2:3], s[0:1], v4, s0, v[2:3]
	s_add_i32 s12, s12, s20
	s_mul_hi_u32 s1, s13, 36
	s_mul_i32 s13, s13, 36
	s_waitcnt lgkmcnt(0)
	s_add_u32 s13, s18, s13
	s_mul_hi_u32 s0, s15, 36
	s_mul_i32 s15, s15, 36
	s_addc_u32 s1, s19, s1
	s_add_u32 s13, s13, s15
	s_addc_u32 s0, s1, s0
	v_mov_b32_e32 v4, s0
	v_add_co_u32_e32 v2, vcc, s13, v2
	v_and_b32_e32 v7, 15, v0
	v_addc_co_u32_e32 v3, vcc, v4, v3, vcc
	v_mov_b32_e32 v4, s16
	v_mov_b32_e32 v6, 0
	s_mov_b64 s[0:1], 0
	s_movk_i32 s13, 0x54
	v_mov_b32_e32 v5, s17
	v_lshlrev_b32_e32 v11, 2, v7
	s_mov_b32 s15, 0x1010101
	v_mov_b32_e32 v7, 0
.LBB98_9:                               ; =>This Inner Loop Header: Depth=1
	v_add_co_u32_e32 v14, vcc, v2, v10
	v_addc_co_u32_e32 v15, vcc, 0, v3, vcc
	global_load_dword v18, v[14:15], off offset:4
	global_load_dword v19, v[2:3], off
	global_load_dword v20, v[14:15], off offset:40
	global_load_dword v21, v[2:3], off offset:36
	;; [unrolled: 1-line block ×6, first 2 shown]
	v_add_u32_e32 v14, s3, v8
	v_mad_i64_i32 v[14:15], s[16:17], v14, s13, v[4:5]
	v_add_co_u32_e32 v16, vcc, v14, v11
	v_addc_co_u32_e32 v17, vcc, 0, v15, vcc
	global_load_dword v24, v[16:17], off offset:16
	v_add_co_u32_e32 v16, vcc, v14, v9
	v_addc_co_u32_e32 v17, vcc, 0, v15, vcc
	global_load_dword v25, v[14:15], off offset:80
	global_load_ubyte v26, v[16:17], off
	s_waitcnt vmcnt(2)
	v_and_b32_e32 v14, 0x3030303, v24
	v_dot4_i32_i8 v14, v14, v18, 0
	v_lshrrev_b32_e32 v27, 2, v24
	v_and_b32_e32 v27, 0x3030303, v27
	v_dot4_i32_i8 v27, v27, v20, 0
	s_waitcnt vmcnt(0)
	v_and_b32_e32 v15, 15, v26
	v_mul_lo_u32 v14, v15, v14
	v_lshrrev_b32_e32 v15, 4, v26
	global_load_ubyte v26, v[16:17], off offset:2
	v_mul_lo_u32 v15, v15, s15
	v_cvt_f32_i32_e32 v14, v14
	v_dot4_i32_i8 v15, v15, v18, 0
	v_cvt_f32_i32_e32 v15, v15
	v_fma_mix_f32 v14, v19, v14, 0 op_sel_hi:[1,0,0]
	v_fma_mix_f32 v15, v19, v15, 0 op_sel_hi:[1,0,0]
	s_waitcnt vmcnt(0)
	v_and_b32_e32 v28, 15, v26
	v_lshrrev_b32_e32 v26, 4, v26
	v_mul_lo_u32 v26, v26, s15
	v_mul_lo_u32 v27, v28, v27
	v_dot4_i32_i8 v26, v26, v20, 0
	v_cvt_f32_i32_e32 v26, v26
	v_cvt_f32_i32_e32 v27, v27
	v_fma_mix_f32 v15, v21, v26, v15 op_sel_hi:[1,0,0]
	global_load_ubyte v26, v[16:17], off offset:4
	v_fma_mix_f32 v14, v21, v27, v14 op_sel_hi:[1,0,0]
	global_load_ubyte v16, v[16:17], off offset:6
	v_lshrrev_b32_e32 v27, 4, v24
	v_lshrrev_b32_e32 v17, 6, v24
	v_and_b32_e32 v27, 0x3030303, v27
	v_dot4_i32_i8 v27, v27, v22, 0
	v_and_b32_e32 v17, 0x3030303, v17
	v_dot4_i32_i8 v17, v17, v13, 0
	s_waitcnt vmcnt(1)
	v_and_b32_e32 v28, 15, v26
	v_lshrrev_b32_e32 v26, 4, v26
	v_mul_lo_u32 v26, v26, s15
	s_waitcnt vmcnt(0)
	v_and_b32_e32 v24, 15, v16
	v_lshrrev_b32_e32 v16, 4, v16
	v_mul_lo_u32 v16, v16, s15
	v_dot4_i32_i8 v26, v26, v22, 0
	v_mul_lo_u32 v27, v28, v27
	v_cvt_f32_i32_e32 v26, v26
	v_dot4_i32_i8 v16, v16, v13, 0
	v_mul_lo_u32 v17, v24, v17
	v_cvt_f32_i32_e32 v16, v16
	v_cvt_f32_i32_e32 v27, v27
	v_fma_mix_f32 v15, v23, v26, v15 op_sel_hi:[1,0,0]
	v_cvt_f32_i32_e32 v17, v17
	v_fma_mix_f32 v15, v12, v16, v15 op_sel_hi:[1,0,0]
	v_cvt_f32_f16_sdwa v16, v25 dst_sel:DWORD dst_unused:UNUSED_PAD src0_sel:WORD_1
	v_fma_mix_f32 v14, v23, v27, v14 op_sel_hi:[1,0,0]
	v_fma_mix_f32 v14, v12, v17, v14 op_sel_hi:[1,0,0]
	v_mul_f32_e32 v15, v15, v16
	v_fma_mix_f32 v14, v14, v25, -v15 op_sel_hi:[0,1,0]
	v_add_f32_e32 v6, v6, v14
	v_add_u32_e32 v14, s12, v8
	v_mad_i64_i32 v[14:15], s[16:17], v14, s13, v[4:5]
	v_add_u32_e32 v8, 8, v8
	v_add_co_u32_e32 v16, vcc, v14, v11
	v_addc_co_u32_e32 v17, vcc, 0, v15, vcc
	global_load_dword v24, v[16:17], off offset:16
	v_add_co_u32_e32 v16, vcc, v14, v9
	v_addc_co_u32_e32 v17, vcc, 0, v15, vcc
	global_load_dword v25, v[14:15], off offset:80
	global_load_ubyte v26, v[16:17], off
	v_add_co_u32_e32 v2, vcc, 0x900, v2
	v_addc_co_u32_e32 v3, vcc, 0, v3, vcc
	v_cmp_le_u32_e32 vcc, s11, v8
	s_or_b64 s[0:1], vcc, s[0:1]
	s_waitcnt vmcnt(2)
	v_and_b32_e32 v14, 0x3030303, v24
	v_dot4_i32_i8 v14, v14, v18, 0
	s_waitcnt vmcnt(0)
	v_and_b32_e32 v15, 15, v26
	v_mul_lo_u32 v14, v15, v14
	v_lshrrev_b32_e32 v15, 4, v26
	v_mul_lo_u32 v15, v15, s15
	v_cvt_f32_i32_e32 v14, v14
	v_dot4_i32_i8 v15, v15, v18, 0
	global_load_ubyte v18, v[16:17], off offset:2
	v_cvt_f32_i32_e32 v15, v15
	v_fma_mix_f32 v14, v19, v14, 0 op_sel_hi:[1,0,0]
	v_fma_mix_f32 v15, v19, v15, 0 op_sel_hi:[1,0,0]
	v_lshrrev_b32_e32 v19, 2, v24
	v_and_b32_e32 v19, 0x3030303, v19
	v_dot4_i32_i8 v19, v19, v20, 0
	s_waitcnt vmcnt(0)
	v_and_b32_e32 v26, 15, v18
	v_lshrrev_b32_e32 v18, 4, v18
	v_mul_lo_u32 v18, v18, s15
	v_mul_lo_u32 v19, v26, v19
	v_dot4_i32_i8 v18, v18, v20, 0
	v_cvt_f32_i32_e32 v18, v18
	v_cvt_f32_i32_e32 v19, v19
	v_fma_mix_f32 v15, v21, v18, v15 op_sel_hi:[1,0,0]
	global_load_ubyte v18, v[16:17], off offset:4
	v_fma_mix_f32 v14, v21, v19, v14 op_sel_hi:[1,0,0]
	global_load_ubyte v16, v[16:17], off offset:6
	v_lshrrev_b32_e32 v19, 4, v24
	v_and_b32_e32 v19, 0x3030303, v19
	v_lshrrev_b32_e32 v17, 6, v24
	v_dot4_i32_i8 v19, v19, v22, 0
	v_and_b32_e32 v17, 0x3030303, v17
	v_dot4_i32_i8 v17, v17, v13, 0
	s_waitcnt vmcnt(1)
	v_and_b32_e32 v20, 15, v18
	v_lshrrev_b32_e32 v18, 4, v18
	v_mul_lo_u32 v18, v18, s15
	v_mul_lo_u32 v19, v20, v19
	v_dot4_i32_i8 v18, v18, v22, 0
	v_cvt_f32_i32_e32 v18, v18
	v_cvt_f32_i32_e32 v19, v19
	v_fma_mix_f32 v15, v23, v18, v15 op_sel_hi:[1,0,0]
	s_waitcnt vmcnt(0)
	v_and_b32_e32 v18, 15, v16
	v_lshrrev_b32_e32 v16, 4, v16
	v_mul_lo_u32 v16, v16, s15
	v_mul_lo_u32 v17, v18, v17
	v_fma_mix_f32 v14, v23, v19, v14 op_sel_hi:[1,0,0]
	v_dot4_i32_i8 v13, v16, v13, 0
	v_cvt_f32_i32_e32 v17, v17
	v_cvt_f32_i32_e32 v13, v13
	v_fma_mix_f32 v14, v12, v17, v14 op_sel_hi:[1,0,0]
	v_fma_mix_f32 v12, v12, v13, v15 op_sel_hi:[1,0,0]
	v_cvt_f32_f16_sdwa v13, v25 dst_sel:DWORD dst_unused:UNUSED_PAD src0_sel:WORD_1
	v_mul_f32_e32 v12, v12, v13
	v_fma_mix_f32 v12, v14, v25, -v12 op_sel_hi:[0,1,0]
	v_add_f32_e32 v7, v7, v12
	s_andn2_b64 exec, exec, s[0:1]
	s_cbranch_execnz .LBB98_9
; %bb.10:
	s_or_b64 exec, exec, s[0:1]
.LBB98_11:
	s_or_b64 exec, exec, s[6:7]
	v_cmp_eq_u32_e32 vcc, 0, v1
	s_waitcnt lgkmcnt(0)
	v_cmp_ne_u32_e64 s[0:1], 0, v1
	v_lshlrev_b32_e32 v2, 2, v0
	s_and_saveexec_b64 s[6:7], s[0:1]
; %bb.12:
	v_lshl_or_b32 v1, v1, 9, v2
	v_add_u32_e32 v1, 0xfffffe00, v1
	ds_write2st64_b32 v1, v6, v7 offset1:1
; %bb.13:
	s_or_b64 exec, exec, s[6:7]
	s_waitcnt lgkmcnt(0)
	s_barrier
	s_and_saveexec_b64 s[0:1], vcc
	s_cbranch_execz .LBB98_16
; %bb.14:
	v_mbcnt_lo_u32_b32 v1, -1, 0
	v_mbcnt_hi_u32_b32 v1, -1, v1
	v_and_b32_e32 v3, 64, v1
	v_add_u32_e32 v5, 64, v3
	v_xor_b32_e32 v3, 32, v1
	v_cmp_lt_i32_e32 vcc, v3, v5
	v_cndmask_b32_e32 v3, v1, v3, vcc
	v_lshlrev_b32_e32 v8, 2, v3
	v_xor_b32_e32 v3, 16, v1
	v_cmp_lt_i32_e32 vcc, v3, v5
	v_cndmask_b32_e32 v3, v1, v3, vcc
	v_lshlrev_b32_e32 v9, 2, v3
	ds_read2st64_b32 v[3:4], v2 offset1:1
	v_xor_b32_e32 v10, 8, v1
	v_cmp_lt_i32_e32 vcc, v10, v5
	v_cndmask_b32_e32 v10, v1, v10, vcc
	v_lshlrev_b32_e32 v10, 2, v10
	s_waitcnt lgkmcnt(0)
	v_add_f32_e32 v3, v6, v3
	v_add_f32_e32 v4, v7, v4
	ds_bpermute_b32 v6, v8, v3
	ds_bpermute_b32 v7, v8, v4
	v_xor_b32_e32 v11, 4, v1
	v_cmp_lt_i32_e32 vcc, v11, v5
	v_cndmask_b32_e32 v8, v1, v11, vcc
	s_waitcnt lgkmcnt(1)
	v_add_f32_e32 v3, v3, v6
	s_waitcnt lgkmcnt(0)
	v_add_f32_e32 v4, v4, v7
	ds_bpermute_b32 v6, v9, v3
	ds_bpermute_b32 v7, v9, v4
	v_lshlrev_b32_e32 v8, 2, v8
	v_xor_b32_e32 v9, 2, v1
	v_cmp_lt_i32_e32 vcc, v9, v5
	s_waitcnt lgkmcnt(1)
	v_add_f32_e32 v3, v3, v6
	s_waitcnt lgkmcnt(0)
	v_add_f32_e32 v4, v4, v7
	ds_bpermute_b32 v6, v10, v3
	ds_bpermute_b32 v7, v10, v4
	v_cndmask_b32_e32 v9, v1, v9, vcc
	s_load_dword s0, s[4:5], 0x58
	s_mov_b32 s3, 0
	s_waitcnt lgkmcnt(0)
	v_add_f32_e32 v3, v3, v6
	v_add_f32_e32 v4, v4, v7
	ds_bpermute_b32 v6, v8, v3
	ds_bpermute_b32 v7, v8, v4
	v_lshlrev_b32_e32 v8, 2, v9
	v_xor_b32_e32 v9, 1, v1
	v_cmp_lt_i32_e32 vcc, v9, v5
	s_waitcnt lgkmcnt(1)
	v_add_f32_e32 v3, v3, v6
	s_waitcnt lgkmcnt(0)
	v_add_f32_e32 v4, v4, v7
	ds_bpermute_b32 v6, v8, v3
	ds_bpermute_b32 v7, v8, v4
	v_cndmask_b32_e32 v1, v1, v9, vcc
	v_lshlrev_b32_e32 v5, 2, v1
	s_waitcnt lgkmcnt(1)
	v_add_f32_e32 v1, v3, v6
	s_waitcnt lgkmcnt(0)
	v_add_f32_e32 v4, v4, v7
	ds_bpermute_b32 v3, v5, v1
	ds_bpermute_b32 v5, v5, v4
	v_or_b32_e32 v6, s9, v0
	v_cmp_gt_u32_e32 vcc, s0, v6
	v_cmp_gt_u32_e64 s[0:1], 2, v0
	s_and_b64 s[0:1], s[0:1], vcc
	s_and_b64 exec, exec, s[0:1]
	s_cbranch_execz .LBB98_16
; %bb.15:
	s_load_dwordx2 s[0:1], s[4:5], 0x38
	s_mul_i32 s2, s2, s10
	s_add_i32 s2, s2, s9
	s_mul_i32 s4, s14, s8
	s_add_i32 s2, s2, s4
	s_lshl_b64 s[2:3], s[2:3], 2
	s_waitcnt lgkmcnt(0)
	s_add_u32 s0, s0, s2
	v_add_f32_e32 v4, v4, v5
	v_add_f32_e32 v1, v1, v3
	v_cmp_eq_u32_e32 vcc, 1, v0
	s_addc_u32 s1, s1, s3
	v_cndmask_b32_e32 v0, v1, v4, vcc
	global_store_dword v2, v0, s[0:1]
.LBB98_16:
	s_endpgm
	.section	.rodata,"a",@progbits
	.p2align	6, 0x0
	.amdhsa_kernel _ZL13mul_mat_vec_qIL9ggml_type10ELi1ELb0ELb1EEvPKvS2_PKi31ggml_cuda_mm_fusion_args_devicePfj15HIP_vector_typeIjLj3EEjjjS8_jjjS8_jjjj
		.amdhsa_group_segment_fixed_size 512
		.amdhsa_private_segment_fixed_size 0
		.amdhsa_kernarg_size 144
		.amdhsa_user_sgpr_count 6
		.amdhsa_user_sgpr_private_segment_buffer 1
		.amdhsa_user_sgpr_dispatch_ptr 0
		.amdhsa_user_sgpr_queue_ptr 0
		.amdhsa_user_sgpr_kernarg_segment_ptr 1
		.amdhsa_user_sgpr_dispatch_id 0
		.amdhsa_user_sgpr_flat_scratch_init 0
		.amdhsa_user_sgpr_private_segment_size 0
		.amdhsa_uses_dynamic_stack 0
		.amdhsa_system_sgpr_private_segment_wavefront_offset 0
		.amdhsa_system_sgpr_workgroup_id_x 1
		.amdhsa_system_sgpr_workgroup_id_y 1
		.amdhsa_system_sgpr_workgroup_id_z 1
		.amdhsa_system_sgpr_workgroup_info 0
		.amdhsa_system_vgpr_workitem_id 1
		.amdhsa_next_free_vgpr 29
		.amdhsa_next_free_sgpr 24
		.amdhsa_reserve_vcc 1
		.amdhsa_reserve_flat_scratch 0
		.amdhsa_float_round_mode_32 0
		.amdhsa_float_round_mode_16_64 0
		.amdhsa_float_denorm_mode_32 3
		.amdhsa_float_denorm_mode_16_64 3
		.amdhsa_dx10_clamp 1
		.amdhsa_ieee_mode 1
		.amdhsa_fp16_overflow 0
		.amdhsa_exception_fp_ieee_invalid_op 0
		.amdhsa_exception_fp_denorm_src 0
		.amdhsa_exception_fp_ieee_div_zero 0
		.amdhsa_exception_fp_ieee_overflow 0
		.amdhsa_exception_fp_ieee_underflow 0
		.amdhsa_exception_fp_ieee_inexact 0
		.amdhsa_exception_int_div_zero 0
	.end_amdhsa_kernel
	.section	.text._ZL13mul_mat_vec_qIL9ggml_type10ELi1ELb0ELb1EEvPKvS2_PKi31ggml_cuda_mm_fusion_args_devicePfj15HIP_vector_typeIjLj3EEjjjS8_jjjS8_jjjj,"axG",@progbits,_ZL13mul_mat_vec_qIL9ggml_type10ELi1ELb0ELb1EEvPKvS2_PKi31ggml_cuda_mm_fusion_args_devicePfj15HIP_vector_typeIjLj3EEjjjS8_jjjS8_jjjj,comdat
.Lfunc_end98:
	.size	_ZL13mul_mat_vec_qIL9ggml_type10ELi1ELb0ELb1EEvPKvS2_PKi31ggml_cuda_mm_fusion_args_devicePfj15HIP_vector_typeIjLj3EEjjjS8_jjjS8_jjjj, .Lfunc_end98-_ZL13mul_mat_vec_qIL9ggml_type10ELi1ELb0ELb1EEvPKvS2_PKi31ggml_cuda_mm_fusion_args_devicePfj15HIP_vector_typeIjLj3EEjjjS8_jjjS8_jjjj
                                        ; -- End function
	.set _ZL13mul_mat_vec_qIL9ggml_type10ELi1ELb0ELb1EEvPKvS2_PKi31ggml_cuda_mm_fusion_args_devicePfj15HIP_vector_typeIjLj3EEjjjS8_jjjS8_jjjj.num_vgpr, 29
	.set _ZL13mul_mat_vec_qIL9ggml_type10ELi1ELb0ELb1EEvPKvS2_PKi31ggml_cuda_mm_fusion_args_devicePfj15HIP_vector_typeIjLj3EEjjjS8_jjjS8_jjjj.num_agpr, 0
	.set _ZL13mul_mat_vec_qIL9ggml_type10ELi1ELb0ELb1EEvPKvS2_PKi31ggml_cuda_mm_fusion_args_devicePfj15HIP_vector_typeIjLj3EEjjjS8_jjjS8_jjjj.numbered_sgpr, 24
	.set _ZL13mul_mat_vec_qIL9ggml_type10ELi1ELb0ELb1EEvPKvS2_PKi31ggml_cuda_mm_fusion_args_devicePfj15HIP_vector_typeIjLj3EEjjjS8_jjjS8_jjjj.num_named_barrier, 0
	.set _ZL13mul_mat_vec_qIL9ggml_type10ELi1ELb0ELb1EEvPKvS2_PKi31ggml_cuda_mm_fusion_args_devicePfj15HIP_vector_typeIjLj3EEjjjS8_jjjS8_jjjj.private_seg_size, 0
	.set _ZL13mul_mat_vec_qIL9ggml_type10ELi1ELb0ELb1EEvPKvS2_PKi31ggml_cuda_mm_fusion_args_devicePfj15HIP_vector_typeIjLj3EEjjjS8_jjjS8_jjjj.uses_vcc, 1
	.set _ZL13mul_mat_vec_qIL9ggml_type10ELi1ELb0ELb1EEvPKvS2_PKi31ggml_cuda_mm_fusion_args_devicePfj15HIP_vector_typeIjLj3EEjjjS8_jjjS8_jjjj.uses_flat_scratch, 0
	.set _ZL13mul_mat_vec_qIL9ggml_type10ELi1ELb0ELb1EEvPKvS2_PKi31ggml_cuda_mm_fusion_args_devicePfj15HIP_vector_typeIjLj3EEjjjS8_jjjS8_jjjj.has_dyn_sized_stack, 0
	.set _ZL13mul_mat_vec_qIL9ggml_type10ELi1ELb0ELb1EEvPKvS2_PKi31ggml_cuda_mm_fusion_args_devicePfj15HIP_vector_typeIjLj3EEjjjS8_jjjS8_jjjj.has_recursion, 0
	.set _ZL13mul_mat_vec_qIL9ggml_type10ELi1ELb0ELb1EEvPKvS2_PKi31ggml_cuda_mm_fusion_args_devicePfj15HIP_vector_typeIjLj3EEjjjS8_jjjS8_jjjj.has_indirect_call, 0
	.section	.AMDGPU.csdata,"",@progbits
; Kernel info:
; codeLenInByte = 1888
; TotalNumSgprs: 28
; NumVgprs: 29
; ScratchSize: 0
; MemoryBound: 0
; FloatMode: 240
; IeeeMode: 1
; LDSByteSize: 512 bytes/workgroup (compile time only)
; SGPRBlocks: 3
; VGPRBlocks: 7
; NumSGPRsForWavesPerEU: 28
; NumVGPRsForWavesPerEU: 29
; Occupancy: 8
; WaveLimiterHint : 0
; COMPUTE_PGM_RSRC2:SCRATCH_EN: 0
; COMPUTE_PGM_RSRC2:USER_SGPR: 6
; COMPUTE_PGM_RSRC2:TRAP_HANDLER: 0
; COMPUTE_PGM_RSRC2:TGID_X_EN: 1
; COMPUTE_PGM_RSRC2:TGID_Y_EN: 1
; COMPUTE_PGM_RSRC2:TGID_Z_EN: 1
; COMPUTE_PGM_RSRC2:TIDIG_COMP_CNT: 1
	.section	.text._ZL13mul_mat_vec_qIL9ggml_type10ELi1ELb1ELb0EEvPKvS2_PKi31ggml_cuda_mm_fusion_args_devicePfj15HIP_vector_typeIjLj3EEjjjS8_jjjS8_jjjj,"axG",@progbits,_ZL13mul_mat_vec_qIL9ggml_type10ELi1ELb1ELb0EEvPKvS2_PKi31ggml_cuda_mm_fusion_args_devicePfj15HIP_vector_typeIjLj3EEjjjS8_jjjS8_jjjj,comdat
	.globl	_ZL13mul_mat_vec_qIL9ggml_type10ELi1ELb1ELb0EEvPKvS2_PKi31ggml_cuda_mm_fusion_args_devicePfj15HIP_vector_typeIjLj3EEjjjS8_jjjS8_jjjj ; -- Begin function _ZL13mul_mat_vec_qIL9ggml_type10ELi1ELb1ELb0EEvPKvS2_PKi31ggml_cuda_mm_fusion_args_devicePfj15HIP_vector_typeIjLj3EEjjjS8_jjjS8_jjjj
	.p2align	8
	.type	_ZL13mul_mat_vec_qIL9ggml_type10ELi1ELb1ELb0EEvPKvS2_PKi31ggml_cuda_mm_fusion_args_devicePfj15HIP_vector_typeIjLj3EEjjjS8_jjjS8_jjjj,@function
_ZL13mul_mat_vec_qIL9ggml_type10ELi1ELb1ELb0EEvPKvS2_PKi31ggml_cuda_mm_fusion_args_devicePfj15HIP_vector_typeIjLj3EEjjjS8_jjjS8_jjjj: ; @_ZL13mul_mat_vec_qIL9ggml_type10ELi1ELb1ELb0EEvPKvS2_PKi31ggml_cuda_mm_fusion_args_devicePfj15HIP_vector_typeIjLj3EEjjjS8_jjjS8_jjjj
; %bb.0:
	s_load_dwordx8 s[12:19], s[4:5], 0x0
	s_load_dwordx4 s[28:31], s[4:5], 0x20
	s_load_dwordx4 s[36:39], s[4:5], 0x40
	;; [unrolled: 1-line block ×3, first 2 shown]
	s_mov_b32 s34, s7
	s_waitcnt lgkmcnt(0)
	s_cmp_lg_u64 s[16:17], 0
	s_cselect_b64 s[0:1], -1, 0
	s_cmp_eq_u64 s[16:17], 0
	s_mov_b64 s[2:3], 0
	s_cbranch_scc1 .LBB99_5
; %bb.1:
	s_mov_b32 s35, 0
	s_lshl_b64 s[10:11], s[34:35], 2
	s_add_u32 s10, s16, s10
	s_addc_u32 s11, s17, s11
	s_load_dword s9, s[10:11], 0x0
	s_load_dword s33, s[4:5], 0x50
	;; [unrolled: 1-line block ×3, first 2 shown]
	s_andn2_b64 vcc, exec, s[2:3]
	s_cbranch_vccnz .LBB99_3
.LBB99_2:
	s_load_dwordx2 s[2:3], s[4:5], 0x5c
	s_waitcnt lgkmcnt(0)
	s_mul_hi_u32 s2, s2, s34
	s_add_i32 s2, s34, s2
	s_lshr_b32 s9, s2, s3
.LBB99_3:
	s_andn2_b64 vcc, exec, s[0:1]
	s_cbranch_vccnz .LBB99_6
; %bb.4:
	s_mul_hi_u32 s0, s37, s34
	s_add_i32 s0, s34, s0
	s_lshr_b32 s0, s0, s38
	s_mul_i32 s0, s0, s39
	s_sub_i32 s37, s34, s0
	s_waitcnt lgkmcnt(0)
	s_mov_b32 s2, s9
	s_branch .LBB99_7
.LBB99_5:
                                        ; implicit-def: $sgpr9
	s_load_dword s33, s[4:5], 0x50
	s_load_dword s35, s[4:5], 0x78
	s_branch .LBB99_2
.LBB99_6:
	s_mov_b32 s2, s34
	s_mov_b32 s37, s34
.LBB99_7:
	s_load_dwordx4 s[24:27], s[4:5], 0x80
	s_cmp_lg_u64 s[18:19], 0
	v_or_b32_e32 v2, v0, v1
	s_cselect_b64 s[0:1], -1, 0
	v_cmp_eq_u32_e32 vcc, 0, v2
	s_mov_b32 s17, 0
	s_and_b64 s[38:39], s[0:1], vcc
	v_mov_b32_e32 v7, 0
	s_mul_i32 s10, s2, s22
	v_lshlrev_b32_e32 v6, 2, v0
	v_mov_b32_e32 v8, 0
	s_and_saveexec_b64 s[2:3], s[38:39]
	s_cbranch_execz .LBB99_9
; %bb.8:
	s_waitcnt lgkmcnt(0)
	s_mul_i32 s16, s26, s8
	s_lshl_b64 s[38:39], s[16:17], 2
	s_add_u32 s7, s18, s38
	s_mov_b32 s11, s17
	s_addc_u32 s18, s19, s39
	s_lshl_b64 s[16:17], s[10:11], 2
	s_add_u32 s11, s7, s16
	s_addc_u32 s18, s18, s17
	s_ashr_i32 s7, s6, 31
	s_lshl_b64 s[16:17], s[6:7], 2
	s_add_u32 s16, s11, s16
	s_addc_u32 s17, s18, s17
	global_load_dword v8, v6, s[16:17]
.LBB99_9:
	s_or_b64 exec, exec, s[2:3]
	s_cmp_lg_u64 s[28:29], 0
	s_cselect_b64 s[16:17], -1, 0
	s_cmp_lg_u64 s[30:31], 0
	s_cselect_b64 s[2:3], -1, 0
	s_and_b64 s[18:19], s[2:3], s[16:17]
	s_and_b64 s[38:39], s[18:19], vcc
	s_and_saveexec_b64 s[18:19], s[38:39]
	s_cbranch_execz .LBB99_11
; %bb.10:
	s_waitcnt lgkmcnt(0)
	s_mul_i32 s38, s26, s8
	s_mov_b32 s39, 0
	s_lshl_b64 s[40:41], s[38:39], 2
	s_add_u32 s7, s30, s40
	s_mov_b32 s11, s39
	s_addc_u32 s27, s31, s41
	s_lshl_b64 s[10:11], s[10:11], 2
	s_add_u32 s30, s7, s10
	s_addc_u32 s27, s27, s11
	s_ashr_i32 s7, s6, 31
	s_lshl_b64 s[10:11], s[6:7], 2
	s_add_u32 s10, s30, s10
	s_addc_u32 s11, s27, s11
	global_load_dword v7, v6, s[10:11]
.LBB99_11:
	s_or_b64 exec, exec, s[18:19]
	v_lshl_add_u32 v2, v1, 6, v0
	s_lshr_b32 s7, s36, 8
	v_lshrrev_b32_e32 v12, 4, v2
	v_cmp_gt_u32_e32 vcc, s7, v12
	v_mov_b32_e32 v10, 0
	v_cndmask_b32_e64 v11, 0, 1, s[16:17]
	v_mov_b32_e32 v9, 0
	s_and_saveexec_b64 s[18:19], vcc
	s_cbranch_execz .LBB99_17
; %bb.12:
	s_mul_hi_u32 s10, s23, s8
	s_add_i32 s10, s8, s10
	s_waitcnt lgkmcnt(0)
	s_lshr_b32 s10, s10, s35
	s_mul_i32 s33, s33, s6
	s_mul_i32 s10, s10, s24
	v_bfe_u32 v4, v0, 2, 1
	s_mul_i32 s9, s9, s20
	s_add_i32 s10, s10, s33
	v_and_b32_e32 v3, 7, v0
	v_and_or_b32 v13, v0, 8, v4
	v_lshrrev_b32_e32 v4, 4, v2
	v_bfe_u32 v2, v0, 3, 1
	s_add_i32 s9, s9, s10
	v_lshlrev_b32_e32 v14, 2, v3
	v_mul_hi_u32_u24_e32 v3, 0x90, v2
	v_mul_u32_u24_e32 v2, 0x90, v2
	s_movk_i32 s10, 0x120
	s_mul_i32 s20, s25, s8
	v_mad_u64_u32 v[2:3], s[10:11], v4, s10, v[2:3]
	s_mul_hi_u32 s11, s20, 36
	s_mul_i32 s20, s20, 36
	s_mul_i32 s21, s37, s21
	s_add_u32 s14, s14, s20
	s_mul_hi_u32 s10, s21, 36
	s_mul_i32 s21, s21, 36
	s_addc_u32 s11, s15, s11
	s_add_u32 s14, s14, s21
	s_addc_u32 s10, s11, s10
	v_mov_b32_e32 v4, s10
	v_add_co_u32_e32 v2, vcc, s14, v2
	v_and_b32_e32 v9, 15, v0
	v_addc_co_u32_e32 v3, vcc, v4, v3, vcc
	v_mov_b32_e32 v4, s12
	v_mov_b32_e32 v10, 0
	s_mov_b64 s[14:15], 0
	s_movk_i32 s20, 0x54
	v_mov_b32_e32 v5, s13
	v_lshlrev_b32_e32 v15, 2, v9
	s_mov_b32 s21, 0x1010101
	v_cmp_ne_u32_e64 s[10:11], 1, v11
	v_mov_b32_e32 v9, 0
	s_branch .LBB99_14
.LBB99_13:                              ;   in Loop: Header=BB99_14 Depth=1
	v_and_b32_e32 v30, 0x3030303, v19
	v_dot4_i32_i8 v30, v30, v25, 0
	s_waitcnt vmcnt(3)
	v_and_b32_e32 v31, 15, v29
	v_mul_lo_u32 v30, v31, v30
	v_bfe_u32 v29, v29, 4, 4
	v_mul_lo_u32 v29, v29, s21
	v_lshrrev_b32_e32 v31, 2, v19
	v_cvt_f32_i32_e32 v30, v30
	s_waitcnt vmcnt(1)
	v_and_b32_e32 v32, 15, v24
	v_dot4_i32_i8 v25, v29, v25, 0
	v_cvt_f32_i32_e32 v25, v25
	v_fma_f32 v29, v27, v30, 0
	v_and_b32_e32 v30, 0x3030303, v31
	v_and_b32_e32 v31, 15, v28
	v_bfe_u32 v28, v28, 4, 4
	v_mul_lo_u32 v28, v28, s21
	v_dot4_i32_i8 v30, v30, v20, 0
	v_fma_f32 v25, v27, v25, 0
	v_mul_lo_u32 v30, v31, v30
	v_dot4_i32_i8 v20, v28, v20, 0
	v_cvt_f32_i32_e32 v20, v20
	v_lshrrev_b32_e32 v31, 4, v19
	v_and_b32_e32 v31, 0x3030303, v31
	v_lshrrev_b32_e32 v19, 6, v19
	v_fmac_f32_e32 v25, v26, v20
	v_bfe_u32 v20, v24, 4, 4
	v_mul_lo_u32 v20, v20, s21
	s_waitcnt vmcnt(0)
	v_and_b32_e32 v24, 15, v23
	v_bfe_u32 v23, v23, 4, 4
	v_dot4_i32_i8 v31, v31, v16, 0
	v_and_b32_e32 v19, 0x3030303, v19
	v_mul_lo_u32 v23, v23, s21
	v_mul_lo_u32 v31, v32, v31
	v_dot4_i32_i8 v19, v19, v17, 0
	v_mul_lo_u32 v19, v24, v19
	v_dot4_i32_i8 v16, v20, v16, 0
	v_cvt_f32_i32_e32 v30, v30
	v_cvt_f32_i32_e32 v16, v16
	v_dot4_i32_i8 v17, v23, v17, 0
	v_cvt_f32_i32_e32 v28, v31
	v_cvt_f32_i32_e32 v17, v17
	;; [unrolled: 1-line block ×3, first 2 shown]
	v_cvt_f32_f16_sdwa v20, v18 dst_sel:DWORD dst_unused:UNUSED_PAD src0_sel:WORD_1
	v_fmac_f32_e32 v29, v26, v30
	v_fmac_f32_e32 v25, v22, v16
	v_fmac_f32_e32 v29, v22, v28
	v_fmac_f32_e32 v25, v21, v17
	v_fmac_f32_e32 v29, v21, v19
	v_mul_f32_e32 v16, v25, v20
	v_add_u32_e32 v12, 8, v12
	v_fma_mix_f32 v16, v29, v18, -v16 op_sel_hi:[0,1,0]
	v_add_co_u32_e32 v2, vcc, 0x900, v2
	v_cmp_le_u32_e64 s[12:13], s7, v12
	v_add_f32_e32 v10, v10, v16
	s_or_b64 s[14:15], s[12:13], s[14:15]
	v_addc_co_u32_e32 v3, vcc, 0, v3, vcc
	s_andn2_b64 exec, exec, s[14:15]
	s_cbranch_execz .LBB99_16
.LBB99_14:                              ; =>This Inner Loop Header: Depth=1
	v_add_u32_e32 v30, s9, v12
	v_mad_i64_i32 v[21:22], s[12:13], v30, s20, v[4:5]
	v_add_co_u32_e32 v26, vcc, v21, v15
	v_addc_co_u32_e32 v27, vcc, 0, v22, vcc
	v_add_co_u32_e32 v18, vcc, v2, v14
	v_addc_co_u32_e32 v19, vcc, 0, v3, vcc
	global_load_dword v25, v[18:19], off offset:4
	global_load_dword v20, v[18:19], off offset:40
	;; [unrolled: 1-line block ×4, first 2 shown]
	v_add_co_u32_e32 v31, vcc, v21, v13
	v_addc_co_u32_e32 v32, vcc, 0, v22, vcc
	global_load_dword v19, v[26:27], off offset:16
	global_load_dword v18, v[21:22], off offset:80
	global_load_dword v33, v[2:3], off
	global_load_dword v34, v[2:3], off offset:36
	global_load_dword v35, v[2:3], off offset:72
	;; [unrolled: 1-line block ×3, first 2 shown]
	global_load_ubyte v29, v[31:32], off
	global_load_ubyte v28, v[31:32], off offset:2
	global_load_ubyte v24, v[31:32], off offset:4
	;; [unrolled: 1-line block ×3, first 2 shown]
	s_and_b64 vcc, exec, s[10:11]
	s_waitcnt vmcnt(7)
	v_cvt_f32_f16_e32 v27, v33
	s_waitcnt vmcnt(6)
	v_cvt_f32_f16_e32 v26, v34
	;; [unrolled: 2-line block ×4, first 2 shown]
	s_cbranch_vccnz .LBB99_13
; %bb.15:                               ;   in Loop: Header=BB99_14 Depth=1
	v_mov_b32_e32 v32, s29
	v_mov_b32_e32 v31, s28
	v_mad_i64_i32 v[30:31], s[12:13], v30, s20, v[31:32]
	v_add_co_u32_e32 v32, vcc, v30, v13
	v_addc_co_u32_e32 v33, vcc, 0, v31, vcc
	v_add_co_u32_e32 v34, vcc, v30, v15
	v_addc_co_u32_e32 v35, vcc, 0, v31, vcc
	global_load_dword v36, v[34:35], off offset:16
	global_load_dword v37, v[30:31], off offset:80
	global_load_ubyte v38, v[32:33], off
	s_waitcnt vmcnt(2)
	v_and_b32_e32 v30, 0x3030303, v36
	global_load_ubyte v34, v[32:33], off offset:2
	v_dot4_i32_i8 v30, v30, v25, 0
	s_waitcnt vmcnt(1)
	v_and_b32_e32 v31, 15, v38
	v_mul_lo_u32 v30, v31, v30
	v_lshrrev_b32_e32 v31, 4, v38
	v_mul_lo_u32 v31, v31, s21
	v_lshrrev_b32_e32 v35, 2, v36
	v_and_b32_e32 v35, 0x3030303, v35
	v_dot4_i32_i8 v35, v35, v20, 0
	v_dot4_i32_i8 v31, v31, v25, 0
	v_cvt_f32_i32_e32 v31, v31
	v_cvt_f32_i32_e32 v30, v30
	v_fma_f32 v31, v27, v31, 0
	v_fma_f32 v30, v27, v30, 0
	s_waitcnt vmcnt(0)
	v_and_b32_e32 v38, 15, v34
	v_lshrrev_b32_e32 v34, 4, v34
	v_mul_lo_u32 v34, v34, s21
	v_mul_lo_u32 v35, v38, v35
	v_dot4_i32_i8 v34, v34, v20, 0
	v_cvt_f32_i32_e32 v34, v34
	v_cvt_f32_i32_e32 v35, v35
	v_fmac_f32_e32 v31, v26, v34
	global_load_ubyte v34, v[32:33], off offset:4
	v_fmac_f32_e32 v30, v26, v35
	global_load_ubyte v32, v[32:33], off offset:6
	v_lshrrev_b32_e32 v35, 4, v36
	v_and_b32_e32 v35, 0x3030303, v35
	v_lshrrev_b32_e32 v33, 6, v36
	v_dot4_i32_i8 v35, v35, v16, 0
	v_and_b32_e32 v33, 0x3030303, v33
	v_dot4_i32_i8 v33, v33, v17, 0
	s_waitcnt vmcnt(1)
	v_and_b32_e32 v38, 15, v34
	v_lshrrev_b32_e32 v34, 4, v34
	v_mul_lo_u32 v34, v34, s21
	v_mul_lo_u32 v35, v38, v35
	v_dot4_i32_i8 v34, v34, v16, 0
	v_cvt_f32_i32_e32 v34, v34
	v_cvt_f32_i32_e32 v35, v35
	v_fmac_f32_e32 v31, v22, v34
	s_waitcnt vmcnt(0)
	v_and_b32_e32 v34, 15, v32
	v_lshrrev_b32_e32 v32, 4, v32
	v_mul_lo_u32 v32, v32, s21
	v_mul_lo_u32 v33, v34, v33
	v_fmac_f32_e32 v30, v22, v35
	v_dot4_i32_i8 v32, v32, v17, 0
	v_cvt_f32_i32_e32 v32, v32
	v_cvt_f32_i32_e32 v33, v33
	v_fmac_f32_e32 v31, v21, v32
	v_cvt_f32_f16_sdwa v32, v37 dst_sel:DWORD dst_unused:UNUSED_PAD src0_sel:WORD_1
	v_fmac_f32_e32 v30, v21, v33
	v_mul_f32_e32 v31, v31, v32
	v_fma_mix_f32 v30, v30, v37, -v31 op_sel_hi:[0,1,0]
	v_add_f32_e32 v9, v9, v30
	s_branch .LBB99_13
.LBB99_16:
	s_or_b64 exec, exec, s[14:15]
.LBB99_17:
	s_or_b64 exec, exec, s[18:19]
	s_load_dword s7, s[4:5], 0x30
	v_cmp_eq_u32_e64 s[10:11], 0, v1
	v_cmp_ne_u32_e32 vcc, 0, v1
	s_and_saveexec_b64 s[12:13], vcc
	s_cbranch_execz .LBB99_21
; %bb.18:
	s_and_b64 vcc, exec, s[16:17]
	s_cbranch_vccz .LBB99_20
; %bb.19:
	v_lshl_add_u32 v2, v1, 8, v6
	ds_write_b32 v2, v9
.LBB99_20:
	v_lshlrev_b32_e32 v1, 8, v1
	s_waitcnt lgkmcnt(0)
	s_movk_i32 s9, 0xff00
	v_add3_u32 v1, v1, v6, s9
	ds_write_b32 v1, v10
.LBB99_21:
	s_or_b64 exec, exec, s[12:13]
	s_waitcnt vmcnt(0) lgkmcnt(0)
	s_barrier
	s_and_saveexec_b64 s[12:13], s[10:11]
	s_cbranch_execz .LBB99_50
; %bb.22:
	ds_read_b32 v2, v6
	v_cmp_ne_u32_e64 s[10:11], 1, v11
	s_and_b64 vcc, exec, s[10:11]
	s_cbranch_vccnz .LBB99_24
; %bb.23:
	ds_read_b32 v1, v6 offset:256
	s_waitcnt lgkmcnt(0)
	v_add_f32_e32 v9, v9, v1
.LBB99_24:
	v_mbcnt_lo_u32_b32 v1, -1, 0
	v_mbcnt_hi_u32_b32 v3, -1, v1
	v_and_b32_e32 v1, 64, v3
	v_add_u32_e32 v4, 64, v1
	v_xor_b32_e32 v1, 32, v3
	v_cmp_lt_i32_e32 vcc, v1, v4
	v_cndmask_b32_e32 v1, v3, v1, vcc
	v_lshlrev_b32_e32 v1, 2, v1
	s_waitcnt lgkmcnt(0)
	v_add_f32_e32 v5, v10, v2
	ds_bpermute_b32 v10, v1, v5
	v_xor_b32_e32 v2, 16, v3
	v_cmp_lt_i32_e32 vcc, v2, v4
	v_cndmask_b32_e32 v2, v3, v2, vcc
	v_lshlrev_b32_e32 v2, 2, v2
	s_waitcnt lgkmcnt(0)
	v_add_f32_e32 v10, v5, v10
	ds_bpermute_b32 v11, v2, v10
	;; [unrolled: 7-line block ×6, first 2 shown]
	s_and_b64 vcc, exec, s[10:11]
	s_cbranch_vccnz .LBB99_26
; %bb.25:
	ds_bpermute_b32 v1, v1, v9
	s_waitcnt lgkmcnt(0)
	v_add_f32_e32 v1, v9, v1
	ds_bpermute_b32 v2, v2, v1
	s_waitcnt lgkmcnt(0)
	v_add_f32_e32 v1, v1, v2
	;; [unrolled: 3-line block ×6, first 2 shown]
.LBB99_26:
	v_cmp_eq_u32_e32 vcc, 0, v0
	s_and_b64 exec, exec, vcc
	s_cbranch_execz .LBB99_50
; %bb.27:
	s_waitcnt lgkmcnt(0)
	v_add_f32_e32 v0, v3, v4
	v_add_f32_e32 v1, v8, v0
	s_and_b64 vcc, exec, s[10:11]
	v_cndmask_b32_e64 v0, v0, v1, s[0:1]
	s_cbranch_vccnz .LBB99_49
; %bb.28:
	v_add_f32_e32 v1, v7, v9
	v_cndmask_b32_e64 v1, v9, v1, s[2:3]
	s_cmp_lt_i32 s7, 2
	s_mov_b64 s[0:1], 0
	s_cbranch_scc1 .LBB99_32
; %bb.29:
	s_cmp_gt_i32 s7, 2
	s_cbranch_scc0 .LBB99_33
; %bb.30:
	s_cmp_eq_u32 s7, 3
	s_cbranch_scc0 .LBB99_34
; %bb.31:
	v_max_f32_e32 v2, v1, v1
	v_min_f32_e32 v2, 0x40e00000, v2
	v_mul_f32_e32 v3, 0xbfd9db23, v2
	s_mov_b32 s2, 0x3fb8aa3b
	v_mul_f32_e32 v4, 0x3fb8aa3b, v3
	v_fma_f32 v5, v3, s2, -v4
	v_rndne_f32_e32 v7, v4
	v_fmac_f32_e32 v5, 0x32a5705f, v3
	v_sub_f32_e32 v4, v4, v7
	v_add_f32_e32 v4, v4, v5
	v_exp_f32_e32 v4, v4
	v_cvt_i32_f32_e32 v5, v7
	s_mov_b32 s2, 0xc2ce8ed0
	v_cmp_ngt_f32_e32 vcc, s2, v3
	s_mov_b32 s2, 0x42b17218
	v_ldexp_f32 v4, v4, v5
	v_cndmask_b32_e32 v4, 0, v4, vcc
	v_mov_b32_e32 v5, 0x7f800000
	v_cmp_nlt_f32_e32 vcc, s2, v3
	v_cndmask_b32_e32 v3, v5, v4, vcc
	v_add_f32_e32 v3, 1.0, v3
	v_div_scale_f32 v4, s[2:3], v3, v3, v2
	v_div_scale_f32 v5, vcc, v2, v3, v2
	s_mov_b64 s[2:3], 0
	v_rcp_f32_e32 v7, v4
	v_fma_f32 v8, -v4, v7, 1.0
	v_fmac_f32_e32 v7, v8, v7
	v_mul_f32_e32 v8, v5, v7
	v_fma_f32 v9, -v4, v8, v5
	v_fmac_f32_e32 v8, v9, v7
	v_fma_f32 v4, -v4, v8, v5
	v_div_fmas_f32 v4, v4, v7, v8
	v_max_f32_e32 v5, v0, v0
	v_min_f32_e32 v5, 0x40e00000, v5
	v_max_f32_e32 v5, 0xc0e00000, v5
	v_add_f32_e32 v5, 1.0, v5
	v_div_fixup_f32 v2, v4, v3, v2
	v_mul_f32_e32 v2, v5, v2
	s_branch .LBB99_35
.LBB99_32:
                                        ; implicit-def: $vgpr2
	s_mov_b64 s[2:3], 0
	s_cbranch_execnz .LBB99_39
	s_branch .LBB99_40
.LBB99_33:
	s_mov_b64 s[10:11], -1
	s_mov_b64 s[2:3], 0
                                        ; implicit-def: $vgpr2
	s_branch .LBB99_36
.LBB99_34:
	s_mov_b64 s[2:3], -1
                                        ; implicit-def: $vgpr2
.LBB99_35:
	s_mov_b64 s[10:11], 0
.LBB99_36:
	s_and_b64 vcc, exec, s[10:11]
	s_cbranch_vccz .LBB99_38
; %bb.37:
	v_mul_f32_e32 v2, 0xbfb8aa3b, v1
	s_mov_b32 s9, 0xbfb8aa3b
	v_rndne_f32_e32 v3, v2
	v_sub_f32_e32 v4, v2, v3
	v_fma_f32 v2, v1, s9, -v2
	v_fmac_f32_e32 v2, 0xb2a5705f, v1
	v_add_f32_e32 v2, v4, v2
	v_exp_f32_e32 v2, v2
	v_cvt_i32_f32_e32 v3, v3
	s_mov_b32 s9, 0x42ce8ed0
	v_cmp_nlt_f32_e32 vcc, s9, v1
	s_mov_b32 s9, 0xc2b17218
	v_ldexp_f32 v2, v2, v3
	v_cndmask_b32_e32 v2, 0, v2, vcc
	v_mov_b32_e32 v3, 0x7f800000
	v_cmp_ngt_f32_e32 vcc, s9, v1
	v_cndmask_b32_e32 v2, v3, v2, vcc
	v_add_f32_e32 v2, 1.0, v2
	v_div_scale_f32 v3, s[10:11], v2, v2, v1
	v_div_scale_f32 v4, vcc, v1, v2, v1
	v_rcp_f32_e32 v5, v3
	v_fma_f32 v7, -v3, v5, 1.0
	v_fmac_f32_e32 v5, v7, v5
	v_mul_f32_e32 v7, v4, v5
	v_fma_f32 v8, -v3, v7, v4
	v_fmac_f32_e32 v7, v8, v5
	v_fma_f32 v3, -v3, v7, v4
	v_div_fmas_f32 v3, v3, v5, v7
	v_div_fixup_f32 v2, v3, v2, v1
	v_mul_f32_e32 v2, v0, v2
.LBB99_38:
	s_branch .LBB99_40
.LBB99_39:
	s_cmp_lg_u32 s7, 1
	s_mov_b64 s[0:1], -1
	s_cselect_b64 s[2:3], -1, 0
.LBB99_40:
	s_andn2_b64 vcc, exec, s[2:3]
	s_cbranch_vccz .LBB99_42
; %bb.41:
	s_andn2_b64 vcc, exec, s[0:1]
	s_cbranch_vccz .LBB99_43
	s_branch .LBB99_48
.LBB99_42:
	v_mul_f32_e32 v2, v1, v0
	s_cbranch_execnz .LBB99_48
.LBB99_43:
	v_mul_f32_e32 v3, 0x3d372713, v1
	v_mul_f32_e32 v2, 0x3f4c422a, v1
	v_fma_f32 v3, v1, v3, 1.0
	v_mul_f32_e32 v2, v2, v3
	s_mov_b32 s0, 0x3f200000
	v_cmp_nlt_f32_e64 s[0:1], |v2|, s0
                                        ; implicit-def: $vgpr3
	s_and_saveexec_b64 s[2:3], s[0:1]
	s_xor_b64 s[0:1], exec, s[2:3]
	s_cbranch_execz .LBB99_45
; %bb.44:
	v_add_f32_e64 v3, |v2|, |v2|
	v_mul_f32_e32 v4, 0x3fb8aa3b, v3
	s_mov_b32 s2, 0x3fb8aa3b
	v_rndne_f32_e32 v5, v4
	v_sub_f32_e32 v7, v4, v5
	v_fma_f32 v4, v3, s2, -v4
	v_fmac_f32_e32 v4, 0x32a5705f, v3
	v_add_f32_e32 v4, v7, v4
	v_exp_f32_e32 v4, v4
	v_cvt_i32_f32_e32 v5, v5
	s_mov_b32 s2, 0xc2ce8ed0
	v_cmp_ngt_f32_e32 vcc, s2, v3
	s_mov_b32 s2, 0x42b17218
	v_ldexp_f32 v4, v4, v5
	v_cndmask_b32_e32 v4, 0, v4, vcc
	v_mov_b32_e32 v5, 0x7f800000
	v_cmp_nlt_f32_e32 vcc, s2, v3
	v_cndmask_b32_e32 v3, v5, v4, vcc
	v_add_f32_e32 v3, 1.0, v3
	v_rcp_f32_e32 v3, v3
	v_fma_f32 v3, v3, -2.0, 1.0
.LBB99_45:
	s_andn2_saveexec_b64 s[0:1], s[0:1]
	s_cbranch_execz .LBB99_47
; %bb.46:
	v_mul_f32_e32 v3, v2, v2
	v_mov_b32_e32 v4, 0x3ca908c9
	v_fmac_f32_e32 v4, 0xbbbac73d, v3
	v_mov_b32_e32 v5, 0xbd5c1c4e
	v_fmac_f32_e32 v5, v3, v4
	;; [unrolled: 2-line block ×4, first 2 shown]
	v_mul_f32_e64 v4, |v2|, v5
	v_fma_f32 v3, v3, v4, |v2|
.LBB99_47:
	s_or_b64 exec, exec, s[0:1]
	s_brev_b32 s0, -2
	v_bfi_b32 v2, s0, v3, v2
	v_mul_f32_e32 v1, 0.5, v1
	v_add_f32_e32 v2, 1.0, v2
	v_mul_f32_e32 v1, v1, v2
	v_mul_f32_e32 v2, v0, v1
.LBB99_48:
	v_mov_b32_e32 v0, v2
.LBB99_49:
	s_load_dwordx2 s[0:1], s[4:5], 0x38
	s_mul_i32 s3, s22, s34
	s_mul_i32 s2, s26, s8
	s_add_i32 s3, s3, s6
	s_add_i32 s2, s3, s2
	s_mov_b32 s3, 0
	s_lshl_b64 s[2:3], s[2:3], 2
	s_waitcnt lgkmcnt(0)
	s_add_u32 s0, s0, s2
	s_addc_u32 s1, s1, s3
	global_store_dword v6, v0, s[0:1]
.LBB99_50:
	s_endpgm
	.section	.rodata,"a",@progbits
	.p2align	6, 0x0
	.amdhsa_kernel _ZL13mul_mat_vec_qIL9ggml_type10ELi1ELb1ELb0EEvPKvS2_PKi31ggml_cuda_mm_fusion_args_devicePfj15HIP_vector_typeIjLj3EEjjjS8_jjjS8_jjjj
		.amdhsa_group_segment_fixed_size 512
		.amdhsa_private_segment_fixed_size 0
		.amdhsa_kernarg_size 144
		.amdhsa_user_sgpr_count 6
		.amdhsa_user_sgpr_private_segment_buffer 1
		.amdhsa_user_sgpr_dispatch_ptr 0
		.amdhsa_user_sgpr_queue_ptr 0
		.amdhsa_user_sgpr_kernarg_segment_ptr 1
		.amdhsa_user_sgpr_dispatch_id 0
		.amdhsa_user_sgpr_flat_scratch_init 0
		.amdhsa_user_sgpr_private_segment_size 0
		.amdhsa_uses_dynamic_stack 0
		.amdhsa_system_sgpr_private_segment_wavefront_offset 0
		.amdhsa_system_sgpr_workgroup_id_x 1
		.amdhsa_system_sgpr_workgroup_id_y 1
		.amdhsa_system_sgpr_workgroup_id_z 1
		.amdhsa_system_sgpr_workgroup_info 0
		.amdhsa_system_vgpr_workitem_id 1
		.amdhsa_next_free_vgpr 39
		.amdhsa_next_free_sgpr 42
		.amdhsa_reserve_vcc 1
		.amdhsa_reserve_flat_scratch 0
		.amdhsa_float_round_mode_32 0
		.amdhsa_float_round_mode_16_64 0
		.amdhsa_float_denorm_mode_32 3
		.amdhsa_float_denorm_mode_16_64 3
		.amdhsa_dx10_clamp 1
		.amdhsa_ieee_mode 1
		.amdhsa_fp16_overflow 0
		.amdhsa_exception_fp_ieee_invalid_op 0
		.amdhsa_exception_fp_denorm_src 0
		.amdhsa_exception_fp_ieee_div_zero 0
		.amdhsa_exception_fp_ieee_overflow 0
		.amdhsa_exception_fp_ieee_underflow 0
		.amdhsa_exception_fp_ieee_inexact 0
		.amdhsa_exception_int_div_zero 0
	.end_amdhsa_kernel
	.section	.text._ZL13mul_mat_vec_qIL9ggml_type10ELi1ELb1ELb0EEvPKvS2_PKi31ggml_cuda_mm_fusion_args_devicePfj15HIP_vector_typeIjLj3EEjjjS8_jjjS8_jjjj,"axG",@progbits,_ZL13mul_mat_vec_qIL9ggml_type10ELi1ELb1ELb0EEvPKvS2_PKi31ggml_cuda_mm_fusion_args_devicePfj15HIP_vector_typeIjLj3EEjjjS8_jjjS8_jjjj,comdat
.Lfunc_end99:
	.size	_ZL13mul_mat_vec_qIL9ggml_type10ELi1ELb1ELb0EEvPKvS2_PKi31ggml_cuda_mm_fusion_args_devicePfj15HIP_vector_typeIjLj3EEjjjS8_jjjS8_jjjj, .Lfunc_end99-_ZL13mul_mat_vec_qIL9ggml_type10ELi1ELb1ELb0EEvPKvS2_PKi31ggml_cuda_mm_fusion_args_devicePfj15HIP_vector_typeIjLj3EEjjjS8_jjjS8_jjjj
                                        ; -- End function
	.set _ZL13mul_mat_vec_qIL9ggml_type10ELi1ELb1ELb0EEvPKvS2_PKi31ggml_cuda_mm_fusion_args_devicePfj15HIP_vector_typeIjLj3EEjjjS8_jjjS8_jjjj.num_vgpr, 39
	.set _ZL13mul_mat_vec_qIL9ggml_type10ELi1ELb1ELb0EEvPKvS2_PKi31ggml_cuda_mm_fusion_args_devicePfj15HIP_vector_typeIjLj3EEjjjS8_jjjS8_jjjj.num_agpr, 0
	.set _ZL13mul_mat_vec_qIL9ggml_type10ELi1ELb1ELb0EEvPKvS2_PKi31ggml_cuda_mm_fusion_args_devicePfj15HIP_vector_typeIjLj3EEjjjS8_jjjS8_jjjj.numbered_sgpr, 42
	.set _ZL13mul_mat_vec_qIL9ggml_type10ELi1ELb1ELb0EEvPKvS2_PKi31ggml_cuda_mm_fusion_args_devicePfj15HIP_vector_typeIjLj3EEjjjS8_jjjS8_jjjj.num_named_barrier, 0
	.set _ZL13mul_mat_vec_qIL9ggml_type10ELi1ELb1ELb0EEvPKvS2_PKi31ggml_cuda_mm_fusion_args_devicePfj15HIP_vector_typeIjLj3EEjjjS8_jjjS8_jjjj.private_seg_size, 0
	.set _ZL13mul_mat_vec_qIL9ggml_type10ELi1ELb1ELb0EEvPKvS2_PKi31ggml_cuda_mm_fusion_args_devicePfj15HIP_vector_typeIjLj3EEjjjS8_jjjS8_jjjj.uses_vcc, 1
	.set _ZL13mul_mat_vec_qIL9ggml_type10ELi1ELb1ELb0EEvPKvS2_PKi31ggml_cuda_mm_fusion_args_devicePfj15HIP_vector_typeIjLj3EEjjjS8_jjjS8_jjjj.uses_flat_scratch, 0
	.set _ZL13mul_mat_vec_qIL9ggml_type10ELi1ELb1ELb0EEvPKvS2_PKi31ggml_cuda_mm_fusion_args_devicePfj15HIP_vector_typeIjLj3EEjjjS8_jjjS8_jjjj.has_dyn_sized_stack, 0
	.set _ZL13mul_mat_vec_qIL9ggml_type10ELi1ELb1ELb0EEvPKvS2_PKi31ggml_cuda_mm_fusion_args_devicePfj15HIP_vector_typeIjLj3EEjjjS8_jjjS8_jjjj.has_recursion, 0
	.set _ZL13mul_mat_vec_qIL9ggml_type10ELi1ELb1ELb0EEvPKvS2_PKi31ggml_cuda_mm_fusion_args_devicePfj15HIP_vector_typeIjLj3EEjjjS8_jjjS8_jjjj.has_indirect_call, 0
	.section	.AMDGPU.csdata,"",@progbits
; Kernel info:
; codeLenInByte = 3020
; TotalNumSgprs: 46
; NumVgprs: 39
; ScratchSize: 0
; MemoryBound: 0
; FloatMode: 240
; IeeeMode: 1
; LDSByteSize: 512 bytes/workgroup (compile time only)
; SGPRBlocks: 5
; VGPRBlocks: 9
; NumSGPRsForWavesPerEU: 46
; NumVGPRsForWavesPerEU: 39
; Occupancy: 6
; WaveLimiterHint : 0
; COMPUTE_PGM_RSRC2:SCRATCH_EN: 0
; COMPUTE_PGM_RSRC2:USER_SGPR: 6
; COMPUTE_PGM_RSRC2:TRAP_HANDLER: 0
; COMPUTE_PGM_RSRC2:TGID_X_EN: 1
; COMPUTE_PGM_RSRC2:TGID_Y_EN: 1
; COMPUTE_PGM_RSRC2:TGID_Z_EN: 1
; COMPUTE_PGM_RSRC2:TIDIG_COMP_CNT: 1
	.section	.text._ZL13mul_mat_vec_qIL9ggml_type10ELi1ELb0ELb0EEvPKvS2_PKi31ggml_cuda_mm_fusion_args_devicePfj15HIP_vector_typeIjLj3EEjjjS8_jjjS8_jjjj,"axG",@progbits,_ZL13mul_mat_vec_qIL9ggml_type10ELi1ELb0ELb0EEvPKvS2_PKi31ggml_cuda_mm_fusion_args_devicePfj15HIP_vector_typeIjLj3EEjjjS8_jjjS8_jjjj,comdat
	.globl	_ZL13mul_mat_vec_qIL9ggml_type10ELi1ELb0ELb0EEvPKvS2_PKi31ggml_cuda_mm_fusion_args_devicePfj15HIP_vector_typeIjLj3EEjjjS8_jjjS8_jjjj ; -- Begin function _ZL13mul_mat_vec_qIL9ggml_type10ELi1ELb0ELb0EEvPKvS2_PKi31ggml_cuda_mm_fusion_args_devicePfj15HIP_vector_typeIjLj3EEjjjS8_jjjS8_jjjj
	.p2align	8
	.type	_ZL13mul_mat_vec_qIL9ggml_type10ELi1ELb0ELb0EEvPKvS2_PKi31ggml_cuda_mm_fusion_args_devicePfj15HIP_vector_typeIjLj3EEjjjS8_jjjS8_jjjj,@function
_ZL13mul_mat_vec_qIL9ggml_type10ELi1ELb0ELb0EEvPKvS2_PKi31ggml_cuda_mm_fusion_args_devicePfj15HIP_vector_typeIjLj3EEjjjS8_jjjS8_jjjj: ; @_ZL13mul_mat_vec_qIL9ggml_type10ELi1ELb0ELb0EEvPKvS2_PKi31ggml_cuda_mm_fusion_args_devicePfj15HIP_vector_typeIjLj3EEjjjS8_jjjS8_jjjj
; %bb.0:
	s_load_dwordx2 s[0:1], s[4:5], 0x10
	s_load_dwordx4 s[16:19], s[4:5], 0x40
	s_mov_b32 s10, s7
	s_mov_b64 s[14:15], 0
	s_waitcnt lgkmcnt(0)
	s_cmp_lg_u64 s[0:1], 0
	s_cselect_b64 s[12:13], -1, 0
	s_cmp_eq_u64 s[0:1], 0
	s_cbranch_scc1 .LBB100_5
; %bb.1:
	s_mov_b32 s11, 0
	s_lshl_b64 s[2:3], s[10:11], 2
	s_add_u32 s0, s0, s2
	s_addc_u32 s1, s1, s3
	s_load_dword s9, s[0:1], 0x0
	s_nop 0
	s_load_dwordx4 s[0:3], s[4:5], 0x68
	s_load_dword s11, s[4:5], 0x50
	s_andn2_b64 vcc, exec, s[14:15]
	s_cbranch_vccnz .LBB100_3
.LBB100_2:
	s_load_dwordx2 s[14:15], s[4:5], 0x5c
	s_waitcnt lgkmcnt(0)
	s_mul_hi_u32 s7, s14, s10
	s_add_i32 s7, s10, s7
	s_lshr_b32 s9, s7, s15
.LBB100_3:
	s_load_dword s20, s[4:5], 0x78
	s_andn2_b64 vcc, exec, s[12:13]
	s_cbranch_vccnz .LBB100_6
; %bb.4:
	s_mul_hi_u32 s7, s17, s10
	s_add_i32 s7, s10, s7
	s_lshr_b32 s7, s7, s18
	s_mul_i32 s7, s7, s19
	s_sub_i32 s18, s10, s7
	s_branch .LBB100_7
.LBB100_5:
                                        ; implicit-def: $sgpr9
	s_load_dwordx4 s[0:3], s[4:5], 0x68
	s_load_dword s11, s[4:5], 0x50
	s_branch .LBB100_2
.LBB100_6:
	s_mov_b32 s18, s10
.LBB100_7:
	s_load_dwordx4 s[12:15], s[4:5], 0x80
	v_lshl_add_u32 v2, v1, 6, v0
	s_lshr_b32 s7, s16, 8
	v_lshrrev_b32_e32 v7, 4, v2
	v_cmp_gt_u32_e32 vcc, s7, v7
	v_mov_b32_e32 v6, 0
	s_and_saveexec_b64 s[16:17], vcc
	s_cbranch_execz .LBB100_11
; %bb.8:
	s_waitcnt lgkmcnt(0)
	s_mul_hi_u32 s3, s3, s8
	s_add_i32 s3, s8, s3
	s_lshr_b32 s3, s3, s20
	s_load_dwordx4 s[24:27], s[4:5], 0x0
	s_mul_i32 s11, s11, s6
	s_mul_i32 s3, s3, s12
	v_bfe_u32 v4, v0, 2, 1
	s_mul_i32 s0, s9, s0
	s_add_i32 s3, s3, s11
	v_and_b32_e32 v3, 7, v0
	v_and_or_b32 v8, v0, 8, v4
	v_lshrrev_b32_e32 v4, 4, v2
	v_bfe_u32 v2, v0, 3, 1
	s_add_i32 s3, s0, s3
	v_lshlrev_b32_e32 v9, 2, v3
	v_mul_hi_u32_u24_e32 v3, 0x90, v2
	v_mul_u32_u24_e32 v2, 0x90, v2
	s_movk_i32 s0, 0x120
	s_mul_i32 s9, s13, s8
	s_mul_i32 s12, s18, s1
	v_mad_u64_u32 v[2:3], s[0:1], v4, s0, v[2:3]
	s_mul_hi_u32 s1, s9, 36
	s_mul_i32 s9, s9, 36
	s_waitcnt lgkmcnt(0)
	s_add_u32 s9, s26, s9
	s_mul_hi_u32 s0, s12, 36
	s_mul_i32 s12, s12, 36
	s_addc_u32 s1, s27, s1
	s_add_u32 s9, s9, s12
	s_addc_u32 s0, s1, s0
	v_mov_b32_e32 v4, s0
	v_add_co_u32_e32 v2, vcc, s9, v2
	v_and_b32_e32 v10, 15, v0
	v_addc_co_u32_e32 v3, vcc, v4, v3, vcc
	v_mov_b32_e32 v4, s24
	v_mov_b32_e32 v6, 0
	s_mov_b64 s[0:1], 0
	s_movk_i32 s9, 0x54
	v_mov_b32_e32 v5, s25
	v_lshlrev_b32_e32 v10, 2, v10
	s_mov_b32 s11, 0x1010101
.LBB100_9:                              ; =>This Inner Loop Header: Depth=1
	v_add_u32_e32 v13, s3, v7
	v_mad_i64_i32 v[13:14], s[12:13], v13, s9, v[4:5]
	v_add_co_u32_e32 v11, vcc, v2, v9
	v_addc_co_u32_e32 v12, vcc, 0, v3, vcc
	global_load_dword v17, v[2:3], off
	global_load_dword v18, v[11:12], off offset:4
	global_load_dword v19, v[11:12], off offset:40
	global_load_dword v20, v[11:12], off offset:76
	global_load_dword v21, v[11:12], off offset:112
	v_add_co_u32_e32 v11, vcc, v13, v10
	v_addc_co_u32_e32 v12, vcc, 0, v14, vcc
	v_add_co_u32_e32 v15, vcc, v13, v8
	v_addc_co_u32_e32 v16, vcc, 0, v14, vcc
	global_load_dword v22, v[11:12], off offset:16
	global_load_ubyte v23, v[15:16], off
	global_load_ubyte v24, v[15:16], off offset:2
	global_load_ubyte v25, v[15:16], off offset:4
	;; [unrolled: 1-line block ×3, first 2 shown]
	global_load_dword v27, v[13:14], off offset:80
	v_add_u32_e32 v7, 8, v7
	s_waitcnt vmcnt(5)
	v_and_b32_e32 v11, 0x3030303, v22
	s_waitcnt vmcnt(4)
	v_and_b32_e32 v12, 15, v23
	v_lshrrev_b32_e32 v13, 2, v22
	v_dot4_i32_i8 v11, v11, v18, 0
	v_mul_lo_u32 v11, v12, v11
	v_lshrrev_b32_e32 v12, 4, v22
	v_and_b32_e32 v13, 0x3030303, v13
	v_lshrrev_b32_e32 v16, 4, v23
	s_waitcnt vmcnt(3)
	v_and_b32_e32 v14, 15, v24
	v_dot4_i32_i8 v13, v13, v19, 0
	v_lshrrev_b32_e32 v15, 6, v22
	v_and_b32_e32 v12, 0x3030303, v12
	v_mul_lo_u32 v16, v16, s11
	v_lshrrev_b32_e32 v22, 4, v24
	v_mul_lo_u32 v13, v14, v13
	s_waitcnt vmcnt(2)
	v_and_b32_e32 v14, 15, v25
	v_dot4_i32_i8 v12, v12, v20, 0
	v_and_b32_e32 v15, 0x3030303, v15
	v_mul_lo_u32 v22, v22, s11
	v_mul_lo_u32 v12, v14, v12
	s_waitcnt vmcnt(1)
	v_and_b32_e32 v14, 15, v26
	v_dot4_i32_i8 v15, v15, v21, 0
	v_mul_lo_u32 v14, v14, v15
	global_load_dword v15, v[2:3], off offset:36
	v_dot4_i32_i8 v16, v16, v18, 0
	global_load_dword v18, v[2:3], off offset:72
	v_dot4_i32_i8 v19, v22, v19, 0
	global_load_dword v22, v[2:3], off offset:108
	v_lshrrev_b32_e32 v23, 4, v25
	v_lshrrev_b32_e32 v24, 4, v26
	v_mul_lo_u32 v23, v23, s11
	v_mul_lo_u32 v24, v24, s11
	v_cvt_f32_i32_e32 v11, v11
	v_cvt_f32_i32_e32 v16, v16
	v_dot4_i32_i8 v20, v23, v20, 0
	v_cvt_f32_i32_e32 v19, v19
	v_cvt_f32_i32_e32 v13, v13
	v_dot4_i32_i8 v21, v24, v21, 0
	v_cvt_f32_i32_e32 v20, v20
	v_cvt_f32_i32_e32 v12, v12
	;; [unrolled: 1-line block ×3, first 2 shown]
	s_waitcnt vmcnt(3)
	v_cvt_f32_f16_sdwa v23, v27 dst_sel:DWORD dst_unused:UNUSED_PAD src0_sel:WORD_1
	v_cvt_f32_i32_e32 v14, v14
	v_fma_mix_f32 v11, v17, v11, 0 op_sel_hi:[1,0,0]
	v_fma_mix_f32 v16, v17, v16, 0 op_sel_hi:[1,0,0]
	v_add_co_u32_e32 v2, vcc, 0x900, v2
	v_addc_co_u32_e32 v3, vcc, 0, v3, vcc
	v_cmp_le_u32_e32 vcc, s7, v7
	s_or_b64 s[0:1], vcc, s[0:1]
	s_waitcnt vmcnt(2)
	v_fma_mix_f32 v11, v15, v13, v11 op_sel_hi:[1,0,0]
	v_fma_mix_f32 v13, v15, v19, v16 op_sel_hi:[1,0,0]
	s_waitcnt vmcnt(1)
	v_fma_mix_f32 v11, v18, v12, v11 op_sel_hi:[1,0,0]
	v_fma_mix_f32 v12, v18, v20, v13 op_sel_hi:[1,0,0]
	;; [unrolled: 3-line block ×3, first 2 shown]
	v_mul_f32_e32 v12, v12, v23
	v_fma_mix_f32 v11, v11, v27, -v12 op_sel_hi:[0,1,0]
	v_add_f32_e32 v6, v6, v11
	s_andn2_b64 exec, exec, s[0:1]
	s_cbranch_execnz .LBB100_9
; %bb.10:
	s_or_b64 exec, exec, s[0:1]
.LBB100_11:
	s_or_b64 exec, exec, s[16:17]
	v_cmp_eq_u32_e32 vcc, 0, v1
	s_waitcnt lgkmcnt(0)
	v_cmp_ne_u32_e64 s[0:1], 0, v1
	v_lshlrev_b32_e32 v2, 2, v0
	s_and_saveexec_b64 s[12:13], s[0:1]
; %bb.12:
	v_lshlrev_b32_e32 v1, 8, v1
	s_movk_i32 s0, 0xff00
	v_add3_u32 v1, v1, v2, s0
	ds_write_b32 v1, v6
; %bb.13:
	s_or_b64 exec, exec, s[12:13]
	s_waitcnt lgkmcnt(0)
	s_barrier
	s_and_saveexec_b64 s[0:1], vcc
	s_cbranch_execz .LBB100_16
; %bb.14:
	ds_read_b32 v1, v2
	v_mbcnt_lo_u32_b32 v2, -1, 0
	v_mbcnt_hi_u32_b32 v2, -1, v2
	v_and_b32_e32 v3, 64, v2
	v_add_u32_e32 v3, 64, v3
	v_xor_b32_e32 v4, 32, v2
	v_cmp_lt_i32_e32 vcc, v4, v3
	v_cndmask_b32_e32 v4, v2, v4, vcc
	v_lshlrev_b32_e32 v4, 2, v4
	s_waitcnt lgkmcnt(0)
	v_add_f32_e32 v1, v6, v1
	ds_bpermute_b32 v4, v4, v1
	v_xor_b32_e32 v5, 16, v2
	v_cmp_lt_i32_e32 vcc, v5, v3
	v_cndmask_b32_e32 v5, v2, v5, vcc
	v_lshlrev_b32_e32 v5, 2, v5
	s_waitcnt lgkmcnt(0)
	v_add_f32_e32 v1, v1, v4
	ds_bpermute_b32 v4, v5, v1
	;; [unrolled: 7-line block ×6, first 2 shown]
	s_mov_b32 s1, 0
	v_cmp_eq_u32_e32 vcc, 0, v0
	s_and_b64 exec, exec, vcc
	s_cbranch_execz .LBB100_16
; %bb.15:
	s_load_dwordx2 s[4:5], s[4:5], 0x38
	s_mul_i32 s0, s2, s10
	s_add_i32 s0, s0, s6
	s_mul_i32 s2, s14, s8
	s_add_i32 s0, s0, s2
	s_lshl_b64 s[0:1], s[0:1], 2
	s_waitcnt lgkmcnt(0)
	s_add_u32 s0, s4, s0
	v_add_f32_e32 v0, v1, v2
	s_addc_u32 s1, s5, s1
	v_mov_b32_e32 v1, 0
	global_store_dword v1, v0, s[0:1]
.LBB100_16:
	s_endpgm
	.section	.rodata,"a",@progbits
	.p2align	6, 0x0
	.amdhsa_kernel _ZL13mul_mat_vec_qIL9ggml_type10ELi1ELb0ELb0EEvPKvS2_PKi31ggml_cuda_mm_fusion_args_devicePfj15HIP_vector_typeIjLj3EEjjjS8_jjjS8_jjjj
		.amdhsa_group_segment_fixed_size 256
		.amdhsa_private_segment_fixed_size 0
		.amdhsa_kernarg_size 144
		.amdhsa_user_sgpr_count 6
		.amdhsa_user_sgpr_private_segment_buffer 1
		.amdhsa_user_sgpr_dispatch_ptr 0
		.amdhsa_user_sgpr_queue_ptr 0
		.amdhsa_user_sgpr_kernarg_segment_ptr 1
		.amdhsa_user_sgpr_dispatch_id 0
		.amdhsa_user_sgpr_flat_scratch_init 0
		.amdhsa_user_sgpr_private_segment_size 0
		.amdhsa_uses_dynamic_stack 0
		.amdhsa_system_sgpr_private_segment_wavefront_offset 0
		.amdhsa_system_sgpr_workgroup_id_x 1
		.amdhsa_system_sgpr_workgroup_id_y 1
		.amdhsa_system_sgpr_workgroup_id_z 1
		.amdhsa_system_sgpr_workgroup_info 0
		.amdhsa_system_vgpr_workitem_id 1
		.amdhsa_next_free_vgpr 28
		.amdhsa_next_free_sgpr 28
		.amdhsa_reserve_vcc 1
		.amdhsa_reserve_flat_scratch 0
		.amdhsa_float_round_mode_32 0
		.amdhsa_float_round_mode_16_64 0
		.amdhsa_float_denorm_mode_32 3
		.amdhsa_float_denorm_mode_16_64 3
		.amdhsa_dx10_clamp 1
		.amdhsa_ieee_mode 1
		.amdhsa_fp16_overflow 0
		.amdhsa_exception_fp_ieee_invalid_op 0
		.amdhsa_exception_fp_denorm_src 0
		.amdhsa_exception_fp_ieee_div_zero 0
		.amdhsa_exception_fp_ieee_overflow 0
		.amdhsa_exception_fp_ieee_underflow 0
		.amdhsa_exception_fp_ieee_inexact 0
		.amdhsa_exception_int_div_zero 0
	.end_amdhsa_kernel
	.section	.text._ZL13mul_mat_vec_qIL9ggml_type10ELi1ELb0ELb0EEvPKvS2_PKi31ggml_cuda_mm_fusion_args_devicePfj15HIP_vector_typeIjLj3EEjjjS8_jjjS8_jjjj,"axG",@progbits,_ZL13mul_mat_vec_qIL9ggml_type10ELi1ELb0ELb0EEvPKvS2_PKi31ggml_cuda_mm_fusion_args_devicePfj15HIP_vector_typeIjLj3EEjjjS8_jjjS8_jjjj,comdat
.Lfunc_end100:
	.size	_ZL13mul_mat_vec_qIL9ggml_type10ELi1ELb0ELb0EEvPKvS2_PKi31ggml_cuda_mm_fusion_args_devicePfj15HIP_vector_typeIjLj3EEjjjS8_jjjS8_jjjj, .Lfunc_end100-_ZL13mul_mat_vec_qIL9ggml_type10ELi1ELb0ELb0EEvPKvS2_PKi31ggml_cuda_mm_fusion_args_devicePfj15HIP_vector_typeIjLj3EEjjjS8_jjjS8_jjjj
                                        ; -- End function
	.set _ZL13mul_mat_vec_qIL9ggml_type10ELi1ELb0ELb0EEvPKvS2_PKi31ggml_cuda_mm_fusion_args_devicePfj15HIP_vector_typeIjLj3EEjjjS8_jjjS8_jjjj.num_vgpr, 28
	.set _ZL13mul_mat_vec_qIL9ggml_type10ELi1ELb0ELb0EEvPKvS2_PKi31ggml_cuda_mm_fusion_args_devicePfj15HIP_vector_typeIjLj3EEjjjS8_jjjS8_jjjj.num_agpr, 0
	.set _ZL13mul_mat_vec_qIL9ggml_type10ELi1ELb0ELb0EEvPKvS2_PKi31ggml_cuda_mm_fusion_args_devicePfj15HIP_vector_typeIjLj3EEjjjS8_jjjS8_jjjj.numbered_sgpr, 28
	.set _ZL13mul_mat_vec_qIL9ggml_type10ELi1ELb0ELb0EEvPKvS2_PKi31ggml_cuda_mm_fusion_args_devicePfj15HIP_vector_typeIjLj3EEjjjS8_jjjS8_jjjj.num_named_barrier, 0
	.set _ZL13mul_mat_vec_qIL9ggml_type10ELi1ELb0ELb0EEvPKvS2_PKi31ggml_cuda_mm_fusion_args_devicePfj15HIP_vector_typeIjLj3EEjjjS8_jjjS8_jjjj.private_seg_size, 0
	.set _ZL13mul_mat_vec_qIL9ggml_type10ELi1ELb0ELb0EEvPKvS2_PKi31ggml_cuda_mm_fusion_args_devicePfj15HIP_vector_typeIjLj3EEjjjS8_jjjS8_jjjj.uses_vcc, 1
	.set _ZL13mul_mat_vec_qIL9ggml_type10ELi1ELb0ELb0EEvPKvS2_PKi31ggml_cuda_mm_fusion_args_devicePfj15HIP_vector_typeIjLj3EEjjjS8_jjjS8_jjjj.uses_flat_scratch, 0
	.set _ZL13mul_mat_vec_qIL9ggml_type10ELi1ELb0ELb0EEvPKvS2_PKi31ggml_cuda_mm_fusion_args_devicePfj15HIP_vector_typeIjLj3EEjjjS8_jjjS8_jjjj.has_dyn_sized_stack, 0
	.set _ZL13mul_mat_vec_qIL9ggml_type10ELi1ELb0ELb0EEvPKvS2_PKi31ggml_cuda_mm_fusion_args_devicePfj15HIP_vector_typeIjLj3EEjjjS8_jjjS8_jjjj.has_recursion, 0
	.set _ZL13mul_mat_vec_qIL9ggml_type10ELi1ELb0ELb0EEvPKvS2_PKi31ggml_cuda_mm_fusion_args_devicePfj15HIP_vector_typeIjLj3EEjjjS8_jjjS8_jjjj.has_indirect_call, 0
	.section	.AMDGPU.csdata,"",@progbits
; Kernel info:
; codeLenInByte = 1340
; TotalNumSgprs: 32
; NumVgprs: 28
; ScratchSize: 0
; MemoryBound: 0
; FloatMode: 240
; IeeeMode: 1
; LDSByteSize: 256 bytes/workgroup (compile time only)
; SGPRBlocks: 3
; VGPRBlocks: 6
; NumSGPRsForWavesPerEU: 32
; NumVGPRsForWavesPerEU: 28
; Occupancy: 9
; WaveLimiterHint : 0
; COMPUTE_PGM_RSRC2:SCRATCH_EN: 0
; COMPUTE_PGM_RSRC2:USER_SGPR: 6
; COMPUTE_PGM_RSRC2:TRAP_HANDLER: 0
; COMPUTE_PGM_RSRC2:TGID_X_EN: 1
; COMPUTE_PGM_RSRC2:TGID_Y_EN: 1
; COMPUTE_PGM_RSRC2:TGID_Z_EN: 1
; COMPUTE_PGM_RSRC2:TIDIG_COMP_CNT: 1
	.section	.text._ZL13mul_mat_vec_qIL9ggml_type10ELi2ELb0ELb0EEvPKvS2_PKi31ggml_cuda_mm_fusion_args_devicePfj15HIP_vector_typeIjLj3EEjjjS8_jjjS8_jjjj,"axG",@progbits,_ZL13mul_mat_vec_qIL9ggml_type10ELi2ELb0ELb0EEvPKvS2_PKi31ggml_cuda_mm_fusion_args_devicePfj15HIP_vector_typeIjLj3EEjjjS8_jjjS8_jjjj,comdat
	.globl	_ZL13mul_mat_vec_qIL9ggml_type10ELi2ELb0ELb0EEvPKvS2_PKi31ggml_cuda_mm_fusion_args_devicePfj15HIP_vector_typeIjLj3EEjjjS8_jjjS8_jjjj ; -- Begin function _ZL13mul_mat_vec_qIL9ggml_type10ELi2ELb0ELb0EEvPKvS2_PKi31ggml_cuda_mm_fusion_args_devicePfj15HIP_vector_typeIjLj3EEjjjS8_jjjS8_jjjj
	.p2align	8
	.type	_ZL13mul_mat_vec_qIL9ggml_type10ELi2ELb0ELb0EEvPKvS2_PKi31ggml_cuda_mm_fusion_args_devicePfj15HIP_vector_typeIjLj3EEjjjS8_jjjS8_jjjj,@function
_ZL13mul_mat_vec_qIL9ggml_type10ELi2ELb0ELb0EEvPKvS2_PKi31ggml_cuda_mm_fusion_args_devicePfj15HIP_vector_typeIjLj3EEjjjS8_jjjS8_jjjj: ; @_ZL13mul_mat_vec_qIL9ggml_type10ELi2ELb0ELb0EEvPKvS2_PKi31ggml_cuda_mm_fusion_args_devicePfj15HIP_vector_typeIjLj3EEjjjS8_jjjS8_jjjj
; %bb.0:
	s_load_dword s9, s[4:5], 0x40
	s_load_dwordx4 s[0:3], s[4:5], 0x50
	s_load_dword s25, s[4:5], 0x60
	s_load_dwordx4 s[12:15], s[4:5], 0x68
	;; [unrolled: 2-line block ×3, first 2 shown]
	v_lshl_add_u32 v2, v1, 6, v0
	s_waitcnt lgkmcnt(0)
	s_lshr_b32 s9, s9, 8
	v_lshrrev_b32_e32 v12, 4, v2
	s_lshl_b32 s6, s6, 1
	v_cmp_gt_u32_e32 vcc, s9, v12
	v_mov_b32_e32 v10, 0
	v_mov_b32_e32 v11, 0
	;; [unrolled: 1-line block ×4, first 2 shown]
	s_and_saveexec_b64 s[10:11], vcc
	s_cbranch_execz .LBB101_4
; %bb.1:
	s_mul_hi_u32 s3, s3, s7
	s_add_i32 s3, s7, s3
	s_load_dwordx4 s[20:23], s[4:5], 0x0
	s_lshr_b32 s3, s3, s25
	s_mul_i32 s3, s3, s12
	s_mul_hi_u32 s12, s15, s8
	s_add_i32 s12, s8, s12
	s_lshr_b32 s12, s12, s24
	s_mul_i32 s15, s17, s8
	s_mul_i32 s12, s12, s16
	s_mul_hi_u32 s16, s15, 36
	s_mul_i32 s15, s15, 36
	s_waitcnt lgkmcnt(0)
	s_add_u32 s15, s22, s15
	s_mul_i32 s13, s13, s7
	s_addc_u32 s17, s23, s16
	s_mul_hi_u32 s19, s13, 36
	s_mul_i32 s13, s13, 36
	s_add_u32 s16, s15, s13
	v_lshrrev_b32_e32 v2, 1, v0
	s_addc_u32 s17, s17, s19
	v_and_b32_e32 v2, 4, v2
	s_add_i32 s15, s12, s3
	v_mad_u64_u32 v[2:3], s[12:13], v2, 36, s[16:17]
	v_bfe_u32 v4, v0, 2, 1
	s_add_i32 s12, s6, 1
	v_and_or_b32 v13, v0, 8, v4
	s_mul_i32 s3, s6, s0
	s_mul_i32 s0, s0, s12
	v_bfe_u32 v4, v0, 3, 1
	s_add_i32 s12, s15, s0
	v_mul_hi_u32_u24_e32 v5, 0x90, v4
	v_mul_u32_u24_e32 v4, 0x90, v4
	s_movk_i32 s0, 0x120
	v_mad_u64_u32 v[4:5], s[22:23], v12, s0, v[4:5]
	v_and_b32_e32 v6, 15, v0
	v_and_b32_e32 v7, 7, v0
	v_lshlrev_b32_e32 v14, 2, v7
	v_mov_b32_e32 v9, s17
	v_add_co_u32_e32 v4, vcc, s16, v4
	v_lshlrev_b32_e32 v16, 2, v6
	v_lshlrev_b32_e32 v17, 2, v7
	v_mov_b32_e32 v6, s20
	v_mov_b32_e32 v8, 0
	s_add_i32 s3, s15, s3
	v_addc_co_u32_e32 v5, vcc, v9, v5, vcc
	v_lshl_add_u32 v15, v12, 3, s1
	s_mov_b64 s[0:1], 0
	s_movk_i32 s13, 0x54
	s_mov_b32 s15, 0x1010101
	v_mov_b32_e32 v7, s21
	v_mov_b32_e32 v9, 0
	;; [unrolled: 1-line block ×4, first 2 shown]
.LBB101_2:                              ; =>This Inner Loop Header: Depth=1
	v_add_co_u32_e32 v18, vcc, v4, v14
	v_addc_co_u32_e32 v19, vcc, 0, v5, vcc
	v_mad_u64_u32 v[20:21], s[16:17], v15, 36, v[2:3]
	v_add_u32_e32 v22, s3, v12
	global_load_dword v34, v[4:5], off
	global_load_dword v35, v[4:5], off offset:36
	global_load_dword v36, v[4:5], off offset:72
	;; [unrolled: 1-line block ×3, first 2 shown]
	v_add_co_u32_e32 v4, vcc, 0x900, v4
	v_add_u32_e32 v23, s12, v12
	v_add_u32_e32 v12, 8, v12
	global_load_dword v38, v[18:19], off offset:4
	global_load_dword v39, v[18:19], off offset:40
	;; [unrolled: 1-line block ×4, first 2 shown]
	v_mad_i64_i32 v[18:19], s[16:17], v22, s13, v[6:7]
	v_addc_co_u32_e32 v5, vcc, 0, v5, vcc
	v_cmp_le_u32_e32 vcc, s9, v12
	s_or_b64 s[0:1], vcc, s[0:1]
	v_add_co_u32_e32 v24, vcc, v20, v17
	v_addc_co_u32_e32 v25, vcc, 0, v21, vcc
	v_mad_i64_i32 v[22:23], s[16:17], v23, s13, v[6:7]
	v_add_co_u32_e32 v26, vcc, v18, v16
	v_addc_co_u32_e32 v27, vcc, 0, v19, vcc
	v_add_co_u32_e32 v28, vcc, v18, v13
	v_addc_co_u32_e32 v29, vcc, 0, v19, vcc
	;; [unrolled: 2-line block ×3, first 2 shown]
	v_add_co_u32_e32 v32, vcc, v22, v13
	global_load_dword v42, v[20:21], off
	global_load_dword v43, v[20:21], off offset:36
	global_load_dword v44, v[20:21], off offset:72
	v_addc_co_u32_e32 v33, vcc, 0, v23, vcc
	global_load_dword v45, v[24:25], off offset:4
	global_load_dword v46, v[24:25], off offset:40
	global_load_dword v47, v[24:25], off offset:76
	global_load_dword v48, v[24:25], off offset:112
	global_load_dword v49, v[20:21], off offset:108
	global_load_ubyte v50, v[28:29], off
	global_load_ubyte v51, v[32:33], off
	global_load_dword v52, v[26:27], off offset:16
	global_load_dword v53, v[30:31], off offset:16
	global_load_ubyte v54, v[28:29], off offset:2
	global_load_ubyte v55, v[32:33], off offset:2
	;; [unrolled: 1-line block ×6, first 2 shown]
                                        ; kill: killed $vgpr26 killed $vgpr27
                                        ; kill: killed $vgpr20 killed $vgpr21
                                        ; kill: killed $vgpr32 killed $vgpr33
                                        ; kill: killed $vgpr24 killed $vgpr25
                                        ; kill: killed $vgpr30 killed $vgpr31
                                        ; kill: killed $vgpr28 killed $vgpr29
	global_load_dword v20, v[22:23], off offset:80
	global_load_dword v21, v[18:19], off offset:80
	v_add_u32_e32 v15, 64, v15
	s_waitcnt vmcnt(11)
	v_and_b32_e32 v18, 15, v50
	s_waitcnt vmcnt(10)
	v_and_b32_e32 v22, 15, v51
	;; [unrolled: 2-line block ×4, first 2 shown]
	v_lshrrev_b32_e32 v26, 2, v52
	v_dot4_i32_i8 v61, v24, v38, 0
	v_dot4_i32_i8 v24, v24, v45, 0
	v_lshrrev_b32_e32 v29, 2, v53
	v_mul_lo_u32 v61, v18, v61
	v_mul_lo_u32 v18, v18, v24
	v_dot4_i32_i8 v24, v25, v38, 0
	v_and_b32_e32 v26, 0x3030303, v26
	v_dot4_i32_i8 v25, v25, v45, 0
	s_waitcnt vmcnt(7)
	v_and_b32_e32 v27, 15, v54
	v_lshrrev_b32_e32 v32, 4, v52
	v_and_b32_e32 v29, 0x3030303, v29
	v_mul_lo_u32 v24, v22, v24
	v_mul_lo_u32 v22, v22, v25
	v_dot4_i32_i8 v25, v26, v39, 0
	v_dot4_i32_i8 v26, v26, v46, 0
	v_lshrrev_b32_e32 v19, 4, v50
	v_lshrrev_b32_e32 v23, 4, v51
	s_waitcnt vmcnt(6)
	v_and_b32_e32 v30, 15, v55
	v_lshrrev_b32_e32 v51, 4, v53
	v_and_b32_e32 v32, 0x3030303, v32
	v_mul_lo_u32 v25, v27, v25
	v_mul_lo_u32 v26, v27, v26
	v_dot4_i32_i8 v27, v29, v39, 0
	v_dot4_i32_i8 v29, v29, v46, 0
	v_lshrrev_b32_e32 v28, 4, v54
	v_lshrrev_b32_e32 v31, 4, v55
	s_waitcnt vmcnt(5)
	v_and_b32_e32 v33, 15, v56
	v_lshrrev_b32_e32 v52, 6, v52
	v_mul_lo_u32 v19, v19, s15
	v_mul_lo_u32 v23, v23, s15
	v_and_b32_e32 v51, 0x3030303, v51
	v_mul_lo_u32 v27, v30, v27
	v_mul_lo_u32 v29, v30, v29
	v_dot4_i32_i8 v30, v32, v40, 0
	v_dot4_i32_i8 v32, v32, v47, 0
	v_lshrrev_b32_e32 v50, 4, v56
	s_waitcnt vmcnt(4)
	v_and_b32_e32 v54, 15, v57
	v_lshrrev_b32_e32 v55, 4, v57
	v_lshrrev_b32_e32 v53, 6, v53
	v_mul_lo_u32 v28, v28, s15
	v_mul_lo_u32 v31, v31, s15
	v_and_b32_e32 v52, 0x3030303, v52
	v_mul_lo_u32 v30, v33, v30
	v_mul_lo_u32 v32, v33, v32
	v_dot4_i32_i8 v33, v51, v40, 0
	v_dot4_i32_i8 v51, v51, v47, 0
	s_waitcnt vmcnt(3)
	v_and_b32_e32 v56, 15, v58
	v_lshrrev_b32_e32 v57, 4, v58
	s_waitcnt vmcnt(2)
	v_and_b32_e32 v58, 15, v59
	v_lshrrev_b32_e32 v59, 4, v59
	v_mul_lo_u32 v50, v50, s15
	v_mul_lo_u32 v55, v55, s15
	v_and_b32_e32 v53, 0x3030303, v53
	v_mul_lo_u32 v33, v54, v33
	v_mul_lo_u32 v51, v54, v51
	v_dot4_i32_i8 v54, v52, v41, 0
	v_dot4_i32_i8 v52, v52, v48, 0
	v_mul_lo_u32 v57, v57, s15
	v_mul_lo_u32 v59, v59, s15
	v_mul_lo_u32 v54, v56, v54
	v_mul_lo_u32 v52, v56, v52
	v_dot4_i32_i8 v56, v53, v41, 0
	v_dot4_i32_i8 v53, v53, v48, 0
	v_mul_lo_u32 v56, v58, v56
	v_mul_lo_u32 v53, v58, v53
	v_dot4_i32_i8 v58, v19, v38, 0
	v_dot4_i32_i8 v38, v23, v38, 0
	;; [unrolled: 1-line block ×8, first 2 shown]
	v_cvt_f32_i32_e32 v61, v61
	v_cvt_f32_i32_e32 v58, v58
	v_cvt_f32_i32_e32 v24, v24
	v_cvt_f32_i32_e32 v38, v38
	v_cvt_f32_i32_e32 v19, v19
	v_cvt_f32_i32_e32 v23, v23
	v_dot4_i32_i8 v46, v50, v40, 0
	v_dot4_i32_i8 v40, v55, v40, 0
	;; [unrolled: 1-line block ×4, first 2 shown]
	v_cvt_f32_i32_e32 v45, v45
	v_cvt_f32_i32_e32 v39, v39
	;; [unrolled: 1-line block ×7, first 2 shown]
	v_dot4_i32_i8 v55, v57, v41, 0
	v_dot4_i32_i8 v41, v59, v41, 0
	;; [unrolled: 1-line block ×4, first 2 shown]
	v_cvt_f32_i32_e32 v46, v46
	v_cvt_f32_i32_e32 v40, v40
	;; [unrolled: 1-line block ×15, first 2 shown]
	s_waitcnt vmcnt(0)
	v_cvt_f32_f16_sdwa v60, v21 dst_sel:DWORD dst_unused:UNUSED_PAD src0_sel:WORD_1
	v_cvt_f32_f16_sdwa v59, v20 dst_sel:DWORD dst_unused:UNUSED_PAD src0_sel:WORD_1
	v_cvt_f32_i32_e32 v54, v54
	v_cvt_f32_i32_e32 v56, v56
	;; [unrolled: 1-line block ×4, first 2 shown]
	v_fma_mix_f32 v61, v34, v61, 0 op_sel_hi:[1,0,0]
	v_fma_mix_f32 v58, v34, v58, 0 op_sel_hi:[1,0,0]
	;; [unrolled: 1-line block ×32, first 2 shown]
	v_mul_f32_e32 v26, v26, v60
	v_mul_f32_e32 v19, v19, v60
	v_mul_f32_e32 v27, v27, v59
	v_mul_f32_e32 v23, v23, v59
	v_fma_mix_f32 v25, v25, v21, -v26 op_sel_hi:[0,1,0]
	v_fma_mix_f32 v18, v18, v21, -v19 op_sel_hi:[0,1,0]
	;; [unrolled: 1-line block ×4, first 2 shown]
	v_add_f32_e32 v11, v11, v25
	v_add_f32_e32 v10, v10, v19
	;; [unrolled: 1-line block ×4, first 2 shown]
	s_andn2_b64 exec, exec, s[0:1]
	s_cbranch_execnz .LBB101_2
; %bb.3:
	s_or_b64 exec, exec, s[0:1]
.LBB101_4:
	s_or_b64 exec, exec, s[10:11]
	v_cmp_eq_u32_e32 vcc, 0, v1
	v_cmp_ne_u32_e64 s[0:1], 0, v1
	v_lshlrev_b32_e32 v2, 2, v0
	s_and_saveexec_b64 s[10:11], s[0:1]
	s_cbranch_execz .LBB101_6
; %bb.5:
	v_lshl_or_b32 v1, v1, 10, v2
	v_add_u32_e32 v1, 0xfffffc00, v1
	ds_write2st64_b32 v1, v11, v10 offset1:1
	ds_write2st64_b32 v1, v9, v8 offset0:2 offset1:3
.LBB101_6:
	s_or_b64 exec, exec, s[10:11]
	s_waitcnt lgkmcnt(0)
	s_barrier
	s_and_saveexec_b64 s[0:1], vcc
	s_cbranch_execz .LBB101_11
; %bb.7:
	v_mbcnt_lo_u32_b32 v1, -1, 0
	v_mbcnt_hi_u32_b32 v7, -1, v1
	ds_read2st64_b32 v[5:6], v2 offset1:1
	v_and_b32_e32 v1, 64, v7
	v_add_u32_e32 v12, 64, v1
	v_xor_b32_e32 v1, 32, v7
	v_cmp_lt_i32_e32 vcc, v1, v12
	v_cndmask_b32_e32 v1, v7, v1, vcc
	v_lshlrev_b32_e32 v1, 2, v1
	s_waitcnt lgkmcnt(0)
	v_add_f32_e32 v11, v5, v11
	v_add_f32_e32 v6, v6, v10
	ds_bpermute_b32 v14, v1, v11
	ds_bpermute_b32 v10, v1, v6
	v_xor_b32_e32 v3, 16, v7
	v_cmp_lt_i32_e32 vcc, v3, v12
	v_cndmask_b32_e32 v3, v7, v3, vcc
	v_lshlrev_b32_e32 v3, 2, v3
	s_waitcnt lgkmcnt(1)
	v_add_f32_e32 v11, v11, v14
	s_waitcnt lgkmcnt(0)
	v_add_f32_e32 v6, v6, v10
	ds_bpermute_b32 v14, v3, v11
	ds_bpermute_b32 v10, v3, v6
	v_xor_b32_e32 v4, 8, v7
	v_cmp_lt_i32_e32 vcc, v4, v12
	v_cndmask_b32_e32 v4, v7, v4, vcc
	v_lshlrev_b32_e32 v4, 2, v4
	s_waitcnt lgkmcnt(1)
	v_add_f32_e32 v11, v11, v14
	s_waitcnt lgkmcnt(0)
	v_add_f32_e32 v10, v6, v10
	ds_bpermute_b32 v14, v4, v11
	ds_bpermute_b32 v15, v4, v10
	v_xor_b32_e32 v13, 4, v7
	v_cmp_lt_i32_e32 vcc, v13, v12
	v_cndmask_b32_e32 v13, v7, v13, vcc
	v_lshlrev_b32_e32 v5, 2, v13
	s_waitcnt lgkmcnt(1)
	v_add_f32_e32 v11, v11, v14
	s_waitcnt lgkmcnt(0)
	v_add_f32_e32 v10, v10, v15
	ds_bpermute_b32 v14, v5, v11
	ds_bpermute_b32 v15, v5, v10
	v_xor_b32_e32 v13, 2, v7
	v_cmp_lt_i32_e32 vcc, v13, v12
	v_cndmask_b32_e32 v13, v7, v13, vcc
	v_lshlrev_b32_e32 v6, 2, v13
	v_xor_b32_e32 v13, 1, v7
	v_cmp_lt_i32_e32 vcc, v13, v12
	s_waitcnt lgkmcnt(1)
	v_add_f32_e32 v12, v11, v14
	s_waitcnt lgkmcnt(0)
	v_add_f32_e32 v10, v10, v15
	v_cndmask_b32_e32 v7, v7, v13, vcc
	ds_bpermute_b32 v13, v6, v12
	ds_bpermute_b32 v14, v6, v10
	s_load_dwordx2 s[0:1], s[4:5], 0x38
	s_mul_i32 s4, s14, s7
	v_lshlrev_b32_e32 v11, 2, v7
	s_waitcnt lgkmcnt(0)
	v_add_f32_e32 v7, v12, v13
	v_add_f32_e32 v10, v10, v14
	s_mul_i32 s3, s18, s8
	s_add_i32 s4, s4, s6
	ds_bpermute_b32 v12, v11, v7
	ds_bpermute_b32 v13, v11, v10
	s_add_i32 s4, s4, s3
	s_mov_b32 s5, 0
	s_lshl_b64 s[4:5], s[4:5], 2
	s_add_u32 s4, s0, s4
	v_add_u32_e32 v14, s6, v0
	s_addc_u32 s5, s1, s5
	v_cmp_gt_u32_e32 vcc, 2, v0
	v_cmp_gt_u32_e64 s[0:1], s2, v14
	s_and_b64 s[0:1], vcc, s[0:1]
	s_waitcnt lgkmcnt(1)
	v_add_f32_e32 v7, v7, v12
	s_waitcnt lgkmcnt(0)
	v_add_f32_e32 v10, v10, v13
	s_and_saveexec_b64 s[6:7], s[0:1]
	s_cbranch_execz .LBB101_9
; %bb.8:
	v_cmp_eq_u32_e32 vcc, 1, v0
	v_cndmask_b32_e32 v12, v7, v10, vcc
	v_cmp_eq_u32_e32 vcc, 2, v0
	v_cndmask_b32_e32 v12, v12, v9, vcc
	;; [unrolled: 2-line block ×3, first 2 shown]
	global_store_dword v2, v12, s[4:5]
.LBB101_9:
	s_or_b64 exec, exec, s[6:7]
	ds_read2st64_b32 v[12:13], v2 offset0:2 offset1:3
	s_waitcnt lgkmcnt(0)
	v_add_f32_e32 v2, v12, v9
	v_add_f32_e32 v8, v13, v8
	ds_bpermute_b32 v9, v1, v2
	ds_bpermute_b32 v1, v1, v8
	s_waitcnt lgkmcnt(1)
	v_add_f32_e32 v2, v2, v9
	s_waitcnt lgkmcnt(0)
	v_add_f32_e32 v1, v8, v1
	ds_bpermute_b32 v8, v3, v2
	ds_bpermute_b32 v3, v3, v1
	s_waitcnt lgkmcnt(1)
	v_add_f32_e32 v2, v2, v8
	s_waitcnt lgkmcnt(0)
	;; [unrolled: 6-line block ×5, first 2 shown]
	v_add_f32_e32 v2, v3, v4
	ds_bpermute_b32 v3, v11, v1
	ds_bpermute_b32 v4, v11, v2
	s_and_b64 exec, exec, s[0:1]
	s_cbranch_execz .LBB101_11
; %bb.10:
	s_waitcnt lgkmcnt(1)
	v_add_f32_e32 v1, v1, v3
	v_add_u32_e32 v3, 2, v0
	v_cmp_eq_u32_e32 vcc, 1, v3
	s_waitcnt lgkmcnt(0)
	v_add_f32_e32 v2, v2, v4
	v_cndmask_b32_e32 v4, v7, v10, vcc
	v_cmp_eq_u32_e32 vcc, 2, v3
	v_cndmask_b32_e32 v1, v4, v1, vcc
	v_cmp_eq_u32_e32 vcc, 3, v3
	v_cndmask_b32_e32 v2, v1, v2, vcc
	v_add_u32_e32 v0, s2, v0
	v_mov_b32_e32 v1, 0
	v_lshlrev_b64 v[0:1], 2, v[0:1]
	v_mov_b32_e32 v3, s5
	v_add_co_u32_e32 v0, vcc, s4, v0
	v_addc_co_u32_e32 v1, vcc, v3, v1, vcc
	global_store_dword v[0:1], v2, off
.LBB101_11:
	s_endpgm
	.section	.rodata,"a",@progbits
	.p2align	6, 0x0
	.amdhsa_kernel _ZL13mul_mat_vec_qIL9ggml_type10ELi2ELb0ELb0EEvPKvS2_PKi31ggml_cuda_mm_fusion_args_devicePfj15HIP_vector_typeIjLj3EEjjjS8_jjjS8_jjjj
		.amdhsa_group_segment_fixed_size 1024
		.amdhsa_private_segment_fixed_size 0
		.amdhsa_kernarg_size 144
		.amdhsa_user_sgpr_count 6
		.amdhsa_user_sgpr_private_segment_buffer 1
		.amdhsa_user_sgpr_dispatch_ptr 0
		.amdhsa_user_sgpr_queue_ptr 0
		.amdhsa_user_sgpr_kernarg_segment_ptr 1
		.amdhsa_user_sgpr_dispatch_id 0
		.amdhsa_user_sgpr_flat_scratch_init 0
		.amdhsa_user_sgpr_private_segment_size 0
		.amdhsa_uses_dynamic_stack 0
		.amdhsa_system_sgpr_private_segment_wavefront_offset 0
		.amdhsa_system_sgpr_workgroup_id_x 1
		.amdhsa_system_sgpr_workgroup_id_y 1
		.amdhsa_system_sgpr_workgroup_id_z 1
		.amdhsa_system_sgpr_workgroup_info 0
		.amdhsa_system_vgpr_workitem_id 1
		.amdhsa_next_free_vgpr 62
		.amdhsa_next_free_sgpr 26
		.amdhsa_reserve_vcc 1
		.amdhsa_reserve_flat_scratch 0
		.amdhsa_float_round_mode_32 0
		.amdhsa_float_round_mode_16_64 0
		.amdhsa_float_denorm_mode_32 3
		.amdhsa_float_denorm_mode_16_64 3
		.amdhsa_dx10_clamp 1
		.amdhsa_ieee_mode 1
		.amdhsa_fp16_overflow 0
		.amdhsa_exception_fp_ieee_invalid_op 0
		.amdhsa_exception_fp_denorm_src 0
		.amdhsa_exception_fp_ieee_div_zero 0
		.amdhsa_exception_fp_ieee_overflow 0
		.amdhsa_exception_fp_ieee_underflow 0
		.amdhsa_exception_fp_ieee_inexact 0
		.amdhsa_exception_int_div_zero 0
	.end_amdhsa_kernel
	.section	.text._ZL13mul_mat_vec_qIL9ggml_type10ELi2ELb0ELb0EEvPKvS2_PKi31ggml_cuda_mm_fusion_args_devicePfj15HIP_vector_typeIjLj3EEjjjS8_jjjS8_jjjj,"axG",@progbits,_ZL13mul_mat_vec_qIL9ggml_type10ELi2ELb0ELb0EEvPKvS2_PKi31ggml_cuda_mm_fusion_args_devicePfj15HIP_vector_typeIjLj3EEjjjS8_jjjS8_jjjj,comdat
.Lfunc_end101:
	.size	_ZL13mul_mat_vec_qIL9ggml_type10ELi2ELb0ELb0EEvPKvS2_PKi31ggml_cuda_mm_fusion_args_devicePfj15HIP_vector_typeIjLj3EEjjjS8_jjjS8_jjjj, .Lfunc_end101-_ZL13mul_mat_vec_qIL9ggml_type10ELi2ELb0ELb0EEvPKvS2_PKi31ggml_cuda_mm_fusion_args_devicePfj15HIP_vector_typeIjLj3EEjjjS8_jjjS8_jjjj
                                        ; -- End function
	.set _ZL13mul_mat_vec_qIL9ggml_type10ELi2ELb0ELb0EEvPKvS2_PKi31ggml_cuda_mm_fusion_args_devicePfj15HIP_vector_typeIjLj3EEjjjS8_jjjS8_jjjj.num_vgpr, 62
	.set _ZL13mul_mat_vec_qIL9ggml_type10ELi2ELb0ELb0EEvPKvS2_PKi31ggml_cuda_mm_fusion_args_devicePfj15HIP_vector_typeIjLj3EEjjjS8_jjjS8_jjjj.num_agpr, 0
	.set _ZL13mul_mat_vec_qIL9ggml_type10ELi2ELb0ELb0EEvPKvS2_PKi31ggml_cuda_mm_fusion_args_devicePfj15HIP_vector_typeIjLj3EEjjjS8_jjjS8_jjjj.numbered_sgpr, 26
	.set _ZL13mul_mat_vec_qIL9ggml_type10ELi2ELb0ELb0EEvPKvS2_PKi31ggml_cuda_mm_fusion_args_devicePfj15HIP_vector_typeIjLj3EEjjjS8_jjjS8_jjjj.num_named_barrier, 0
	.set _ZL13mul_mat_vec_qIL9ggml_type10ELi2ELb0ELb0EEvPKvS2_PKi31ggml_cuda_mm_fusion_args_devicePfj15HIP_vector_typeIjLj3EEjjjS8_jjjS8_jjjj.private_seg_size, 0
	.set _ZL13mul_mat_vec_qIL9ggml_type10ELi2ELb0ELb0EEvPKvS2_PKi31ggml_cuda_mm_fusion_args_devicePfj15HIP_vector_typeIjLj3EEjjjS8_jjjS8_jjjj.uses_vcc, 1
	.set _ZL13mul_mat_vec_qIL9ggml_type10ELi2ELb0ELb0EEvPKvS2_PKi31ggml_cuda_mm_fusion_args_devicePfj15HIP_vector_typeIjLj3EEjjjS8_jjjS8_jjjj.uses_flat_scratch, 0
	.set _ZL13mul_mat_vec_qIL9ggml_type10ELi2ELb0ELb0EEvPKvS2_PKi31ggml_cuda_mm_fusion_args_devicePfj15HIP_vector_typeIjLj3EEjjjS8_jjjS8_jjjj.has_dyn_sized_stack, 0
	.set _ZL13mul_mat_vec_qIL9ggml_type10ELi2ELb0ELb0EEvPKvS2_PKi31ggml_cuda_mm_fusion_args_devicePfj15HIP_vector_typeIjLj3EEjjjS8_jjjS8_jjjj.has_recursion, 0
	.set _ZL13mul_mat_vec_qIL9ggml_type10ELi2ELb0ELb0EEvPKvS2_PKi31ggml_cuda_mm_fusion_args_devicePfj15HIP_vector_typeIjLj3EEjjjS8_jjjS8_jjjj.has_indirect_call, 0
	.section	.AMDGPU.csdata,"",@progbits
; Kernel info:
; codeLenInByte = 2608
; TotalNumSgprs: 30
; NumVgprs: 62
; ScratchSize: 0
; MemoryBound: 0
; FloatMode: 240
; IeeeMode: 1
; LDSByteSize: 1024 bytes/workgroup (compile time only)
; SGPRBlocks: 3
; VGPRBlocks: 15
; NumSGPRsForWavesPerEU: 30
; NumVGPRsForWavesPerEU: 62
; Occupancy: 4
; WaveLimiterHint : 0
; COMPUTE_PGM_RSRC2:SCRATCH_EN: 0
; COMPUTE_PGM_RSRC2:USER_SGPR: 6
; COMPUTE_PGM_RSRC2:TRAP_HANDLER: 0
; COMPUTE_PGM_RSRC2:TGID_X_EN: 1
; COMPUTE_PGM_RSRC2:TGID_Y_EN: 1
; COMPUTE_PGM_RSRC2:TGID_Z_EN: 1
; COMPUTE_PGM_RSRC2:TIDIG_COMP_CNT: 1
	.section	.text._ZL13mul_mat_vec_qIL9ggml_type10ELi3ELb0ELb0EEvPKvS2_PKi31ggml_cuda_mm_fusion_args_devicePfj15HIP_vector_typeIjLj3EEjjjS8_jjjS8_jjjj,"axG",@progbits,_ZL13mul_mat_vec_qIL9ggml_type10ELi3ELb0ELb0EEvPKvS2_PKi31ggml_cuda_mm_fusion_args_devicePfj15HIP_vector_typeIjLj3EEjjjS8_jjjS8_jjjj,comdat
	.globl	_ZL13mul_mat_vec_qIL9ggml_type10ELi3ELb0ELb0EEvPKvS2_PKi31ggml_cuda_mm_fusion_args_devicePfj15HIP_vector_typeIjLj3EEjjjS8_jjjS8_jjjj ; -- Begin function _ZL13mul_mat_vec_qIL9ggml_type10ELi3ELb0ELb0EEvPKvS2_PKi31ggml_cuda_mm_fusion_args_devicePfj15HIP_vector_typeIjLj3EEjjjS8_jjjS8_jjjj
	.p2align	8
	.type	_ZL13mul_mat_vec_qIL9ggml_type10ELi3ELb0ELb0EEvPKvS2_PKi31ggml_cuda_mm_fusion_args_devicePfj15HIP_vector_typeIjLj3EEjjjS8_jjjS8_jjjj,@function
_ZL13mul_mat_vec_qIL9ggml_type10ELi3ELb0ELb0EEvPKvS2_PKi31ggml_cuda_mm_fusion_args_devicePfj15HIP_vector_typeIjLj3EEjjjS8_jjjS8_jjjj: ; @_ZL13mul_mat_vec_qIL9ggml_type10ELi3ELb0ELb0EEvPKvS2_PKi31ggml_cuda_mm_fusion_args_devicePfj15HIP_vector_typeIjLj3EEjjjS8_jjjS8_jjjj
; %bb.0:
	v_lshl_add_u32 v2, v1, 6, v0
	s_load_dword s0, s[4:5], 0x40
	s_load_dwordx4 s[12:15], s[4:5], 0x50
	s_load_dword s11, s[4:5], 0x60
	s_load_dwordx4 s[16:19], s[4:5], 0x68
	;; [unrolled: 2-line block ×3, first 2 shown]
	s_waitcnt lgkmcnt(0)
	s_lshr_b32 s9, s0, 8
	v_lshrrev_b32_e32 v32, 4, v2
	v_mov_b32_e32 v28, 0
	s_lshl_b32 s6, s6, 1
	v_cmp_gt_u32_e32 vcc, s9, v32
	v_mov_b32_e32 v29, v28
	v_mov_b32_e32 v30, v28
	;; [unrolled: 1-line block ×5, first 2 shown]
	s_and_saveexec_b64 s[24:25], vcc
	s_cbranch_execz .LBB102_4
; %bb.1:
	s_mul_hi_u32 s15, s15, s7
	s_load_dwordx4 s[0:3], s[4:5], 0x0
	s_add_i32 s15, s7, s15
	s_lshr_b32 s11, s15, s11
	s_mul_hi_u32 s15, s19, s8
	s_add_i32 s15, s8, s15
	s_lshr_b32 s10, s15, s10
	s_mul_i32 s15, s21, s8
	s_mul_i32 s11, s11, s16
	s_mul_hi_u32 s16, s15, 36
	s_mul_i32 s15, s15, 36
	s_waitcnt lgkmcnt(0)
	s_add_u32 s2, s2, s15
	s_mul_i32 s15, s17, s7
	s_addc_u32 s3, s3, s16
	s_mul_hi_u32 s16, s15, 36
	s_mul_i32 s15, s15, 36
	s_add_u32 s2, s2, s15
	v_lshrrev_b32_e32 v2, 1, v0
	s_mul_i32 s10, s10, s20
	s_addc_u32 s3, s3, s16
	v_and_b32_e32 v2, 4, v2
	s_add_i32 s16, s10, s11
	v_mad_u64_u32 v[2:3], s[10:11], v2, 36, s[2:3]
	s_mul_i32 s10, s6, s12
	v_bfe_u32 v4, v0, 2, 1
	s_add_i32 s15, s16, s10
	s_add_i32 s10, s6, 1
	v_and_or_b32 v33, v0, 8, v4
	s_mul_i32 s10, s12, s10
	v_bfe_u32 v4, v0, 3, 1
	s_add_i32 s16, s16, s10
	v_mul_hi_u32_u24_e32 v5, 0x90, v4
	v_mul_u32_u24_e32 v4, 0x90, v4
	s_movk_i32 s10, 0x120
	v_mad_u64_u32 v[4:5], s[10:11], v32, s10, v[4:5]
	v_and_b32_e32 v6, 15, v0
	v_and_b32_e32 v7, 7, v0
	v_mov_b32_e32 v8, s3
	v_add_co_u32_e32 v4, vcc, s2, v4
	v_mov_b32_e32 v26, 0
	v_lshlrev_b32_e32 v34, 2, v7
	v_addc_co_u32_e32 v5, vcc, v8, v5, vcc
	v_lshlrev_b32_e32 v8, 3, v32
	v_lshlrev_b32_e32 v37, 2, v6
	;; [unrolled: 1-line block ×3, first 2 shown]
	v_mov_b32_e32 v7, s1
	v_add_u32_e32 v35, s13, v8
	v_lshl_add_u32 v36, s13, 1, v8
	s_mov_b64 s[12:13], 0
	s_movk_i32 s17, 0x54
	s_mov_b32 s19, 0x1010101
	v_mov_b32_e32 v6, s0
	v_mov_b32_e32 v27, v26
	;; [unrolled: 1-line block ×6, first 2 shown]
.LBB102_2:                              ; =>This Inner Loop Header: Depth=1
	v_add_u32_e32 v8, s15, v32
	v_add_u32_e32 v10, s16, v32
	v_mad_i64_i32 v[8:9], s[0:1], v8, s17, v[6:7]
	v_mad_i64_i32 v[10:11], s[0:1], v10, s17, v[6:7]
	v_add_co_u32_e32 v12, vcc, v4, v34
	v_addc_co_u32_e32 v13, vcc, 0, v5, vcc
	v_add_co_u32_e32 v18, vcc, v8, v37
	v_add_co_u32_e64 v14, s[0:1], v8, v33
	v_add_co_u32_e64 v20, s[2:3], v10, v37
	;; [unrolled: 1-line block ×3, first 2 shown]
	v_addc_co_u32_e32 v19, vcc, 0, v9, vcc
	global_load_dword v22, v[12:13], off offset:4
	v_addc_co_u32_e64 v15, vcc, 0, v9, s[0:1]
	v_addc_co_u32_e64 v21, vcc, 0, v11, s[2:3]
	v_addc_co_u32_e64 v17, vcc, 0, v11, s[10:11]
	global_load_dword v40, v[18:19], off offset:16
	global_load_ubyte v23, v[14:15], off
	global_load_ubyte v24, v[16:17], off
	global_load_dword v39, v[20:21], off offset:16
	v_add_u32_e32 v32, 8, v32
	s_waitcnt vmcnt(3)
	v_and_b32_e32 v45, 0x3030303, v40
	s_waitcnt vmcnt(2)
	v_lshrrev_b32_e32 v18, 4, v23
	s_waitcnt vmcnt(1)
	v_lshrrev_b32_e32 v19, 4, v24
	v_mul_lo_u32 v48, v18, s19
	v_mul_lo_u32 v49, v19, s19
	s_waitcnt vmcnt(0)
	v_and_b32_e32 v50, 0x3030303, v39
	v_dot4_i32_i8 v18, v45, v22, 0
	v_dot4_i32_i8 v19, v50, v22, 0
	;; [unrolled: 1-line block ×4, first 2 shown]
	global_load_dword v22, v[4:5], off
	v_and_b32_e32 v46, 15, v23
	v_and_b32_e32 v47, 15, v24
	v_mul_lo_u32 v18, v46, v18
	v_mul_lo_u32 v19, v47, v19
	v_cvt_f32_i32_e32 v20, v20
	v_cvt_f32_i32_e32 v21, v21
	;; [unrolled: 1-line block ×4, first 2 shown]
	s_waitcnt vmcnt(0)
	v_fma_mix_f32 v18, v22, v18, 0 op_sel_hi:[1,0,0]
	v_fma_mix_f32 v20, v22, v20, 0 op_sel_hi:[1,0,0]
	;; [unrolled: 1-line block ×4, first 2 shown]
	v_lshrrev_b32_e32 v22, 2, v40
	v_and_b32_e32 v51, 0x3030303, v22
	global_load_dword v22, v[12:13], off offset:40
	global_load_ubyte v23, v[14:15], off offset:2
	global_load_dword v25, v[4:5], off offset:36
	s_waitcnt vmcnt(2)
	v_dot4_i32_i8 v24, v51, v22, 0
	s_waitcnt vmcnt(1)
	v_and_b32_e32 v52, 15, v23
	v_mul_lo_u32 v24, v52, v24
	v_cvt_f32_i32_e32 v24, v24
	s_waitcnt vmcnt(0)
	v_fma_mix_f32 v41, v25, v24, v18 op_sel_hi:[1,0,0]
	v_lshrrev_b32_e32 v18, 4, v23
	v_mul_lo_u32 v53, v18, s19
	v_dot4_i32_i8 v18, v53, v22, 0
	v_cvt_f32_i32_e32 v18, v18
	v_fma_mix_f32 v42, v25, v18, v20 op_sel_hi:[1,0,0]
	v_lshrrev_b32_e32 v18, 2, v39
	v_and_b32_e32 v54, 0x3030303, v18
	global_load_ubyte v18, v[16:17], off offset:2
	v_dot4_i32_i8 v20, v54, v22, 0
	s_waitcnt vmcnt(0)
	v_and_b32_e32 v55, 15, v18
	v_lshrrev_b32_e32 v18, 4, v18
	v_mul_lo_u32 v56, v18, s19
	v_mul_lo_u32 v20, v55, v20
	v_dot4_i32_i8 v18, v56, v22, 0
	v_cvt_f32_i32_e32 v20, v20
	v_cvt_f32_i32_e32 v18, v18
	v_fma_mix_f32 v43, v25, v20, v19 op_sel_hi:[1,0,0]
	v_fma_mix_f32 v44, v25, v18, v21 op_sel_hi:[1,0,0]
	v_mad_u64_u32 v[18:19], s[0:1], v35, 36, v[2:3]
	v_add_u32_e32 v35, 64, v35
	v_add_co_u32_e32 v20, vcc, v18, v38
	v_addc_co_u32_e32 v21, vcc, 0, v19, vcc
	global_load_dword v22, v[20:21], off offset:4
	global_load_dword v57, v[18:19], off
	global_load_dword v59, v[18:19], off offset:36
	s_waitcnt vmcnt(2)
	v_dot4_i32_i8 v23, v45, v22, 0
	v_dot4_i32_i8 v24, v50, v22, 0
	v_mul_lo_u32 v23, v46, v23
	v_mul_lo_u32 v24, v47, v24
	v_dot4_i32_i8 v25, v48, v22, 0
	v_dot4_i32_i8 v22, v49, v22, 0
	v_cvt_f32_i32_e32 v23, v23
	v_cvt_f32_i32_e32 v25, v25
	;; [unrolled: 1-line block ×4, first 2 shown]
	s_waitcnt vmcnt(1)
	v_fma_mix_f32 v23, v57, v23, 0 op_sel_hi:[1,0,0]
	v_fma_mix_f32 v25, v57, v25, 0 op_sel_hi:[1,0,0]
	v_fma_mix_f32 v24, v57, v24, 0 op_sel_hi:[1,0,0]
	v_fma_mix_f32 v22, v57, v22, 0 op_sel_hi:[1,0,0]
	global_load_dword v57, v[20:21], off offset:40
	s_waitcnt vmcnt(0)
	v_dot4_i32_i8 v58, v51, v57, 0
	v_mul_lo_u32 v58, v52, v58
	v_cvt_f32_i32_e32 v58, v58
	v_fma_mix_f32 v58, v59, v58, v23 op_sel_hi:[1,0,0]
	v_dot4_i32_i8 v23, v53, v57, 0
	v_cvt_f32_i32_e32 v23, v23
	v_fma_mix_f32 v60, v59, v23, v25 op_sel_hi:[1,0,0]
	v_dot4_i32_i8 v23, v54, v57, 0
	v_mul_lo_u32 v23, v55, v23
	v_cvt_f32_i32_e32 v23, v23
	v_fma_mix_f32 v61, v59, v23, v24 op_sel_hi:[1,0,0]
	v_dot4_i32_i8 v23, v56, v57, 0
	v_cvt_f32_i32_e32 v23, v23
	v_fma_mix_f32 v57, v59, v23, v22 op_sel_hi:[1,0,0]
	v_mad_u64_u32 v[22:23], s[0:1], v36, 36, v[2:3]
	v_cmp_le_u32_e64 s[0:1], s9, v32
	v_add_u32_e32 v36, 64, v36
	v_add_co_u32_e32 v24, vcc, v22, v38
	v_addc_co_u32_e32 v25, vcc, 0, v23, vcc
	global_load_dword v59, v[24:25], off offset:4
	s_or_b64 s[12:13], s[0:1], s[12:13]
	s_waitcnt vmcnt(0)
	v_dot4_i32_i8 v45, v45, v59, 0
	v_mul_lo_u32 v45, v46, v45
	v_dot4_i32_i8 v46, v50, v59, 0
	v_mul_lo_u32 v46, v47, v46
	global_load_dword v47, v[24:25], off offset:40
	v_dot4_i32_i8 v48, v48, v59, 0
	v_dot4_i32_i8 v49, v49, v59, 0
	v_cvt_f32_i32_e32 v45, v45
	v_cvt_f32_i32_e32 v48, v48
	;; [unrolled: 1-line block ×4, first 2 shown]
	s_waitcnt vmcnt(0)
	v_dot4_i32_i8 v50, v51, v47, 0
	v_mul_lo_u32 v50, v52, v50
	v_dot4_i32_i8 v52, v53, v47, 0
	global_load_dword v53, v[22:23], off
	v_dot4_i32_i8 v51, v54, v47, 0
	v_cvt_f32_i32_e32 v50, v50
	v_mul_lo_u32 v51, v55, v51
	v_dot4_i32_i8 v47, v56, v47, 0
	v_cvt_f32_i32_e32 v47, v47
	s_waitcnt vmcnt(0)
	v_fma_mix_f32 v45, v53, v45, 0 op_sel_hi:[1,0,0]
	v_fma_mix_f32 v48, v53, v48, 0 op_sel_hi:[1,0,0]
	;; [unrolled: 1-line block ×4, first 2 shown]
	global_load_dword v53, v[22:23], off offset:36
	s_waitcnt vmcnt(0)
	v_fma_mix_f32 v45, v53, v50, v45 op_sel_hi:[1,0,0]
	v_cvt_f32_i32_e32 v50, v52
	v_fma_mix_f32 v47, v53, v47, v49 op_sel_hi:[1,0,0]
	v_lshrrev_b32_e32 v49, 4, v40
	v_and_b32_e32 v49, 0x3030303, v49
	v_fma_mix_f32 v48, v53, v50, v48 op_sel_hi:[1,0,0]
	v_cvt_f32_i32_e32 v50, v51
	v_fma_mix_f32 v46, v53, v50, v46 op_sel_hi:[1,0,0]
	global_load_dword v50, v[12:13], off offset:76
	global_load_ubyte v51, v[14:15], off offset:4
	global_load_dword v54, v[4:5], off offset:72
	global_load_ubyte v55, v[16:17], off offset:4
	s_waitcnt vmcnt(3)
	v_dot4_i32_i8 v53, v49, v50, 0
	s_waitcnt vmcnt(2)
	v_and_b32_e32 v52, 15, v51
	v_mul_lo_u32 v53, v52, v53
	s_waitcnt vmcnt(0)
	v_and_b32_e32 v56, 15, v55
	v_lshrrev_b32_e32 v55, 4, v55
	v_mul_lo_u32 v55, v55, s19
	v_cvt_f32_i32_e32 v53, v53
	v_fma_mix_f32 v53, v54, v53, v41 op_sel_hi:[1,0,0]
	v_lshrrev_b32_e32 v41, 4, v51
	v_mul_lo_u32 v41, v41, s19
	v_dot4_i32_i8 v51, v41, v50, 0
	v_cvt_f32_i32_e32 v51, v51
	v_fma_mix_f32 v42, v54, v51, v42 op_sel_hi:[1,0,0]
	v_lshrrev_b32_e32 v51, 4, v39
	v_and_b32_e32 v51, 0x3030303, v51
	v_dot4_i32_i8 v59, v51, v50, 0
	v_dot4_i32_i8 v50, v55, v50, 0
	v_cvt_f32_i32_e32 v50, v50
	v_mul_lo_u32 v59, v56, v59
	v_lshrrev_b32_e32 v39, 6, v39
	v_and_b32_e32 v39, 0x3030303, v39
	v_fma_mix_f32 v44, v54, v50, v44 op_sel_hi:[1,0,0]
	global_load_dword v50, v[20:21], off offset:76
	v_cvt_f32_i32_e32 v59, v59
	v_fma_mix_f32 v43, v54, v59, v43 op_sel_hi:[1,0,0]
	global_load_dword v59, v[18:19], off offset:72
	s_waitcnt vmcnt(1)
	v_dot4_i32_i8 v54, v49, v50, 0
	v_mul_lo_u32 v54, v52, v54
	v_cvt_f32_i32_e32 v54, v54
	s_waitcnt vmcnt(0)
	v_fma_mix_f32 v54, v59, v54, v58 op_sel_hi:[1,0,0]
	v_dot4_i32_i8 v58, v41, v50, 0
	v_cvt_f32_i32_e32 v58, v58
	v_fma_mix_f32 v58, v59, v58, v60 op_sel_hi:[1,0,0]
	v_dot4_i32_i8 v60, v51, v50, 0
	v_dot4_i32_i8 v50, v55, v50, 0
	v_cvt_f32_i32_e32 v50, v50
	v_mul_lo_u32 v60, v56, v60
	v_fma_mix_f32 v50, v59, v50, v57 op_sel_hi:[1,0,0]
	global_load_dword v57, v[24:25], off offset:76
	v_cvt_f32_i32_e32 v60, v60
	v_fma_mix_f32 v60, v59, v60, v61 op_sel_hi:[1,0,0]
	s_waitcnt vmcnt(0)
	v_dot4_i32_i8 v49, v49, v57, 0
	v_mul_lo_u32 v49, v52, v49
	v_dot4_i32_i8 v52, v55, v57, 0
	global_load_dword v55, v[22:23], off offset:72
	v_dot4_i32_i8 v51, v51, v57, 0
	v_dot4_i32_i8 v41, v41, v57, 0
	v_mul_lo_u32 v51, v56, v51
	v_cvt_f32_i32_e32 v41, v41
	v_cvt_f32_i32_e32 v49, v49
	s_waitcnt vmcnt(0)
	v_fma_mix_f32 v48, v55, v41, v48 op_sel_hi:[1,0,0]
	v_cvt_f32_i32_e32 v41, v51
	v_fma_mix_f32 v45, v55, v49, v45 op_sel_hi:[1,0,0]
	v_fma_mix_f32 v46, v55, v41, v46 op_sel_hi:[1,0,0]
	v_cvt_f32_i32_e32 v41, v52
	v_fma_mix_f32 v41, v55, v41, v47 op_sel_hi:[1,0,0]
	global_load_dword v47, v[12:13], off offset:112
	global_load_ubyte v49, v[14:15], off offset:6
	global_load_ubyte v51, v[16:17], off offset:6
	v_lshrrev_b32_e32 v12, 6, v40
	global_load_dword v15, v[4:5], off offset:108
	v_and_b32_e32 v12, 0x3030303, v12
	v_add_co_u32_e32 v4, vcc, 0x900, v4
	v_addc_co_u32_e32 v5, vcc, 0, v5, vcc
	s_waitcnt vmcnt(3)
	v_dot4_i32_i8 v14, v12, v47, 0
	s_waitcnt vmcnt(2)
	v_lshrrev_b32_e32 v16, 4, v49
	v_mul_lo_u32 v16, v16, s19
	s_waitcnt vmcnt(1)
	v_and_b32_e32 v40, 15, v51
	v_and_b32_e32 v13, 15, v49
	v_mul_lo_u32 v14, v13, v14
	v_dot4_i32_i8 v17, v16, v47, 0
	v_cvt_f32_i32_e32 v17, v17
	v_cvt_f32_i32_e32 v14, v14
	s_waitcnt vmcnt(0)
	v_fma_mix_f32 v17, v15, v17, v42 op_sel_hi:[1,0,0]
	v_dot4_i32_i8 v42, v39, v47, 0
	v_mul_lo_u32 v42, v40, v42
	v_fma_mix_f32 v14, v15, v14, v53 op_sel_hi:[1,0,0]
	v_cvt_f32_i32_e32 v42, v42
	v_fma_mix_f32 v42, v15, v42, v43 op_sel_hi:[1,0,0]
	v_lshrrev_b32_e32 v43, 4, v51
	v_mul_lo_u32 v43, v43, s19
	v_dot4_i32_i8 v47, v43, v47, 0
	v_cvt_f32_i32_e32 v47, v47
	v_fma_mix_f32 v15, v15, v47, v44 op_sel_hi:[1,0,0]
	global_load_dword v44, v[18:19], off offset:108
	global_load_dword v47, v[20:21], off offset:112
	s_waitcnt vmcnt(0)
	v_dot4_i32_i8 v18, v12, v47, 0
	v_dot4_i32_i8 v20, v39, v47, 0
	v_mul_lo_u32 v18, v13, v18
	v_mul_lo_u32 v20, v40, v20
	v_dot4_i32_i8 v19, v16, v47, 0
	v_dot4_i32_i8 v21, v43, v47, 0
	v_cvt_f32_i32_e32 v18, v18
	v_cvt_f32_i32_e32 v19, v19
	;; [unrolled: 1-line block ×4, first 2 shown]
	v_fma_mix_f32 v18, v44, v18, v54 op_sel_hi:[1,0,0]
	v_fma_mix_f32 v19, v44, v19, v58 op_sel_hi:[1,0,0]
	v_fma_mix_f32 v20, v44, v20, v60 op_sel_hi:[1,0,0]
	v_fma_mix_f32 v21, v44, v21, v50 op_sel_hi:[1,0,0]
	global_load_dword v44, v[8:9], off offset:80
	global_load_dword v47, v[10:11], off offset:80
	;; [unrolled: 1-line block ×4, first 2 shown]
	s_waitcnt vmcnt(1)
	v_dot4_i32_i8 v8, v12, v49, 0
	v_dot4_i32_i8 v9, v39, v49, 0
	v_mul_lo_u32 v8, v13, v8
	v_mul_lo_u32 v9, v40, v9
	v_dot4_i32_i8 v10, v16, v49, 0
	v_dot4_i32_i8 v11, v43, v49, 0
	v_cvt_f32_i32_e32 v10, v10
	v_cvt_f32_i32_e32 v11, v11
	;; [unrolled: 1-line block ×3, first 2 shown]
	v_cvt_f32_f16_sdwa v12, v44 dst_sel:DWORD dst_unused:UNUSED_PAD src0_sel:WORD_1
	v_cvt_f32_i32_e32 v9, v9
	v_cvt_f32_f16_sdwa v13, v47 dst_sel:DWORD dst_unused:UNUSED_PAD src0_sel:WORD_1
	s_waitcnt vmcnt(0)
	v_fma_mix_f32 v10, v50, v10, v48 op_sel_hi:[1,0,0]
	v_fma_mix_f32 v11, v50, v11, v41 op_sel_hi:[1,0,0]
	;; [unrolled: 1-line block ×4, first 2 shown]
	v_mul_f32_e32 v16, v17, v12
	v_mul_f32_e32 v15, v15, v13
	;; [unrolled: 1-line block ×6, first 2 shown]
	v_fma_mix_f32 v12, v14, v44, -v16 op_sel_hi:[0,1,0]
	v_fma_mix_f32 v13, v42, v47, -v15 op_sel_hi:[0,1,0]
	;; [unrolled: 1-line block ×6, first 2 shown]
	v_add_f32_e32 v31, v31, v12
	v_add_f32_e32 v30, v30, v13
	;; [unrolled: 1-line block ×6, first 2 shown]
	s_andn2_b64 exec, exec, s[12:13]
	s_cbranch_execnz .LBB102_2
; %bb.3:
	s_or_b64 exec, exec, s[12:13]
.LBB102_4:
	s_or_b64 exec, exec, s[24:25]
	v_cmp_eq_u32_e32 vcc, 0, v1
	v_cmp_ne_u32_e64 s[0:1], 0, v1
	s_and_saveexec_b64 s[2:3], s[0:1]
	s_cbranch_execz .LBB102_6
; %bb.5:
	v_mul_u32_u24_e32 v1, 0x600, v1
	v_lshl_or_b32 v1, v0, 2, v1
	v_add_u32_e32 v1, 0xfffffa00, v1
	ds_write2st64_b32 v1, v31, v30 offset1:1
	ds_write2st64_b32 v1, v29, v28 offset0:2 offset1:3
	ds_write2st64_b32 v1, v27, v26 offset0:4 offset1:5
.LBB102_6:
	s_or_b64 exec, exec, s[2:3]
	s_waitcnt lgkmcnt(0)
	s_barrier
	s_and_saveexec_b64 s[0:1], vcc
	s_cbranch_execz .LBB102_13
; %bb.7:
	v_lshlrev_b32_e32 v3, 2, v0
	v_mbcnt_lo_u32_b32 v1, -1, 0
	v_mbcnt_hi_u32_b32 v7, -1, v1
	ds_read2st64_b32 v[5:6], v3 offset1:1
	v_and_b32_e32 v1, 64, v7
	v_add_u32_e32 v8, 64, v1
	v_xor_b32_e32 v1, 32, v7
	v_cmp_lt_i32_e32 vcc, v1, v8
	v_cndmask_b32_e32 v1, v7, v1, vcc
	v_lshlrev_b32_e32 v1, 2, v1
	s_waitcnt lgkmcnt(0)
	v_add_f32_e32 v10, v5, v31
	v_add_f32_e32 v6, v6, v30
	ds_bpermute_b32 v11, v1, v10
	ds_bpermute_b32 v12, v1, v6
	v_xor_b32_e32 v2, 16, v7
	v_cmp_lt_i32_e32 vcc, v2, v8
	v_cndmask_b32_e32 v2, v7, v2, vcc
	v_lshlrev_b32_e32 v2, 2, v2
	s_waitcnt lgkmcnt(1)
	v_add_f32_e32 v10, v10, v11
	s_waitcnt lgkmcnt(0)
	v_add_f32_e32 v6, v6, v12
	ds_bpermute_b32 v11, v2, v10
	ds_bpermute_b32 v12, v2, v6
	v_xor_b32_e32 v4, 8, v7
	v_cmp_lt_i32_e32 vcc, v4, v8
	v_cndmask_b32_e32 v4, v7, v4, vcc
	v_lshlrev_b32_e32 v4, 2, v4
	s_waitcnt lgkmcnt(1)
	v_add_f32_e32 v10, v10, v11
	s_waitcnt lgkmcnt(0)
	;; [unrolled: 10-line block ×3, first 2 shown]
	v_add_f32_e32 v12, v12, v13
	ds_bpermute_b32 v11, v5, v10
	ds_bpermute_b32 v13, v5, v12
	v_xor_b32_e32 v9, 2, v7
	v_cmp_lt_i32_e32 vcc, v9, v8
	v_cndmask_b32_e32 v9, v7, v9, vcc
	v_lshlrev_b32_e32 v6, 2, v9
	v_xor_b32_e32 v9, 1, v7
	v_cmp_lt_i32_e32 vcc, v9, v8
	s_waitcnt lgkmcnt(1)
	v_add_f32_e32 v8, v10, v11
	s_waitcnt lgkmcnt(0)
	v_add_f32_e32 v11, v12, v13
	ds_bpermute_b32 v10, v6, v8
	ds_bpermute_b32 v12, v6, v11
	s_load_dwordx2 s[0:1], s[4:5], 0x38
	v_cndmask_b32_e32 v7, v7, v9, vcc
	s_mul_i32 s3, s18, s7
	v_lshlrev_b32_e32 v9, 2, v7
	s_waitcnt lgkmcnt(0)
	v_add_f32_e32 v7, v8, v10
	v_add_f32_e32 v10, v11, v12
	s_mul_i32 s2, s22, s8
	s_add_i32 s3, s3, s6
	ds_bpermute_b32 v8, v9, v7
	ds_bpermute_b32 v11, v9, v10
	s_add_i32 s2, s3, s2
	s_mov_b32 s3, 0
	s_lshl_b64 s[2:3], s[2:3], 2
	s_add_u32 s2, s0, s2
	v_add_u32_e32 v12, s6, v0
	s_addc_u32 s3, s1, s3
	v_cmp_gt_u32_e32 vcc, 2, v0
	v_cmp_gt_u32_e64 s[0:1], s14, v12
	s_and_b64 s[0:1], vcc, s[0:1]
	s_waitcnt lgkmcnt(1)
	v_add_f32_e32 v7, v7, v8
	s_waitcnt lgkmcnt(0)
	v_add_f32_e32 v8, v10, v11
	s_and_saveexec_b64 s[4:5], s[0:1]
	s_cbranch_execz .LBB102_9
; %bb.8:
	v_cmp_eq_u32_e32 vcc, 1, v0
	v_cndmask_b32_e32 v10, v7, v8, vcc
	v_cmp_eq_u32_e32 vcc, 2, v0
	v_cndmask_b32_e32 v10, v10, v29, vcc
	v_cmp_eq_u32_e32 vcc, 3, v0
	v_cndmask_b32_e32 v10, v10, v28, vcc
	v_cmp_eq_u32_e32 vcc, 4, v0
	v_cndmask_b32_e32 v10, v10, v27, vcc
	v_cmp_eq_u32_e32 vcc, 5, v0
	v_cndmask_b32_e32 v10, v10, v26, vcc
	global_store_dword v3, v10, s[2:3]
.LBB102_9:
	s_or_b64 exec, exec, s[4:5]
	ds_read2st64_b32 v[10:11], v3 offset0:2 offset1:3
	s_waitcnt lgkmcnt(0)
	v_add_f32_e32 v10, v10, v29
	v_add_f32_e32 v11, v11, v28
	ds_bpermute_b32 v12, v1, v10
	ds_bpermute_b32 v13, v1, v11
	s_waitcnt lgkmcnt(1)
	v_add_f32_e32 v10, v10, v12
	s_waitcnt lgkmcnt(0)
	v_add_f32_e32 v11, v11, v13
	ds_bpermute_b32 v12, v2, v10
	ds_bpermute_b32 v13, v2, v11
	s_waitcnt lgkmcnt(1)
	v_add_f32_e32 v10, v10, v12
	s_waitcnt lgkmcnt(0)
	;; [unrolled: 6-line block ×6, first 2 shown]
	v_add_f32_e32 v10, v12, v13
	s_and_saveexec_b64 s[4:5], s[0:1]
	s_cbranch_execz .LBB102_11
; %bb.10:
	v_add_u32_e32 v12, 2, v0
	v_cmp_eq_u32_e32 vcc, 1, v12
	v_cndmask_b32_e32 v13, v7, v8, vcc
	v_cmp_eq_u32_e32 vcc, 2, v12
	v_cndmask_b32_e32 v13, v13, v11, vcc
	v_cmp_eq_u32_e32 vcc, 3, v12
	v_cndmask_b32_e32 v13, v13, v10, vcc
	v_cmp_eq_u32_e32 vcc, 4, v12
	v_cndmask_b32_e32 v13, v13, v27, vcc
	v_cmp_eq_u32_e32 vcc, 5, v12
	v_cndmask_b32_e32 v14, v13, v26, vcc
	v_add_u32_e32 v12, s14, v0
	v_mov_b32_e32 v13, 0
	v_lshlrev_b64 v[12:13], 2, v[12:13]
	v_mov_b32_e32 v15, s3
	v_add_co_u32_e32 v12, vcc, s2, v12
	v_addc_co_u32_e32 v13, vcc, v15, v13, vcc
	global_store_dword v[12:13], v14, off
.LBB102_11:
	s_or_b64 exec, exec, s[4:5]
	ds_read2st64_b32 v[12:13], v3 offset0:4 offset1:5
	s_waitcnt lgkmcnt(0)
	v_add_f32_e32 v3, v12, v27
	v_add_f32_e32 v12, v13, v26
	ds_bpermute_b32 v13, v1, v3
	ds_bpermute_b32 v1, v1, v12
	s_waitcnt lgkmcnt(1)
	v_add_f32_e32 v3, v3, v13
	s_waitcnt lgkmcnt(0)
	v_add_f32_e32 v1, v12, v1
	ds_bpermute_b32 v12, v2, v3
	ds_bpermute_b32 v2, v2, v1
	s_waitcnt lgkmcnt(1)
	v_add_f32_e32 v3, v3, v12
	s_waitcnt lgkmcnt(0)
	;; [unrolled: 6-line block ×5, first 2 shown]
	v_add_f32_e32 v2, v3, v4
	ds_bpermute_b32 v3, v9, v1
	ds_bpermute_b32 v4, v9, v2
	s_and_b64 exec, exec, s[0:1]
	s_cbranch_execz .LBB102_13
; %bb.12:
	s_waitcnt lgkmcnt(1)
	v_add_f32_e32 v1, v1, v3
	v_add_u32_e32 v3, 4, v0
	v_cmp_eq_u32_e32 vcc, 1, v3
	s_waitcnt lgkmcnt(0)
	v_add_f32_e32 v2, v2, v4
	v_cndmask_b32_e32 v4, v7, v8, vcc
	v_cmp_eq_u32_e32 vcc, 2, v3
	v_cndmask_b32_e32 v4, v4, v11, vcc
	v_cmp_eq_u32_e32 vcc, 3, v3
	;; [unrolled: 2-line block ×4, first 2 shown]
	v_cndmask_b32_e32 v2, v1, v2, vcc
	v_lshl_or_b32 v0, s14, 1, v0
	v_mov_b32_e32 v1, 0
	v_lshlrev_b64 v[0:1], 2, v[0:1]
	v_mov_b32_e32 v3, s3
	v_add_co_u32_e32 v0, vcc, s2, v0
	v_addc_co_u32_e32 v1, vcc, v3, v1, vcc
	global_store_dword v[0:1], v2, off
.LBB102_13:
	s_endpgm
	.section	.rodata,"a",@progbits
	.p2align	6, 0x0
	.amdhsa_kernel _ZL13mul_mat_vec_qIL9ggml_type10ELi3ELb0ELb0EEvPKvS2_PKi31ggml_cuda_mm_fusion_args_devicePfj15HIP_vector_typeIjLj3EEjjjS8_jjjS8_jjjj
		.amdhsa_group_segment_fixed_size 1536
		.amdhsa_private_segment_fixed_size 0
		.amdhsa_kernarg_size 144
		.amdhsa_user_sgpr_count 6
		.amdhsa_user_sgpr_private_segment_buffer 1
		.amdhsa_user_sgpr_dispatch_ptr 0
		.amdhsa_user_sgpr_queue_ptr 0
		.amdhsa_user_sgpr_kernarg_segment_ptr 1
		.amdhsa_user_sgpr_dispatch_id 0
		.amdhsa_user_sgpr_flat_scratch_init 0
		.amdhsa_user_sgpr_private_segment_size 0
		.amdhsa_uses_dynamic_stack 0
		.amdhsa_system_sgpr_private_segment_wavefront_offset 0
		.amdhsa_system_sgpr_workgroup_id_x 1
		.amdhsa_system_sgpr_workgroup_id_y 1
		.amdhsa_system_sgpr_workgroup_id_z 1
		.amdhsa_system_sgpr_workgroup_info 0
		.amdhsa_system_vgpr_workitem_id 1
		.amdhsa_next_free_vgpr 62
		.amdhsa_next_free_sgpr 26
		.amdhsa_reserve_vcc 1
		.amdhsa_reserve_flat_scratch 0
		.amdhsa_float_round_mode_32 0
		.amdhsa_float_round_mode_16_64 0
		.amdhsa_float_denorm_mode_32 3
		.amdhsa_float_denorm_mode_16_64 3
		.amdhsa_dx10_clamp 1
		.amdhsa_ieee_mode 1
		.amdhsa_fp16_overflow 0
		.amdhsa_exception_fp_ieee_invalid_op 0
		.amdhsa_exception_fp_denorm_src 0
		.amdhsa_exception_fp_ieee_div_zero 0
		.amdhsa_exception_fp_ieee_overflow 0
		.amdhsa_exception_fp_ieee_underflow 0
		.amdhsa_exception_fp_ieee_inexact 0
		.amdhsa_exception_int_div_zero 0
	.end_amdhsa_kernel
	.section	.text._ZL13mul_mat_vec_qIL9ggml_type10ELi3ELb0ELb0EEvPKvS2_PKi31ggml_cuda_mm_fusion_args_devicePfj15HIP_vector_typeIjLj3EEjjjS8_jjjS8_jjjj,"axG",@progbits,_ZL13mul_mat_vec_qIL9ggml_type10ELi3ELb0ELb0EEvPKvS2_PKi31ggml_cuda_mm_fusion_args_devicePfj15HIP_vector_typeIjLj3EEjjjS8_jjjS8_jjjj,comdat
.Lfunc_end102:
	.size	_ZL13mul_mat_vec_qIL9ggml_type10ELi3ELb0ELb0EEvPKvS2_PKi31ggml_cuda_mm_fusion_args_devicePfj15HIP_vector_typeIjLj3EEjjjS8_jjjS8_jjjj, .Lfunc_end102-_ZL13mul_mat_vec_qIL9ggml_type10ELi3ELb0ELb0EEvPKvS2_PKi31ggml_cuda_mm_fusion_args_devicePfj15HIP_vector_typeIjLj3EEjjjS8_jjjS8_jjjj
                                        ; -- End function
	.set _ZL13mul_mat_vec_qIL9ggml_type10ELi3ELb0ELb0EEvPKvS2_PKi31ggml_cuda_mm_fusion_args_devicePfj15HIP_vector_typeIjLj3EEjjjS8_jjjS8_jjjj.num_vgpr, 62
	.set _ZL13mul_mat_vec_qIL9ggml_type10ELi3ELb0ELb0EEvPKvS2_PKi31ggml_cuda_mm_fusion_args_devicePfj15HIP_vector_typeIjLj3EEjjjS8_jjjS8_jjjj.num_agpr, 0
	.set _ZL13mul_mat_vec_qIL9ggml_type10ELi3ELb0ELb0EEvPKvS2_PKi31ggml_cuda_mm_fusion_args_devicePfj15HIP_vector_typeIjLj3EEjjjS8_jjjS8_jjjj.numbered_sgpr, 26
	.set _ZL13mul_mat_vec_qIL9ggml_type10ELi3ELb0ELb0EEvPKvS2_PKi31ggml_cuda_mm_fusion_args_devicePfj15HIP_vector_typeIjLj3EEjjjS8_jjjS8_jjjj.num_named_barrier, 0
	.set _ZL13mul_mat_vec_qIL9ggml_type10ELi3ELb0ELb0EEvPKvS2_PKi31ggml_cuda_mm_fusion_args_devicePfj15HIP_vector_typeIjLj3EEjjjS8_jjjS8_jjjj.private_seg_size, 0
	.set _ZL13mul_mat_vec_qIL9ggml_type10ELi3ELb0ELb0EEvPKvS2_PKi31ggml_cuda_mm_fusion_args_devicePfj15HIP_vector_typeIjLj3EEjjjS8_jjjS8_jjjj.uses_vcc, 1
	.set _ZL13mul_mat_vec_qIL9ggml_type10ELi3ELb0ELb0EEvPKvS2_PKi31ggml_cuda_mm_fusion_args_devicePfj15HIP_vector_typeIjLj3EEjjjS8_jjjS8_jjjj.uses_flat_scratch, 0
	.set _ZL13mul_mat_vec_qIL9ggml_type10ELi3ELb0ELb0EEvPKvS2_PKi31ggml_cuda_mm_fusion_args_devicePfj15HIP_vector_typeIjLj3EEjjjS8_jjjS8_jjjj.has_dyn_sized_stack, 0
	.set _ZL13mul_mat_vec_qIL9ggml_type10ELi3ELb0ELb0EEvPKvS2_PKi31ggml_cuda_mm_fusion_args_devicePfj15HIP_vector_typeIjLj3EEjjjS8_jjjS8_jjjj.has_recursion, 0
	.set _ZL13mul_mat_vec_qIL9ggml_type10ELi3ELb0ELb0EEvPKvS2_PKi31ggml_cuda_mm_fusion_args_devicePfj15HIP_vector_typeIjLj3EEjjjS8_jjjS8_jjjj.has_indirect_call, 0
	.section	.AMDGPU.csdata,"",@progbits
; Kernel info:
; codeLenInByte = 3592
; TotalNumSgprs: 30
; NumVgprs: 62
; ScratchSize: 0
; MemoryBound: 0
; FloatMode: 240
; IeeeMode: 1
; LDSByteSize: 1536 bytes/workgroup (compile time only)
; SGPRBlocks: 3
; VGPRBlocks: 15
; NumSGPRsForWavesPerEU: 30
; NumVGPRsForWavesPerEU: 62
; Occupancy: 4
; WaveLimiterHint : 0
; COMPUTE_PGM_RSRC2:SCRATCH_EN: 0
; COMPUTE_PGM_RSRC2:USER_SGPR: 6
; COMPUTE_PGM_RSRC2:TRAP_HANDLER: 0
; COMPUTE_PGM_RSRC2:TGID_X_EN: 1
; COMPUTE_PGM_RSRC2:TGID_Y_EN: 1
; COMPUTE_PGM_RSRC2:TGID_Z_EN: 1
; COMPUTE_PGM_RSRC2:TIDIG_COMP_CNT: 1
	.section	.text._ZL13mul_mat_vec_qIL9ggml_type10ELi4ELb0ELb0EEvPKvS2_PKi31ggml_cuda_mm_fusion_args_devicePfj15HIP_vector_typeIjLj3EEjjjS8_jjjS8_jjjj,"axG",@progbits,_ZL13mul_mat_vec_qIL9ggml_type10ELi4ELb0ELb0EEvPKvS2_PKi31ggml_cuda_mm_fusion_args_devicePfj15HIP_vector_typeIjLj3EEjjjS8_jjjS8_jjjj,comdat
	.globl	_ZL13mul_mat_vec_qIL9ggml_type10ELi4ELb0ELb0EEvPKvS2_PKi31ggml_cuda_mm_fusion_args_devicePfj15HIP_vector_typeIjLj3EEjjjS8_jjjS8_jjjj ; -- Begin function _ZL13mul_mat_vec_qIL9ggml_type10ELi4ELb0ELb0EEvPKvS2_PKi31ggml_cuda_mm_fusion_args_devicePfj15HIP_vector_typeIjLj3EEjjjS8_jjjS8_jjjj
	.p2align	8
	.type	_ZL13mul_mat_vec_qIL9ggml_type10ELi4ELb0ELb0EEvPKvS2_PKi31ggml_cuda_mm_fusion_args_devicePfj15HIP_vector_typeIjLj3EEjjjS8_jjjS8_jjjj,@function
_ZL13mul_mat_vec_qIL9ggml_type10ELi4ELb0ELb0EEvPKvS2_PKi31ggml_cuda_mm_fusion_args_devicePfj15HIP_vector_typeIjLj3EEjjjS8_jjjS8_jjjj: ; @_ZL13mul_mat_vec_qIL9ggml_type10ELi4ELb0ELb0EEvPKvS2_PKi31ggml_cuda_mm_fusion_args_devicePfj15HIP_vector_typeIjLj3EEjjjS8_jjjS8_jjjj
; %bb.0:
	s_load_dword s9, s[4:5], 0x40
	s_load_dwordx4 s[0:3], s[4:5], 0x50
	s_load_dword s25, s[4:5], 0x60
	s_load_dwordx4 s[12:15], s[4:5], 0x68
	s_load_dword s24, s[4:5], 0x78
	s_load_dwordx4 s[16:19], s[4:5], 0x80
	v_lshl_add_u32 v2, v1, 6, v0
	s_waitcnt lgkmcnt(0)
	s_lshr_b32 s9, s9, 8
	v_lshrrev_b32_e32 v17, 4, v2
	v_mov_b32_e32 v11, 0
	s_lshl_b32 s6, s6, 1
	v_cmp_gt_u32_e32 vcc, s9, v17
	v_mov_b32_e32 v12, v11
	v_mov_b32_e32 v13, v11
	v_mov_b32_e32 v14, v11
	v_mov_b32_e32 v15, v11
	v_mov_b32_e32 v16, v11
	v_mov_b32_e32 v10, v11
	v_mov_b32_e32 v9, v11
	s_and_saveexec_b64 s[10:11], vcc
	s_cbranch_execz .LBB103_4
; %bb.1:
	s_mul_hi_u32 s3, s3, s7
	s_add_i32 s3, s7, s3
	s_load_dwordx4 s[20:23], s[4:5], 0x0
	s_lshr_b32 s3, s3, s25
	s_mul_i32 s3, s3, s12
	s_mul_hi_u32 s12, s15, s8
	s_add_i32 s12, s8, s12
	s_lshr_b32 s12, s12, s24
	s_mul_i32 s15, s17, s8
	s_mul_i32 s12, s12, s16
	s_mul_hi_u32 s16, s15, 36
	s_mul_i32 s15, s15, 36
	s_waitcnt lgkmcnt(0)
	s_add_u32 s15, s22, s15
	s_mul_i32 s13, s13, s7
	s_addc_u32 s17, s23, s16
	s_mul_hi_u32 s19, s13, 36
	s_mul_i32 s13, s13, 36
	s_add_u32 s16, s15, s13
	v_lshrrev_b32_e32 v2, 1, v0
	s_addc_u32 s17, s17, s19
	v_and_b32_e32 v2, 4, v2
	s_add_i32 s15, s12, s3
	v_mad_u64_u32 v[2:3], s[12:13], v2, 36, s[16:17]
	v_bfe_u32 v4, v0, 2, 1
	s_add_i32 s12, s6, 1
	v_and_or_b32 v18, v0, 8, v4
	s_mul_i32 s3, s6, s0
	s_mul_i32 s0, s0, s12
	v_bfe_u32 v4, v0, 3, 1
	s_add_i32 s12, s15, s0
	v_mul_hi_u32_u24_e32 v5, 0x90, v4
	v_mul_u32_u24_e32 v4, 0x90, v4
	s_movk_i32 s0, 0x120
	v_mad_u64_u32 v[4:5], s[22:23], v17, s0, v[4:5]
	v_mov_b32_e32 v9, 0
	v_mov_b32_e32 v6, s17
	v_add_co_u32_e32 v4, vcc, s16, v4
	v_lshlrev_b32_e32 v8, 3, v17
	v_addc_co_u32_e32 v5, vcc, v6, v5, vcc
	v_mad_u64_u32 v[6:7], s[16:17], s1, 3, v[8:9]
	v_and_b32_e32 v10, 15, v0
	v_and_b32_e32 v11, 7, v0
	v_add_u32_e32 v20, s1, v8
	v_lshl_add_u32 v21, s1, 1, v8
	v_mov_b32_e32 v7, s20
	s_add_i32 s3, s15, s3
	v_lshlrev_b32_e32 v19, 2, v11
	s_mov_b64 s[0:1], 0
	s_movk_i32 s13, 0x54
	v_lshlrev_b32_e32 v22, 2, v10
	s_mov_b32 s15, 0x1010101
	v_lshlrev_b32_e32 v23, 2, v11
	v_mov_b32_e32 v8, s21
	v_mov_b32_e32 v10, v9
	;; [unrolled: 1-line block ×8, first 2 shown]
.LBB103_2:                              ; =>This Inner Loop Header: Depth=1
	v_add_co_u32_e32 v24, vcc, v4, v19
	v_add_u32_e32 v26, s3, v17
	v_addc_co_u32_e32 v25, vcc, 0, v5, vcc
	global_load_dword v29, v[24:25], off offset:4
	global_load_dword v30, v[4:5], off
	global_load_dword v31, v[24:25], off offset:40
	global_load_dword v52, v[4:5], off offset:36
	;; [unrolled: 1-line block ×6, first 2 shown]
	v_mad_i64_i32 v[24:25], s[16:17], v26, s13, v[7:8]
	v_add_co_u32_e32 v26, vcc, v24, v22
	v_addc_co_u32_e32 v27, vcc, 0, v25, vcc
	global_load_dword v28, v[26:27], off offset:16
	v_add_co_u32_e32 v26, vcc, v24, v18
	v_addc_co_u32_e32 v27, vcc, 0, v25, vcc
	global_load_dword v32, v[24:25], off offset:80
	global_load_ubyte v35, v[26:27], off
	global_load_ubyte v38, v[26:27], off offset:2
	global_load_ubyte v41, v[26:27], off offset:4
	s_waitcnt vmcnt(4)
	v_and_b32_e32 v33, 0x3030303, v28
	global_load_ubyte v26, v[26:27], off offset:6
	v_lshrrev_b32_e32 v36, 2, v28
	v_dot4_i32_i8 v24, v33, v29, 0
	v_and_b32_e32 v36, 0x3030303, v36
	s_waitcnt vmcnt(3)
	v_and_b32_e32 v34, 15, v35
	v_mul_lo_u32 v24, v34, v24
	v_dot4_i32_i8 v39, v36, v31, 0
	s_waitcnt vmcnt(2)
	v_and_b32_e32 v37, 15, v38
	v_mul_lo_u32 v39, v37, v39
	v_lshrrev_b32_e32 v25, 4, v35
	v_cvt_f32_i32_e32 v24, v24
	v_mul_lo_u32 v35, v25, s15
	v_lshrrev_b32_e32 v38, 4, v38
	v_cvt_f32_i32_e32 v39, v39
	v_mul_lo_u32 v38, v38, s15
	v_fma_mix_f32 v24, v30, v24, 0 op_sel_hi:[1,0,0]
	v_dot4_i32_i8 v25, v35, v29, 0
	v_cvt_f32_i32_e32 v25, v25
	v_fma_mix_f32 v24, v52, v39, v24 op_sel_hi:[1,0,0]
	v_dot4_i32_i8 v39, v38, v31, 0
	v_cvt_f32_i32_e32 v39, v39
	v_fma_mix_f32 v25, v30, v25, 0 op_sel_hi:[1,0,0]
	s_waitcnt vmcnt(1)
	v_and_b32_e32 v40, 15, v41
	v_lshrrev_b32_e32 v41, 4, v41
	v_fma_mix_f32 v25, v52, v39, v25 op_sel_hi:[1,0,0]
	v_lshrrev_b32_e32 v39, 4, v28
	v_and_b32_e32 v39, 0x3030303, v39
	v_dot4_i32_i8 v42, v39, v53, 0
	v_mul_lo_u32 v42, v40, v42
	v_mul_lo_u32 v41, v41, s15
	v_lshrrev_b32_e32 v27, 6, v28
	v_cvt_f32_f16_sdwa v45, v32 dst_sel:DWORD dst_unused:UNUSED_PAD src0_sel:WORD_1
	v_cvt_f32_i32_e32 v42, v42
	v_fma_mix_f32 v24, v54, v42, v24 op_sel_hi:[1,0,0]
	v_dot4_i32_i8 v42, v41, v53, 0
	v_cvt_f32_i32_e32 v42, v42
	v_fma_mix_f32 v25, v54, v42, v25 op_sel_hi:[1,0,0]
	v_and_b32_e32 v42, 0x3030303, v27
	v_dot4_i32_i8 v27, v42, v55, 0
	s_waitcnt vmcnt(0)
	v_and_b32_e32 v43, 15, v26
	v_lshrrev_b32_e32 v26, 4, v26
	v_mul_lo_u32 v44, v26, s15
	v_mul_lo_u32 v27, v43, v27
	v_dot4_i32_i8 v26, v44, v55, 0
	v_cvt_f32_i32_e32 v26, v26
	v_cvt_f32_i32_e32 v27, v27
	v_fma_mix_f32 v25, v56, v26, v25 op_sel_hi:[1,0,0]
	v_fma_mix_f32 v24, v56, v27, v24 op_sel_hi:[1,0,0]
	v_mul_f32_e32 v25, v25, v45
	v_fma_mix_f32 v24, v24, v32, -v25 op_sel_hi:[0,1,0]
	v_add_f32_e32 v16, v16, v24
	v_add_u32_e32 v24, s12, v17
	v_mad_i64_i32 v[25:26], s[16:17], v24, s13, v[7:8]
	v_add_u32_e32 v17, 8, v17
	v_add_co_u32_e32 v27, vcc, v25, v22
	v_addc_co_u32_e32 v28, vcc, 0, v26, vcc
	global_load_dword v57, v[27:28], off offset:16
	v_add_co_u32_e32 v27, vcc, v25, v18
	v_addc_co_u32_e32 v28, vcc, 0, v26, vcc
	global_load_dword v24, v[25:26], off offset:80
	global_load_ubyte v46, v[27:28], off
	s_waitcnt vmcnt(2)
	v_and_b32_e32 v49, 0x3030303, v57
	v_dot4_i32_i8 v25, v49, v29, 0
	s_waitcnt vmcnt(0)
	v_lshrrev_b32_e32 v26, 4, v46
	v_mul_lo_u32 v51, v26, s15
	v_and_b32_e32 v50, 15, v46
	v_mul_lo_u32 v25, v50, v25
	v_dot4_i32_i8 v26, v51, v29, 0
	global_load_ubyte v29, v[27:28], off offset:2
	v_cvt_f32_i32_e32 v26, v26
	v_cvt_f32_i32_e32 v25, v25
	v_fma_mix_f32 v26, v30, v26, 0 op_sel_hi:[1,0,0]
	v_fma_mix_f32 v25, v30, v25, 0 op_sel_hi:[1,0,0]
	v_lshrrev_b32_e32 v30, 2, v57
	v_and_b32_e32 v47, 0x3030303, v30
	v_dot4_i32_i8 v30, v47, v31, 0
	s_waitcnt vmcnt(0)
	v_and_b32_e32 v48, 15, v29
	v_lshrrev_b32_e32 v29, 4, v29
	v_mul_lo_u32 v46, v29, s15
	v_mul_lo_u32 v30, v48, v30
	v_dot4_i32_i8 v29, v46, v31, 0
	v_cvt_f32_i32_e32 v29, v29
	v_cvt_f32_i32_e32 v30, v30
	v_fma_mix_f32 v26, v52, v29, v26 op_sel_hi:[1,0,0]
	global_load_ubyte v29, v[27:28], off offset:4
	v_fma_mix_f32 v25, v52, v30, v25 op_sel_hi:[1,0,0]
	v_lshrrev_b32_e32 v30, 4, v57
	v_and_b32_e32 v30, 0x3030303, v30
	v_dot4_i32_i8 v52, v30, v53, 0
	s_waitcnt vmcnt(0)
	v_and_b32_e32 v31, 15, v29
	v_mul_lo_u32 v52, v31, v52
	v_lshrrev_b32_e32 v29, 4, v29
	v_mul_lo_u32 v29, v29, s15
	v_cvt_f32_i32_e32 v52, v52
	v_fma_mix_f32 v25, v54, v52, v25 op_sel_hi:[1,0,0]
	v_dot4_i32_i8 v52, v29, v53, 0
	v_cvt_f32_i32_e32 v52, v52
	v_fma_mix_f32 v26, v54, v52, v26 op_sel_hi:[1,0,0]
	global_load_ubyte v52, v[27:28], off offset:6
	v_lshrrev_b32_e32 v27, 6, v57
	v_and_b32_e32 v28, 0x3030303, v27
	v_dot4_i32_i8 v53, v28, v55, 0
	s_waitcnt vmcnt(0)
	v_and_b32_e32 v27, 15, v52
	v_mul_lo_u32 v53, v27, v53
	v_cvt_f32_i32_e32 v53, v53
	v_fma_mix_f32 v53, v56, v53, v25 op_sel_hi:[1,0,0]
	v_lshrrev_b32_e32 v25, 4, v52
	v_mul_lo_u32 v25, v25, s15
	v_dot4_i32_i8 v52, v25, v55, 0
	v_cvt_f32_i32_e32 v52, v52
	v_fma_mix_f32 v52, v56, v52, v26 op_sel_hi:[1,0,0]
	v_cvt_f32_f16_sdwa v26, v24 dst_sel:DWORD dst_unused:UNUSED_PAD src0_sel:WORD_1
	v_mul_f32_e32 v52, v52, v26
	v_fma_mix_f32 v52, v53, v24, -v52 op_sel_hi:[0,1,0]
	v_add_f32_e32 v15, v15, v52
	v_mad_u64_u32 v[52:53], s[16:17], v20, 36, v[2:3]
	v_add_u32_e32 v20, 64, v20
	v_add_co_u32_e32 v54, vcc, v52, v23
	v_addc_co_u32_e32 v55, vcc, 0, v53, vcc
	global_load_dword v56, v[54:55], off offset:4
	global_load_dword v57, v[52:53], off
	global_load_dword v58, v[54:55], off offset:40
	global_load_dword v59, v[52:53], off offset:36
	;; [unrolled: 1-line block ×6, first 2 shown]
	s_waitcnt vmcnt(7)
	v_dot4_i32_i8 v52, v33, v56, 0
	v_mul_lo_u32 v52, v34, v52
	s_waitcnt vmcnt(5)
	v_dot4_i32_i8 v54, v36, v58, 0
	v_mul_lo_u32 v54, v37, v54
	v_dot4_i32_i8 v53, v35, v56, 0
	v_cvt_f32_i32_e32 v52, v52
	v_cvt_f32_i32_e32 v53, v53
	;; [unrolled: 1-line block ×3, first 2 shown]
	v_fma_mix_f32 v52, v57, v52, 0 op_sel_hi:[1,0,0]
	v_fma_mix_f32 v53, v57, v53, 0 op_sel_hi:[1,0,0]
	s_waitcnt vmcnt(4)
	v_fma_mix_f32 v52, v59, v54, v52 op_sel_hi:[1,0,0]
	v_dot4_i32_i8 v54, v38, v58, 0
	v_cvt_f32_i32_e32 v54, v54
	v_fma_mix_f32 v53, v59, v54, v53 op_sel_hi:[1,0,0]
	s_waitcnt vmcnt(3)
	v_dot4_i32_i8 v54, v39, v60, 0
	v_mul_lo_u32 v54, v40, v54
	v_cvt_f32_i32_e32 v54, v54
	s_waitcnt vmcnt(2)
	v_fma_mix_f32 v52, v61, v54, v52 op_sel_hi:[1,0,0]
	v_dot4_i32_i8 v54, v41, v60, 0
	v_cvt_f32_i32_e32 v54, v54
	v_fma_mix_f32 v53, v61, v54, v53 op_sel_hi:[1,0,0]
	s_waitcnt vmcnt(1)
	v_dot4_i32_i8 v54, v42, v62, 0
	v_mul_lo_u32 v54, v43, v54
	v_cvt_f32_i32_e32 v54, v54
	s_waitcnt vmcnt(0)
	v_fma_mix_f32 v52, v63, v54, v52 op_sel_hi:[1,0,0]
	v_dot4_i32_i8 v54, v44, v62, 0
	v_cvt_f32_i32_e32 v54, v54
	v_fma_mix_f32 v53, v63, v54, v53 op_sel_hi:[1,0,0]
	v_mul_f32_e32 v53, v53, v45
	v_fma_mix_f32 v52, v52, v32, -v53 op_sel_hi:[0,1,0]
	v_add_f32_e32 v14, v14, v52
	v_dot4_i32_i8 v52, v49, v56, 0
	v_mul_lo_u32 v52, v50, v52
	v_dot4_i32_i8 v54, v47, v58, 0
	v_mul_lo_u32 v54, v48, v54
	v_dot4_i32_i8 v53, v51, v56, 0
	v_cvt_f32_i32_e32 v52, v52
	v_cvt_f32_i32_e32 v53, v53
	;; [unrolled: 1-line block ×3, first 2 shown]
	v_fma_mix_f32 v52, v57, v52, 0 op_sel_hi:[1,0,0]
	v_fma_mix_f32 v53, v57, v53, 0 op_sel_hi:[1,0,0]
	;; [unrolled: 1-line block ×3, first 2 shown]
	v_dot4_i32_i8 v54, v46, v58, 0
	v_cvt_f32_i32_e32 v54, v54
	v_fma_mix_f32 v53, v59, v54, v53 op_sel_hi:[1,0,0]
	v_dot4_i32_i8 v54, v30, v60, 0
	v_mul_lo_u32 v54, v31, v54
	v_cvt_f32_i32_e32 v54, v54
	v_fma_mix_f32 v52, v61, v54, v52 op_sel_hi:[1,0,0]
	v_dot4_i32_i8 v54, v29, v60, 0
	v_cvt_f32_i32_e32 v54, v54
	v_fma_mix_f32 v53, v61, v54, v53 op_sel_hi:[1,0,0]
	v_dot4_i32_i8 v54, v28, v62, 0
	v_mul_lo_u32 v54, v27, v54
	v_cvt_f32_i32_e32 v54, v54
	v_fma_mix_f32 v52, v63, v54, v52 op_sel_hi:[1,0,0]
	v_dot4_i32_i8 v54, v25, v62, 0
	v_cvt_f32_i32_e32 v54, v54
	v_fma_mix_f32 v53, v63, v54, v53 op_sel_hi:[1,0,0]
	v_mul_f32_e32 v53, v53, v26
	v_fma_mix_f32 v52, v52, v24, -v53 op_sel_hi:[0,1,0]
	v_add_f32_e32 v13, v13, v52
	v_mad_u64_u32 v[52:53], s[16:17], v21, 36, v[2:3]
	v_add_u32_e32 v21, 64, v21
	v_add_co_u32_e32 v54, vcc, v52, v23
	v_addc_co_u32_e32 v55, vcc, 0, v53, vcc
	global_load_dword v56, v[54:55], off offset:4
	global_load_dword v57, v[52:53], off
	global_load_dword v58, v[54:55], off offset:40
	global_load_dword v59, v[52:53], off offset:36
	;; [unrolled: 1-line block ×6, first 2 shown]
	s_waitcnt vmcnt(7)
	v_dot4_i32_i8 v52, v33, v56, 0
	v_mul_lo_u32 v52, v34, v52
	s_waitcnt vmcnt(5)
	v_dot4_i32_i8 v54, v36, v58, 0
	v_mul_lo_u32 v54, v37, v54
	v_dot4_i32_i8 v53, v35, v56, 0
	v_cvt_f32_i32_e32 v52, v52
	v_cvt_f32_i32_e32 v53, v53
	;; [unrolled: 1-line block ×3, first 2 shown]
	v_fma_mix_f32 v52, v57, v52, 0 op_sel_hi:[1,0,0]
	v_fma_mix_f32 v53, v57, v53, 0 op_sel_hi:[1,0,0]
	s_waitcnt vmcnt(4)
	v_fma_mix_f32 v52, v59, v54, v52 op_sel_hi:[1,0,0]
	v_dot4_i32_i8 v54, v38, v58, 0
	v_cvt_f32_i32_e32 v54, v54
	v_fma_mix_f32 v53, v59, v54, v53 op_sel_hi:[1,0,0]
	s_waitcnt vmcnt(3)
	v_dot4_i32_i8 v54, v39, v60, 0
	v_mul_lo_u32 v54, v40, v54
	v_cvt_f32_i32_e32 v54, v54
	s_waitcnt vmcnt(2)
	v_fma_mix_f32 v52, v61, v54, v52 op_sel_hi:[1,0,0]
	v_dot4_i32_i8 v54, v41, v60, 0
	v_cvt_f32_i32_e32 v54, v54
	v_fma_mix_f32 v53, v61, v54, v53 op_sel_hi:[1,0,0]
	s_waitcnt vmcnt(1)
	v_dot4_i32_i8 v54, v42, v62, 0
	v_mul_lo_u32 v54, v43, v54
	v_cvt_f32_i32_e32 v54, v54
	s_waitcnt vmcnt(0)
	v_fma_mix_f32 v52, v63, v54, v52 op_sel_hi:[1,0,0]
	v_dot4_i32_i8 v54, v44, v62, 0
	v_cvt_f32_i32_e32 v54, v54
	v_fma_mix_f32 v53, v63, v54, v53 op_sel_hi:[1,0,0]
	v_mul_f32_e32 v53, v53, v45
	v_fma_mix_f32 v52, v52, v32, -v53 op_sel_hi:[0,1,0]
	v_add_f32_e32 v12, v12, v52
	v_dot4_i32_i8 v52, v49, v56, 0
	v_mul_lo_u32 v52, v50, v52
	v_dot4_i32_i8 v54, v47, v58, 0
	v_mul_lo_u32 v54, v48, v54
	v_dot4_i32_i8 v53, v51, v56, 0
	v_cvt_f32_i32_e32 v52, v52
	v_cvt_f32_i32_e32 v53, v53
	;; [unrolled: 1-line block ×3, first 2 shown]
	v_fma_mix_f32 v52, v57, v52, 0 op_sel_hi:[1,0,0]
	v_fma_mix_f32 v53, v57, v53, 0 op_sel_hi:[1,0,0]
	;; [unrolled: 1-line block ×3, first 2 shown]
	v_dot4_i32_i8 v54, v46, v58, 0
	v_cvt_f32_i32_e32 v54, v54
	v_fma_mix_f32 v53, v59, v54, v53 op_sel_hi:[1,0,0]
	v_dot4_i32_i8 v54, v30, v60, 0
	v_mul_lo_u32 v54, v31, v54
	v_cvt_f32_i32_e32 v54, v54
	v_fma_mix_f32 v52, v61, v54, v52 op_sel_hi:[1,0,0]
	v_dot4_i32_i8 v54, v29, v60, 0
	v_cvt_f32_i32_e32 v54, v54
	v_fma_mix_f32 v53, v61, v54, v53 op_sel_hi:[1,0,0]
	v_dot4_i32_i8 v54, v28, v62, 0
	v_mul_lo_u32 v54, v27, v54
	v_cvt_f32_i32_e32 v54, v54
	v_fma_mix_f32 v52, v63, v54, v52 op_sel_hi:[1,0,0]
	v_dot4_i32_i8 v54, v25, v62, 0
	v_cvt_f32_i32_e32 v54, v54
	v_fma_mix_f32 v53, v63, v54, v53 op_sel_hi:[1,0,0]
	v_mad_u64_u32 v[54:55], s[16:17], v6, 36, v[2:3]
	v_mul_f32_e32 v53, v53, v26
	v_fma_mix_f32 v52, v52, v24, -v53 op_sel_hi:[0,1,0]
	v_add_co_u32_e32 v56, vcc, v54, v23
	v_addc_co_u32_e32 v57, vcc, 0, v55, vcc
	v_add_f32_e32 v11, v11, v52
	global_load_dword v58, v[56:57], off offset:4
	global_load_dword v59, v[54:55], off
	global_load_dword v60, v[56:57], off offset:40
	global_load_dword v61, v[54:55], off offset:36
	;; [unrolled: 1-line block ×6, first 2 shown]
	v_add_co_u32_e32 v4, vcc, 0x900, v4
	v_addc_co_u32_e32 v5, vcc, 0, v5, vcc
	v_cmp_le_u32_e32 vcc, s9, v17
	v_add_u32_e32 v6, 64, v6
	s_or_b64 s[0:1], vcc, s[0:1]
	s_waitcnt vmcnt(7)
	v_dot4_i32_i8 v33, v33, v58, 0
	v_mul_lo_u32 v33, v34, v33
	v_dot4_i32_i8 v34, v35, v58, 0
	s_waitcnt vmcnt(5)
	v_dot4_i32_i8 v35, v36, v60, 0
	v_mul_lo_u32 v35, v37, v35
	v_cvt_f32_i32_e32 v33, v33
	v_cvt_f32_i32_e32 v34, v34
	s_waitcnt vmcnt(3)
	v_dot4_i32_i8 v30, v30, v62, 0
	v_cvt_f32_i32_e32 v35, v35
	v_fma_mix_f32 v33, v59, v33, 0 op_sel_hi:[1,0,0]
	v_fma_mix_f32 v34, v59, v34, 0 op_sel_hi:[1,0,0]
	v_mul_lo_u32 v30, v31, v30
	v_fma_mix_f32 v33, v61, v35, v33 op_sel_hi:[1,0,0]
	v_dot4_i32_i8 v35, v38, v60, 0
	v_cvt_f32_i32_e32 v35, v35
	s_waitcnt vmcnt(1)
	v_dot4_i32_i8 v28, v28, v52, 0
	v_mul_lo_u32 v27, v27, v28
	v_dot4_i32_i8 v29, v29, v62, 0
	v_fma_mix_f32 v34, v61, v35, v34 op_sel_hi:[1,0,0]
	v_dot4_i32_i8 v35, v39, v62, 0
	v_mul_lo_u32 v35, v40, v35
	v_cvt_f32_i32_e32 v29, v29
	v_dot4_i32_i8 v25, v25, v52, 0
	v_cvt_f32_i32_e32 v30, v30
	v_cvt_f32_i32_e32 v35, v35
	;; [unrolled: 1-line block ×4, first 2 shown]
	v_fma_mix_f32 v33, v63, v35, v33 op_sel_hi:[1,0,0]
	v_dot4_i32_i8 v35, v41, v62, 0
	v_cvt_f32_i32_e32 v35, v35
	v_fma_mix_f32 v34, v63, v35, v34 op_sel_hi:[1,0,0]
	v_dot4_i32_i8 v35, v42, v52, 0
	v_mul_lo_u32 v35, v43, v35
	v_cvt_f32_i32_e32 v35, v35
	s_waitcnt vmcnt(0)
	v_fma_mix_f32 v33, v53, v35, v33 op_sel_hi:[1,0,0]
	v_dot4_i32_i8 v35, v44, v52, 0
	v_cvt_f32_i32_e32 v35, v35
	v_fma_mix_f32 v34, v53, v35, v34 op_sel_hi:[1,0,0]
	v_mul_f32_e32 v34, v34, v45
	v_fma_mix_f32 v32, v33, v32, -v34 op_sel_hi:[0,1,0]
	v_add_f32_e32 v10, v10, v32
	v_dot4_i32_i8 v32, v49, v58, 0
	v_mul_lo_u32 v32, v50, v32
	v_dot4_i32_i8 v34, v47, v60, 0
	v_mul_lo_u32 v34, v48, v34
	v_dot4_i32_i8 v33, v51, v58, 0
	v_cvt_f32_i32_e32 v32, v32
	v_cvt_f32_i32_e32 v33, v33
	;; [unrolled: 1-line block ×3, first 2 shown]
	v_fma_mix_f32 v32, v59, v32, 0 op_sel_hi:[1,0,0]
	v_fma_mix_f32 v33, v59, v33, 0 op_sel_hi:[1,0,0]
	;; [unrolled: 1-line block ×3, first 2 shown]
	v_dot4_i32_i8 v34, v46, v60, 0
	v_cvt_f32_i32_e32 v34, v34
	v_fma_mix_f32 v30, v63, v30, v32 op_sel_hi:[1,0,0]
	v_fma_mix_f32 v27, v53, v27, v30 op_sel_hi:[1,0,0]
	v_fma_mix_f32 v33, v61, v34, v33 op_sel_hi:[1,0,0]
	v_fma_mix_f32 v29, v63, v29, v33 op_sel_hi:[1,0,0]
	v_fma_mix_f32 v25, v53, v25, v29 op_sel_hi:[1,0,0]
	v_mul_f32_e32 v25, v25, v26
	v_fma_mix_f32 v24, v27, v24, -v25 op_sel_hi:[0,1,0]
	v_add_f32_e32 v9, v9, v24
	s_andn2_b64 exec, exec, s[0:1]
	s_cbranch_execnz .LBB103_2
; %bb.3:
	s_or_b64 exec, exec, s[0:1]
.LBB103_4:
	s_or_b64 exec, exec, s[10:11]
	v_cmp_eq_u32_e32 vcc, 0, v1
	v_cmp_ne_u32_e64 s[0:1], 0, v1
	v_lshlrev_b32_e32 v2, 2, v0
	s_and_saveexec_b64 s[10:11], s[0:1]
	s_cbranch_execz .LBB103_6
; %bb.5:
	v_lshl_or_b32 v1, v1, 11, v2
	v_add_u32_e32 v1, 0xfffff800, v1
	ds_write2st64_b32 v1, v16, v15 offset1:1
	ds_write2st64_b32 v1, v14, v13 offset0:2 offset1:3
	ds_write2st64_b32 v1, v12, v11 offset0:4 offset1:5
	;; [unrolled: 1-line block ×3, first 2 shown]
.LBB103_6:
	s_or_b64 exec, exec, s[10:11]
	s_waitcnt lgkmcnt(0)
	s_barrier
	s_and_saveexec_b64 s[0:1], vcc
	s_cbranch_execz .LBB103_15
; %bb.7:
	v_mbcnt_lo_u32_b32 v1, -1, 0
	v_mbcnt_hi_u32_b32 v7, -1, v1
	ds_read2st64_b32 v[5:6], v2 offset1:1
	v_and_b32_e32 v1, 64, v7
	v_add_u32_e32 v8, 64, v1
	v_xor_b32_e32 v1, 32, v7
	v_cmp_lt_i32_e32 vcc, v1, v8
	v_cndmask_b32_e32 v1, v7, v1, vcc
	v_lshlrev_b32_e32 v1, 2, v1
	s_waitcnt lgkmcnt(0)
	v_add_f32_e32 v16, v5, v16
	v_add_f32_e32 v6, v6, v15
	ds_bpermute_b32 v18, v1, v16
	ds_bpermute_b32 v15, v1, v6
	v_xor_b32_e32 v3, 16, v7
	v_cmp_lt_i32_e32 vcc, v3, v8
	v_cndmask_b32_e32 v3, v7, v3, vcc
	v_lshlrev_b32_e32 v3, 2, v3
	s_waitcnt lgkmcnt(1)
	v_add_f32_e32 v16, v16, v18
	s_waitcnt lgkmcnt(0)
	v_add_f32_e32 v6, v6, v15
	ds_bpermute_b32 v18, v3, v16
	ds_bpermute_b32 v15, v3, v6
	v_xor_b32_e32 v4, 8, v7
	v_cmp_lt_i32_e32 vcc, v4, v8
	v_cndmask_b32_e32 v4, v7, v4, vcc
	v_lshlrev_b32_e32 v4, 2, v4
	s_waitcnt lgkmcnt(1)
	v_add_f32_e32 v16, v16, v18
	s_waitcnt lgkmcnt(0)
	;; [unrolled: 10-line block ×3, first 2 shown]
	v_add_f32_e32 v15, v15, v19
	v_xor_b32_e32 v17, 2, v7
	ds_bpermute_b32 v18, v5, v16
	ds_bpermute_b32 v19, v5, v15
	v_cmp_lt_i32_e32 vcc, v17, v8
	v_cndmask_b32_e32 v17, v7, v17, vcc
	v_lshlrev_b32_e32 v6, 2, v17
	v_xor_b32_e32 v17, 1, v7
	v_cmp_lt_i32_e32 vcc, v17, v8
	v_cndmask_b32_e32 v7, v7, v17, vcc
	s_waitcnt lgkmcnt(1)
	v_add_f32_e32 v8, v16, v18
	s_waitcnt lgkmcnt(0)
	v_add_f32_e32 v17, v15, v19
	ds_bpermute_b32 v16, v6, v8
	ds_bpermute_b32 v18, v6, v17
	s_load_dwordx2 s[0:1], s[4:5], 0x38
	s_mul_i32 s4, s14, s7
	v_lshlrev_b32_e32 v15, 2, v7
	s_waitcnt lgkmcnt(0)
	v_add_f32_e32 v7, v8, v16
	v_add_f32_e32 v16, v17, v18
	s_mul_i32 s3, s18, s8
	s_add_i32 s4, s4, s6
	ds_bpermute_b32 v8, v15, v7
	ds_bpermute_b32 v17, v15, v16
	s_add_i32 s4, s4, s3
	s_mov_b32 s5, 0
	s_lshl_b64 s[4:5], s[4:5], 2
	s_add_u32 s4, s0, s4
	v_add_u32_e32 v18, s6, v0
	s_addc_u32 s5, s1, s5
	v_cmp_gt_u32_e32 vcc, 2, v0
	v_cmp_gt_u32_e64 s[0:1], s2, v18
	s_and_b64 s[0:1], vcc, s[0:1]
	s_waitcnt lgkmcnt(1)
	v_add_f32_e32 v7, v7, v8
	s_waitcnt lgkmcnt(0)
	v_add_f32_e32 v8, v16, v17
	s_and_saveexec_b64 s[6:7], s[0:1]
	s_cbranch_execz .LBB103_9
; %bb.8:
	v_cmp_eq_u32_e32 vcc, 1, v0
	v_cndmask_b32_e32 v16, v7, v8, vcc
	v_cmp_eq_u32_e32 vcc, 2, v0
	v_cndmask_b32_e32 v16, v16, v14, vcc
	;; [unrolled: 2-line block ×7, first 2 shown]
	global_store_dword v2, v16, s[4:5]
.LBB103_9:
	s_or_b64 exec, exec, s[6:7]
	ds_read2st64_b32 v[16:17], v2 offset0:2 offset1:3
	s_waitcnt lgkmcnt(0)
	v_add_f32_e32 v14, v16, v14
	v_add_f32_e32 v13, v17, v13
	ds_bpermute_b32 v16, v1, v14
	ds_bpermute_b32 v17, v1, v13
	s_waitcnt lgkmcnt(1)
	v_add_f32_e32 v14, v14, v16
	s_waitcnt lgkmcnt(0)
	v_add_f32_e32 v13, v13, v17
	ds_bpermute_b32 v16, v3, v14
	ds_bpermute_b32 v17, v3, v13
	s_waitcnt lgkmcnt(1)
	v_add_f32_e32 v14, v14, v16
	s_waitcnt lgkmcnt(0)
	;; [unrolled: 6-line block ×6, first 2 shown]
	v_add_f32_e32 v13, v13, v17
	s_and_saveexec_b64 s[6:7], s[0:1]
	s_cbranch_execz .LBB103_11
; %bb.10:
	v_add_u32_e32 v16, 2, v0
	v_cmp_eq_u32_e32 vcc, 1, v16
	v_cndmask_b32_e32 v17, v7, v8, vcc
	v_cmp_eq_u32_e32 vcc, 2, v16
	v_cndmask_b32_e32 v17, v17, v14, vcc
	;; [unrolled: 2-line block ×7, first 2 shown]
	v_add_u32_e32 v16, s2, v0
	v_mov_b32_e32 v17, 0
	v_lshlrev_b64 v[16:17], 2, v[16:17]
	v_mov_b32_e32 v19, s5
	v_add_co_u32_e32 v16, vcc, s4, v16
	v_addc_co_u32_e32 v17, vcc, v19, v17, vcc
	global_store_dword v[16:17], v18, off
.LBB103_11:
	s_or_b64 exec, exec, s[6:7]
	ds_read2st64_b32 v[16:17], v2 offset0:4 offset1:5
	s_waitcnt lgkmcnt(0)
	v_add_f32_e32 v12, v16, v12
	v_add_f32_e32 v11, v17, v11
	ds_bpermute_b32 v16, v1, v12
	ds_bpermute_b32 v17, v1, v11
	s_waitcnt lgkmcnt(1)
	v_add_f32_e32 v12, v12, v16
	s_waitcnt lgkmcnt(0)
	v_add_f32_e32 v11, v11, v17
	ds_bpermute_b32 v16, v3, v12
	ds_bpermute_b32 v17, v3, v11
	s_waitcnt lgkmcnt(1)
	v_add_f32_e32 v12, v12, v16
	s_waitcnt lgkmcnt(0)
	;; [unrolled: 6-line block ×6, first 2 shown]
	v_add_f32_e32 v11, v11, v17
	s_and_saveexec_b64 s[6:7], s[0:1]
	s_cbranch_execz .LBB103_13
; %bb.12:
	v_add_u32_e32 v16, 4, v0
	v_cmp_eq_u32_e32 vcc, 1, v16
	v_cndmask_b32_e32 v17, v7, v8, vcc
	v_cmp_eq_u32_e32 vcc, 2, v16
	v_cndmask_b32_e32 v17, v17, v14, vcc
	;; [unrolled: 2-line block ×7, first 2 shown]
	v_lshl_or_b32 v16, s2, 1, v0
	v_mov_b32_e32 v17, 0
	v_lshlrev_b64 v[16:17], 2, v[16:17]
	v_mov_b32_e32 v19, s5
	v_add_co_u32_e32 v16, vcc, s4, v16
	v_addc_co_u32_e32 v17, vcc, v19, v17, vcc
	global_store_dword v[16:17], v18, off
.LBB103_13:
	s_or_b64 exec, exec, s[6:7]
	ds_read2st64_b32 v[16:17], v2 offset0:6 offset1:7
	s_waitcnt lgkmcnt(0)
	v_add_f32_e32 v2, v16, v10
	v_add_f32_e32 v9, v17, v9
	ds_bpermute_b32 v10, v1, v2
	ds_bpermute_b32 v1, v1, v9
	s_waitcnt lgkmcnt(1)
	v_add_f32_e32 v2, v2, v10
	s_waitcnt lgkmcnt(0)
	v_add_f32_e32 v1, v9, v1
	ds_bpermute_b32 v9, v3, v2
	ds_bpermute_b32 v3, v3, v1
	s_waitcnt lgkmcnt(1)
	v_add_f32_e32 v2, v2, v9
	s_waitcnt lgkmcnt(0)
	v_add_f32_e32 v1, v1, v3
	ds_bpermute_b32 v3, v4, v2
	ds_bpermute_b32 v4, v4, v1
	s_waitcnt lgkmcnt(1)
	v_add_f32_e32 v2, v2, v3
	s_waitcnt lgkmcnt(0)
	v_add_f32_e32 v1, v1, v4
	ds_bpermute_b32 v3, v5, v2
	ds_bpermute_b32 v4, v5, v1
	s_waitcnt lgkmcnt(1)
	v_add_f32_e32 v2, v2, v3
	s_waitcnt lgkmcnt(0)
	v_add_f32_e32 v3, v1, v4
	ds_bpermute_b32 v1, v6, v2
	ds_bpermute_b32 v4, v6, v3
	s_waitcnt lgkmcnt(1)
	v_add_f32_e32 v1, v2, v1
	s_waitcnt lgkmcnt(0)
	v_add_f32_e32 v2, v3, v4
	ds_bpermute_b32 v3, v15, v1
	ds_bpermute_b32 v4, v15, v2
	s_and_b64 exec, exec, s[0:1]
	s_cbranch_execz .LBB103_15
; %bb.14:
	s_waitcnt lgkmcnt(1)
	v_add_f32_e32 v1, v1, v3
	v_add_u32_e32 v3, 6, v0
	v_cmp_eq_u32_e32 vcc, 1, v3
	s_waitcnt lgkmcnt(0)
	v_add_f32_e32 v2, v2, v4
	v_cndmask_b32_e32 v4, v7, v8, vcc
	v_cmp_eq_u32_e32 vcc, 2, v3
	v_cndmask_b32_e32 v4, v4, v14, vcc
	v_cmp_eq_u32_e32 vcc, 3, v3
	;; [unrolled: 2-line block ×5, first 2 shown]
	v_cndmask_b32_e32 v4, v4, v1, vcc
	v_mad_u64_u32 v[0:1], s[0:1], s2, 3, v[0:1]
	v_mov_b32_e32 v1, 0
	v_cmp_eq_u32_e32 vcc, 7, v3
	v_lshlrev_b64 v[0:1], 2, v[0:1]
	v_cndmask_b32_e32 v2, v4, v2, vcc
	v_mov_b32_e32 v3, s5
	v_add_co_u32_e32 v0, vcc, s4, v0
	v_addc_co_u32_e32 v1, vcc, v3, v1, vcc
	global_store_dword v[0:1], v2, off
.LBB103_15:
	s_endpgm
	.section	.rodata,"a",@progbits
	.p2align	6, 0x0
	.amdhsa_kernel _ZL13mul_mat_vec_qIL9ggml_type10ELi4ELb0ELb0EEvPKvS2_PKi31ggml_cuda_mm_fusion_args_devicePfj15HIP_vector_typeIjLj3EEjjjS8_jjjS8_jjjj
		.amdhsa_group_segment_fixed_size 2048
		.amdhsa_private_segment_fixed_size 0
		.amdhsa_kernarg_size 144
		.amdhsa_user_sgpr_count 6
		.amdhsa_user_sgpr_private_segment_buffer 1
		.amdhsa_user_sgpr_dispatch_ptr 0
		.amdhsa_user_sgpr_queue_ptr 0
		.amdhsa_user_sgpr_kernarg_segment_ptr 1
		.amdhsa_user_sgpr_dispatch_id 0
		.amdhsa_user_sgpr_flat_scratch_init 0
		.amdhsa_user_sgpr_private_segment_size 0
		.amdhsa_uses_dynamic_stack 0
		.amdhsa_system_sgpr_private_segment_wavefront_offset 0
		.amdhsa_system_sgpr_workgroup_id_x 1
		.amdhsa_system_sgpr_workgroup_id_y 1
		.amdhsa_system_sgpr_workgroup_id_z 1
		.amdhsa_system_sgpr_workgroup_info 0
		.amdhsa_system_vgpr_workitem_id 1
		.amdhsa_next_free_vgpr 64
		.amdhsa_next_free_sgpr 61
		.amdhsa_reserve_vcc 1
		.amdhsa_reserve_flat_scratch 0
		.amdhsa_float_round_mode_32 0
		.amdhsa_float_round_mode_16_64 0
		.amdhsa_float_denorm_mode_32 3
		.amdhsa_float_denorm_mode_16_64 3
		.amdhsa_dx10_clamp 1
		.amdhsa_ieee_mode 1
		.amdhsa_fp16_overflow 0
		.amdhsa_exception_fp_ieee_invalid_op 0
		.amdhsa_exception_fp_denorm_src 0
		.amdhsa_exception_fp_ieee_div_zero 0
		.amdhsa_exception_fp_ieee_overflow 0
		.amdhsa_exception_fp_ieee_underflow 0
		.amdhsa_exception_fp_ieee_inexact 0
		.amdhsa_exception_int_div_zero 0
	.end_amdhsa_kernel
	.section	.text._ZL13mul_mat_vec_qIL9ggml_type10ELi4ELb0ELb0EEvPKvS2_PKi31ggml_cuda_mm_fusion_args_devicePfj15HIP_vector_typeIjLj3EEjjjS8_jjjS8_jjjj,"axG",@progbits,_ZL13mul_mat_vec_qIL9ggml_type10ELi4ELb0ELb0EEvPKvS2_PKi31ggml_cuda_mm_fusion_args_devicePfj15HIP_vector_typeIjLj3EEjjjS8_jjjS8_jjjj,comdat
.Lfunc_end103:
	.size	_ZL13mul_mat_vec_qIL9ggml_type10ELi4ELb0ELb0EEvPKvS2_PKi31ggml_cuda_mm_fusion_args_devicePfj15HIP_vector_typeIjLj3EEjjjS8_jjjS8_jjjj, .Lfunc_end103-_ZL13mul_mat_vec_qIL9ggml_type10ELi4ELb0ELb0EEvPKvS2_PKi31ggml_cuda_mm_fusion_args_devicePfj15HIP_vector_typeIjLj3EEjjjS8_jjjS8_jjjj
                                        ; -- End function
	.set _ZL13mul_mat_vec_qIL9ggml_type10ELi4ELb0ELb0EEvPKvS2_PKi31ggml_cuda_mm_fusion_args_devicePfj15HIP_vector_typeIjLj3EEjjjS8_jjjS8_jjjj.num_vgpr, 64
	.set _ZL13mul_mat_vec_qIL9ggml_type10ELi4ELb0ELb0EEvPKvS2_PKi31ggml_cuda_mm_fusion_args_devicePfj15HIP_vector_typeIjLj3EEjjjS8_jjjS8_jjjj.num_agpr, 0
	.set _ZL13mul_mat_vec_qIL9ggml_type10ELi4ELb0ELb0EEvPKvS2_PKi31ggml_cuda_mm_fusion_args_devicePfj15HIP_vector_typeIjLj3EEjjjS8_jjjS8_jjjj.numbered_sgpr, 26
	.set _ZL13mul_mat_vec_qIL9ggml_type10ELi4ELb0ELb0EEvPKvS2_PKi31ggml_cuda_mm_fusion_args_devicePfj15HIP_vector_typeIjLj3EEjjjS8_jjjS8_jjjj.num_named_barrier, 0
	.set _ZL13mul_mat_vec_qIL9ggml_type10ELi4ELb0ELb0EEvPKvS2_PKi31ggml_cuda_mm_fusion_args_devicePfj15HIP_vector_typeIjLj3EEjjjS8_jjjS8_jjjj.private_seg_size, 0
	.set _ZL13mul_mat_vec_qIL9ggml_type10ELi4ELb0ELb0EEvPKvS2_PKi31ggml_cuda_mm_fusion_args_devicePfj15HIP_vector_typeIjLj3EEjjjS8_jjjS8_jjjj.uses_vcc, 1
	.set _ZL13mul_mat_vec_qIL9ggml_type10ELi4ELb0ELb0EEvPKvS2_PKi31ggml_cuda_mm_fusion_args_devicePfj15HIP_vector_typeIjLj3EEjjjS8_jjjS8_jjjj.uses_flat_scratch, 0
	.set _ZL13mul_mat_vec_qIL9ggml_type10ELi4ELb0ELb0EEvPKvS2_PKi31ggml_cuda_mm_fusion_args_devicePfj15HIP_vector_typeIjLj3EEjjjS8_jjjS8_jjjj.has_dyn_sized_stack, 0
	.set _ZL13mul_mat_vec_qIL9ggml_type10ELi4ELb0ELb0EEvPKvS2_PKi31ggml_cuda_mm_fusion_args_devicePfj15HIP_vector_typeIjLj3EEjjjS8_jjjS8_jjjj.has_recursion, 0
	.set _ZL13mul_mat_vec_qIL9ggml_type10ELi4ELb0ELb0EEvPKvS2_PKi31ggml_cuda_mm_fusion_args_devicePfj15HIP_vector_typeIjLj3EEjjjS8_jjjS8_jjjj.has_indirect_call, 0
	.section	.AMDGPU.csdata,"",@progbits
; Kernel info:
; codeLenInByte = 4456
; TotalNumSgprs: 30
; NumVgprs: 64
; ScratchSize: 0
; MemoryBound: 0
; FloatMode: 240
; IeeeMode: 1
; LDSByteSize: 2048 bytes/workgroup (compile time only)
; SGPRBlocks: 8
; VGPRBlocks: 15
; NumSGPRsForWavesPerEU: 65
; NumVGPRsForWavesPerEU: 64
; Occupancy: 4
; WaveLimiterHint : 0
; COMPUTE_PGM_RSRC2:SCRATCH_EN: 0
; COMPUTE_PGM_RSRC2:USER_SGPR: 6
; COMPUTE_PGM_RSRC2:TRAP_HANDLER: 0
; COMPUTE_PGM_RSRC2:TGID_X_EN: 1
; COMPUTE_PGM_RSRC2:TGID_Y_EN: 1
; COMPUTE_PGM_RSRC2:TGID_Z_EN: 1
; COMPUTE_PGM_RSRC2:TIDIG_COMP_CNT: 1
	.section	.text._ZL13mul_mat_vec_qIL9ggml_type10ELi5ELb0ELb0EEvPKvS2_PKi31ggml_cuda_mm_fusion_args_devicePfj15HIP_vector_typeIjLj3EEjjjS8_jjjS8_jjjj,"axG",@progbits,_ZL13mul_mat_vec_qIL9ggml_type10ELi5ELb0ELb0EEvPKvS2_PKi31ggml_cuda_mm_fusion_args_devicePfj15HIP_vector_typeIjLj3EEjjjS8_jjjS8_jjjj,comdat
	.globl	_ZL13mul_mat_vec_qIL9ggml_type10ELi5ELb0ELb0EEvPKvS2_PKi31ggml_cuda_mm_fusion_args_devicePfj15HIP_vector_typeIjLj3EEjjjS8_jjjS8_jjjj ; -- Begin function _ZL13mul_mat_vec_qIL9ggml_type10ELi5ELb0ELb0EEvPKvS2_PKi31ggml_cuda_mm_fusion_args_devicePfj15HIP_vector_typeIjLj3EEjjjS8_jjjS8_jjjj
	.p2align	8
	.type	_ZL13mul_mat_vec_qIL9ggml_type10ELi5ELb0ELb0EEvPKvS2_PKi31ggml_cuda_mm_fusion_args_devicePfj15HIP_vector_typeIjLj3EEjjjS8_jjjS8_jjjj,@function
_ZL13mul_mat_vec_qIL9ggml_type10ELi5ELb0ELb0EEvPKvS2_PKi31ggml_cuda_mm_fusion_args_devicePfj15HIP_vector_typeIjLj3EEjjjS8_jjjS8_jjjj: ; @_ZL13mul_mat_vec_qIL9ggml_type10ELi5ELb0ELb0EEvPKvS2_PKi31ggml_cuda_mm_fusion_args_devicePfj15HIP_vector_typeIjLj3EEjjjS8_jjjS8_jjjj
; %bb.0:
	s_load_dword s9, s[4:5], 0x40
	s_load_dwordx4 s[0:3], s[4:5], 0x50
	s_load_dword s25, s[4:5], 0x60
	s_load_dwordx4 s[12:15], s[4:5], 0x68
	s_load_dword s24, s[4:5], 0x78
	s_load_dwordx4 s[16:19], s[4:5], 0x80
	v_lshl_or_b32 v2, v1, 6, v0
	s_waitcnt lgkmcnt(0)
	s_lshr_b32 s9, s9, 8
	v_lshrrev_b32_e32 v16, 4, v2
	v_mov_b32_e32 v6, 0
	s_lshl_b32 s6, s6, 1
	v_cmp_gt_u32_e32 vcc, s9, v16
	v_mov_b32_e32 v7, v6
	v_mov_b32_e32 v8, v6
	;; [unrolled: 1-line block ×9, first 2 shown]
	s_and_saveexec_b64 s[10:11], vcc
	s_cbranch_execz .LBB104_4
; %bb.1:
	s_mul_hi_u32 s3, s3, s7
	s_add_i32 s3, s7, s3
	s_lshr_b32 s3, s3, s25
	s_load_dwordx4 s[20:23], s[4:5], 0x0
	s_mul_i32 s3, s3, s12
	s_mul_hi_u32 s12, s15, s8
	s_add_i32 s12, s8, s12
	s_lshr_b32 s12, s12, s24
	s_mul_i32 s15, s12, s16
	s_mul_i32 s12, s17, s8
	s_mul_hi_u32 s16, s12, 36
	s_mul_i32 s12, s12, 36
	s_waitcnt lgkmcnt(0)
	s_add_u32 s12, s22, s12
	s_mul_i32 s13, s13, s7
	s_addc_u32 s16, s23, s16
	s_mul_hi_u32 s17, s13, 36
	s_mul_i32 s13, s13, 36
	s_add_u32 s12, s12, s13
	v_lshrrev_b32_e32 v2, 1, v0
	s_addc_u32 s13, s16, s17
	v_and_b32_e32 v2, 4, v2
	v_mad_u64_u32 v[2:3], s[16:17], v2, 36, s[12:13]
	v_bfe_u32 v4, v0, 2, 1
	s_add_i32 s16, s6, 1
	s_add_i32 s15, s15, s3
	v_and_or_b32 v17, v0, 8, v4
	s_mul_i32 s3, s6, s0
	s_mul_i32 s0, s0, s16
	v_bfe_u32 v4, v0, 3, 1
	s_add_i32 s3, s15, s3
	s_add_i32 s0, s15, s0
	v_mul_hi_u32_u24_e32 v5, 0x90, v4
	v_mul_u32_u24_e32 v4, 0x90, v4
	s_movk_i32 s15, 0x120
	v_mad_u64_u32 v[4:5], s[16:17], v16, s15, v[4:5]
	v_and_b32_e32 v7, 15, v0
	v_mov_b32_e32 v6, 0
	v_and_b32_e32 v8, 7, v0
	v_mov_b32_e32 v9, s13
	v_add_co_u32_e32 v4, vcc, s12, v4
	v_lshlrev_b32_e32 v18, 2, v8
	v_addc_co_u32_e32 v5, vcc, v9, v5, vcc
	v_lshlrev_b32_e32 v19, 3, v16
	s_lshl_b32 s15, s1, 2
	s_lshl_b32 s16, s1, 1
	s_mul_i32 s17, s1, 3
	s_mov_b64 s[12:13], 0
	s_movk_i32 s19, 0x54
	v_lshlrev_b32_e32 v20, 2, v7
	s_mov_b32 s22, 0x1010101
	v_lshlrev_b32_e32 v21, 2, v8
	v_mov_b32_e32 v7, v6
	v_mov_b32_e32 v8, v6
	;; [unrolled: 1-line block ×9, first 2 shown]
.LBB104_2:                              ; =>This Inner Loop Header: Depth=1
	v_add_co_u32_e32 v22, vcc, v4, v18
	v_addc_co_u32_e32 v23, vcc, 0, v5, vcc
	global_load_dword v28, v[22:23], off offset:4
	global_load_dword v29, v[4:5], off
	global_load_dword v50, v[22:23], off offset:40
	global_load_dword v51, v[4:5], off offset:36
	;; [unrolled: 1-line block ×6, first 2 shown]
	v_mov_b32_e32 v23, s21
	v_add_u32_e32 v24, s3, v16
	v_mov_b32_e32 v22, s20
	v_mad_i64_i32 v[24:25], s[24:25], v24, s19, v[22:23]
	v_add_co_u32_e32 v26, vcc, v24, v20
	v_addc_co_u32_e32 v27, vcc, 0, v25, vcc
	global_load_dword v40, v[26:27], off offset:16
	v_add_co_u32_e32 v26, vcc, v24, v17
	v_addc_co_u32_e32 v27, vcc, 0, v25, vcc
	global_load_dword v30, v[24:25], off offset:80
	global_load_ubyte v33, v[26:27], off
	global_load_ubyte v36, v[26:27], off offset:2
	global_load_ubyte v39, v[26:27], off offset:4
	s_waitcnt vmcnt(4)
	v_and_b32_e32 v31, 0x3030303, v40
	global_load_ubyte v26, v[26:27], off offset:6
	v_lshrrev_b32_e32 v34, 2, v40
	v_dot4_i32_i8 v24, v31, v28, 0
	v_and_b32_e32 v34, 0x3030303, v34
	s_waitcnt vmcnt(3)
	v_and_b32_e32 v32, 15, v33
	v_mul_lo_u32 v24, v32, v24
	v_dot4_i32_i8 v37, v34, v50, 0
	s_waitcnt vmcnt(2)
	v_and_b32_e32 v35, 15, v36
	v_mul_lo_u32 v37, v35, v37
	v_lshrrev_b32_e32 v25, 4, v33
	v_cvt_f32_i32_e32 v24, v24
	v_mul_lo_u32 v33, v25, s22
	v_lshrrev_b32_e32 v36, 4, v36
	v_cvt_f32_i32_e32 v37, v37
	v_mul_lo_u32 v36, v36, s22
	v_fma_mix_f32 v24, v29, v24, 0 op_sel_hi:[1,0,0]
	v_dot4_i32_i8 v25, v33, v28, 0
	v_cvt_f32_i32_e32 v25, v25
	v_fma_mix_f32 v24, v51, v37, v24 op_sel_hi:[1,0,0]
	v_dot4_i32_i8 v37, v36, v50, 0
	v_cvt_f32_i32_e32 v37, v37
	v_fma_mix_f32 v25, v29, v25, 0 op_sel_hi:[1,0,0]
	s_waitcnt vmcnt(1)
	v_and_b32_e32 v38, 15, v39
	v_lshrrev_b32_e32 v39, 4, v39
	v_fma_mix_f32 v25, v51, v37, v25 op_sel_hi:[1,0,0]
	v_lshrrev_b32_e32 v37, 4, v40
	v_and_b32_e32 v37, 0x3030303, v37
	v_dot4_i32_i8 v41, v37, v52, 0
	v_mul_lo_u32 v41, v38, v41
	v_mul_lo_u32 v39, v39, s22
	v_lshrrev_b32_e32 v27, 6, v40
	v_and_b32_e32 v40, 0x3030303, v27
	v_cvt_f32_i32_e32 v41, v41
	v_dot4_i32_i8 v27, v40, v54, 0
	v_cvt_f32_f16_sdwa v43, v30 dst_sel:DWORD dst_unused:UNUSED_PAD src0_sel:WORD_1
	v_fma_mix_f32 v24, v53, v41, v24 op_sel_hi:[1,0,0]
	v_dot4_i32_i8 v41, v39, v52, 0
	v_cvt_f32_i32_e32 v41, v41
	v_fma_mix_f32 v25, v53, v41, v25 op_sel_hi:[1,0,0]
	s_waitcnt vmcnt(0)
	v_and_b32_e32 v41, 15, v26
	v_lshrrev_b32_e32 v26, 4, v26
	v_mul_lo_u32 v42, v26, s22
	v_mul_lo_u32 v27, v41, v27
	v_dot4_i32_i8 v26, v42, v54, 0
	v_cvt_f32_i32_e32 v26, v26
	v_cvt_f32_i32_e32 v27, v27
	v_fma_mix_f32 v25, v55, v26, v25 op_sel_hi:[1,0,0]
	v_fma_mix_f32 v24, v55, v27, v24 op_sel_hi:[1,0,0]
	v_mul_f32_e32 v25, v25, v43
	v_fma_mix_f32 v24, v24, v30, -v25 op_sel_hi:[0,1,0]
	v_add_f32_e32 v15, v15, v24
	v_add_u32_e32 v24, s0, v16
	v_mad_i64_i32 v[23:24], s[24:25], v24, s19, v[22:23]
	v_add_u32_e32 v16, 4, v16
	v_add_co_u32_e32 v25, vcc, v23, v20
	v_addc_co_u32_e32 v26, vcc, 0, v24, vcc
	global_load_dword v56, v[25:26], off offset:16
	v_add_co_u32_e32 v25, vcc, v23, v17
	v_addc_co_u32_e32 v26, vcc, 0, v24, vcc
	global_load_dword v22, v[23:24], off offset:80
	global_load_ubyte v27, v[25:26], off
	s_waitcnt vmcnt(2)
	v_and_b32_e32 v47, 0x3030303, v56
	v_dot4_i32_i8 v23, v47, v28, 0
	s_waitcnt vmcnt(0)
	v_and_b32_e32 v48, 15, v27
	v_lshrrev_b32_e32 v24, 4, v27
	global_load_ubyte v27, v[25:26], off offset:2
	v_mul_lo_u32 v49, v24, s22
	v_mul_lo_u32 v23, v48, v23
	v_dot4_i32_i8 v24, v49, v28, 0
	v_cvt_f32_i32_e32 v24, v24
	v_lshrrev_b32_e32 v28, 2, v56
	v_and_b32_e32 v45, 0x3030303, v28
	v_dot4_i32_i8 v28, v45, v50, 0
	v_fma_mix_f32 v24, v29, v24, 0 op_sel_hi:[1,0,0]
	v_cvt_f32_i32_e32 v23, v23
	v_fma_mix_f32 v23, v29, v23, 0 op_sel_hi:[1,0,0]
	s_waitcnt vmcnt(0)
	v_and_b32_e32 v46, 15, v27
	v_lshrrev_b32_e32 v27, 4, v27
	v_mul_lo_u32 v44, v27, s22
	v_mul_lo_u32 v28, v46, v28
	v_dot4_i32_i8 v27, v44, v50, 0
	v_cvt_f32_i32_e32 v27, v27
	v_cvt_f32_i32_e32 v28, v28
	v_fma_mix_f32 v24, v51, v27, v24 op_sel_hi:[1,0,0]
	global_load_ubyte v27, v[25:26], off offset:4
	v_fma_mix_f32 v23, v51, v28, v23 op_sel_hi:[1,0,0]
	global_load_ubyte v25, v[25:26], off offset:6
	v_lshrrev_b32_e32 v28, 4, v56
	v_and_b32_e32 v28, 0x3030303, v28
	v_dot4_i32_i8 v50, v28, v52, 0
	s_waitcnt vmcnt(1)
	v_and_b32_e32 v29, 15, v27
	v_mul_lo_u32 v50, v29, v50
	v_cvt_f32_i32_e32 v50, v50
	v_fma_mix_f32 v50, v53, v50, v23 op_sel_hi:[1,0,0]
	v_lshrrev_b32_e32 v23, 4, v27
	v_mul_lo_u32 v27, v23, s22
	v_dot4_i32_i8 v23, v27, v52, 0
	v_cvt_f32_i32_e32 v23, v23
	v_fma_mix_f32 v51, v53, v23, v24 op_sel_hi:[1,0,0]
	v_lshrrev_b32_e32 v23, 6, v56
	v_and_b32_e32 v24, 0x3030303, v23
	v_dot4_i32_i8 v26, v24, v54, 0
	s_waitcnt vmcnt(0)
	v_and_b32_e32 v23, 15, v25
	v_mul_lo_u32 v26, v23, v26
	v_lshrrev_b32_e32 v25, 4, v25
	v_mul_lo_u32 v25, v25, s22
	v_cvt_f32_i32_e32 v26, v26
	v_fma_mix_f32 v50, v55, v26, v50 op_sel_hi:[1,0,0]
	v_dot4_i32_i8 v26, v25, v54, 0
	v_cvt_f32_i32_e32 v26, v26
	v_fma_mix_f32 v51, v55, v26, v51 op_sel_hi:[1,0,0]
	v_cvt_f32_f16_sdwa v26, v22 dst_sel:DWORD dst_unused:UNUSED_PAD src0_sel:WORD_1
	v_mul_f32_e32 v51, v51, v26
	v_fma_mix_f32 v50, v50, v22, -v51 op_sel_hi:[0,1,0]
	v_add_f32_e32 v14, v14, v50
	v_add_u32_e32 v50, s1, v19
	v_mad_u64_u32 v[50:51], s[24:25], v50, 36, v[2:3]
	v_add_co_u32_e32 v52, vcc, v50, v21
	v_addc_co_u32_e32 v53, vcc, 0, v51, vcc
	global_load_dword v54, v[52:53], off offset:4
	global_load_dword v55, v[50:51], off
	global_load_dword v56, v[52:53], off offset:40
	global_load_dword v57, v[50:51], off offset:36
	;; [unrolled: 1-line block ×6, first 2 shown]
	s_waitcnt vmcnt(7)
	v_dot4_i32_i8 v50, v31, v54, 0
	v_mul_lo_u32 v50, v32, v50
	s_waitcnt vmcnt(5)
	v_dot4_i32_i8 v52, v34, v56, 0
	v_mul_lo_u32 v52, v35, v52
	v_dot4_i32_i8 v51, v33, v54, 0
	v_cvt_f32_i32_e32 v50, v50
	v_cvt_f32_i32_e32 v51, v51
	;; [unrolled: 1-line block ×3, first 2 shown]
	v_fma_mix_f32 v50, v55, v50, 0 op_sel_hi:[1,0,0]
	v_fma_mix_f32 v51, v55, v51, 0 op_sel_hi:[1,0,0]
	s_waitcnt vmcnt(4)
	v_fma_mix_f32 v50, v57, v52, v50 op_sel_hi:[1,0,0]
	v_dot4_i32_i8 v52, v36, v56, 0
	v_cvt_f32_i32_e32 v52, v52
	v_fma_mix_f32 v51, v57, v52, v51 op_sel_hi:[1,0,0]
	s_waitcnt vmcnt(3)
	v_dot4_i32_i8 v52, v37, v58, 0
	v_mul_lo_u32 v52, v38, v52
	v_cvt_f32_i32_e32 v52, v52
	s_waitcnt vmcnt(2)
	v_fma_mix_f32 v50, v59, v52, v50 op_sel_hi:[1,0,0]
	v_dot4_i32_i8 v52, v39, v58, 0
	v_cvt_f32_i32_e32 v52, v52
	v_fma_mix_f32 v51, v59, v52, v51 op_sel_hi:[1,0,0]
	s_waitcnt vmcnt(1)
	v_dot4_i32_i8 v52, v40, v60, 0
	v_mul_lo_u32 v52, v41, v52
	v_cvt_f32_i32_e32 v52, v52
	s_waitcnt vmcnt(0)
	v_fma_mix_f32 v50, v61, v52, v50 op_sel_hi:[1,0,0]
	v_dot4_i32_i8 v52, v42, v60, 0
	v_cvt_f32_i32_e32 v52, v52
	v_fma_mix_f32 v51, v61, v52, v51 op_sel_hi:[1,0,0]
	v_mul_f32_e32 v51, v51, v43
	v_fma_mix_f32 v50, v50, v30, -v51 op_sel_hi:[0,1,0]
	v_add_f32_e32 v13, v13, v50
	v_dot4_i32_i8 v50, v47, v54, 0
	v_mul_lo_u32 v50, v48, v50
	v_dot4_i32_i8 v52, v45, v56, 0
	v_mul_lo_u32 v52, v46, v52
	v_dot4_i32_i8 v51, v49, v54, 0
	v_cvt_f32_i32_e32 v50, v50
	v_cvt_f32_i32_e32 v51, v51
	;; [unrolled: 1-line block ×3, first 2 shown]
	v_fma_mix_f32 v50, v55, v50, 0 op_sel_hi:[1,0,0]
	v_fma_mix_f32 v51, v55, v51, 0 op_sel_hi:[1,0,0]
	;; [unrolled: 1-line block ×3, first 2 shown]
	v_dot4_i32_i8 v52, v44, v56, 0
	v_cvt_f32_i32_e32 v52, v52
	v_fma_mix_f32 v51, v57, v52, v51 op_sel_hi:[1,0,0]
	v_dot4_i32_i8 v52, v28, v58, 0
	v_mul_lo_u32 v52, v29, v52
	v_cvt_f32_i32_e32 v52, v52
	v_fma_mix_f32 v50, v59, v52, v50 op_sel_hi:[1,0,0]
	v_dot4_i32_i8 v52, v27, v58, 0
	v_cvt_f32_i32_e32 v52, v52
	v_fma_mix_f32 v51, v59, v52, v51 op_sel_hi:[1,0,0]
	v_dot4_i32_i8 v52, v24, v60, 0
	v_mul_lo_u32 v52, v23, v52
	v_cvt_f32_i32_e32 v52, v52
	v_fma_mix_f32 v50, v61, v52, v50 op_sel_hi:[1,0,0]
	v_dot4_i32_i8 v52, v25, v60, 0
	v_cvt_f32_i32_e32 v52, v52
	v_fma_mix_f32 v51, v61, v52, v51 op_sel_hi:[1,0,0]
	v_mul_f32_e32 v51, v51, v26
	v_fma_mix_f32 v50, v50, v22, -v51 op_sel_hi:[0,1,0]
	v_add_f32_e32 v12, v12, v50
	v_add_u32_e32 v50, s16, v19
	v_mad_u64_u32 v[50:51], s[24:25], v50, 36, v[2:3]
	v_add_co_u32_e32 v52, vcc, v50, v21
	v_addc_co_u32_e32 v53, vcc, 0, v51, vcc
	global_load_dword v54, v[52:53], off offset:4
	global_load_dword v55, v[50:51], off
	global_load_dword v56, v[52:53], off offset:40
	global_load_dword v57, v[50:51], off offset:36
	;; [unrolled: 1-line block ×6, first 2 shown]
	s_waitcnt vmcnt(7)
	v_dot4_i32_i8 v50, v31, v54, 0
	v_mul_lo_u32 v50, v32, v50
	s_waitcnt vmcnt(5)
	v_dot4_i32_i8 v52, v34, v56, 0
	v_mul_lo_u32 v52, v35, v52
	v_dot4_i32_i8 v51, v33, v54, 0
	v_cvt_f32_i32_e32 v50, v50
	v_cvt_f32_i32_e32 v51, v51
	;; [unrolled: 1-line block ×3, first 2 shown]
	v_fma_mix_f32 v50, v55, v50, 0 op_sel_hi:[1,0,0]
	v_fma_mix_f32 v51, v55, v51, 0 op_sel_hi:[1,0,0]
	s_waitcnt vmcnt(4)
	v_fma_mix_f32 v50, v57, v52, v50 op_sel_hi:[1,0,0]
	v_dot4_i32_i8 v52, v36, v56, 0
	v_cvt_f32_i32_e32 v52, v52
	v_fma_mix_f32 v51, v57, v52, v51 op_sel_hi:[1,0,0]
	s_waitcnt vmcnt(3)
	v_dot4_i32_i8 v52, v37, v58, 0
	v_mul_lo_u32 v52, v38, v52
	v_cvt_f32_i32_e32 v52, v52
	s_waitcnt vmcnt(2)
	v_fma_mix_f32 v50, v59, v52, v50 op_sel_hi:[1,0,0]
	v_dot4_i32_i8 v52, v39, v58, 0
	v_cvt_f32_i32_e32 v52, v52
	v_fma_mix_f32 v51, v59, v52, v51 op_sel_hi:[1,0,0]
	s_waitcnt vmcnt(1)
	v_dot4_i32_i8 v52, v40, v60, 0
	v_mul_lo_u32 v52, v41, v52
	v_cvt_f32_i32_e32 v52, v52
	s_waitcnt vmcnt(0)
	v_fma_mix_f32 v50, v61, v52, v50 op_sel_hi:[1,0,0]
	v_dot4_i32_i8 v52, v42, v60, 0
	v_cvt_f32_i32_e32 v52, v52
	v_fma_mix_f32 v51, v61, v52, v51 op_sel_hi:[1,0,0]
	v_mul_f32_e32 v51, v51, v43
	v_fma_mix_f32 v50, v50, v30, -v51 op_sel_hi:[0,1,0]
	v_add_f32_e32 v11, v11, v50
	v_dot4_i32_i8 v50, v47, v54, 0
	v_mul_lo_u32 v50, v48, v50
	v_dot4_i32_i8 v52, v45, v56, 0
	v_mul_lo_u32 v52, v46, v52
	v_dot4_i32_i8 v51, v49, v54, 0
	v_cvt_f32_i32_e32 v50, v50
	v_cvt_f32_i32_e32 v51, v51
	;; [unrolled: 1-line block ×3, first 2 shown]
	v_fma_mix_f32 v50, v55, v50, 0 op_sel_hi:[1,0,0]
	v_fma_mix_f32 v51, v55, v51, 0 op_sel_hi:[1,0,0]
	;; [unrolled: 1-line block ×3, first 2 shown]
	v_dot4_i32_i8 v52, v44, v56, 0
	v_cvt_f32_i32_e32 v52, v52
	v_fma_mix_f32 v51, v57, v52, v51 op_sel_hi:[1,0,0]
	v_dot4_i32_i8 v52, v28, v58, 0
	v_mul_lo_u32 v52, v29, v52
	v_cvt_f32_i32_e32 v52, v52
	v_fma_mix_f32 v50, v59, v52, v50 op_sel_hi:[1,0,0]
	v_dot4_i32_i8 v52, v27, v58, 0
	v_cvt_f32_i32_e32 v52, v52
	v_fma_mix_f32 v51, v59, v52, v51 op_sel_hi:[1,0,0]
	v_dot4_i32_i8 v52, v24, v60, 0
	v_mul_lo_u32 v52, v23, v52
	v_cvt_f32_i32_e32 v52, v52
	v_fma_mix_f32 v50, v61, v52, v50 op_sel_hi:[1,0,0]
	v_dot4_i32_i8 v52, v25, v60, 0
	v_cvt_f32_i32_e32 v52, v52
	v_fma_mix_f32 v51, v61, v52, v51 op_sel_hi:[1,0,0]
	v_mul_f32_e32 v51, v51, v26
	v_fma_mix_f32 v50, v50, v22, -v51 op_sel_hi:[0,1,0]
	v_add_f32_e32 v10, v10, v50
	v_add_u32_e32 v50, s17, v19
	v_mad_u64_u32 v[50:51], s[24:25], v50, 36, v[2:3]
	v_add_co_u32_e32 v52, vcc, v50, v21
	v_addc_co_u32_e32 v53, vcc, 0, v51, vcc
	global_load_dword v54, v[52:53], off offset:4
	global_load_dword v55, v[50:51], off
	global_load_dword v56, v[52:53], off offset:40
	global_load_dword v57, v[50:51], off offset:36
	;; [unrolled: 1-line block ×6, first 2 shown]
	s_waitcnt vmcnt(7)
	v_dot4_i32_i8 v50, v31, v54, 0
	v_mul_lo_u32 v50, v32, v50
	s_waitcnt vmcnt(5)
	v_dot4_i32_i8 v52, v34, v56, 0
	v_mul_lo_u32 v52, v35, v52
	v_dot4_i32_i8 v51, v33, v54, 0
	v_cvt_f32_i32_e32 v50, v50
	v_cvt_f32_i32_e32 v51, v51
	;; [unrolled: 1-line block ×3, first 2 shown]
	v_fma_mix_f32 v50, v55, v50, 0 op_sel_hi:[1,0,0]
	v_fma_mix_f32 v51, v55, v51, 0 op_sel_hi:[1,0,0]
	s_waitcnt vmcnt(4)
	v_fma_mix_f32 v50, v57, v52, v50 op_sel_hi:[1,0,0]
	v_dot4_i32_i8 v52, v36, v56, 0
	v_cvt_f32_i32_e32 v52, v52
	v_fma_mix_f32 v51, v57, v52, v51 op_sel_hi:[1,0,0]
	s_waitcnt vmcnt(3)
	v_dot4_i32_i8 v52, v37, v58, 0
	v_mul_lo_u32 v52, v38, v52
	v_cvt_f32_i32_e32 v52, v52
	s_waitcnt vmcnt(2)
	v_fma_mix_f32 v50, v59, v52, v50 op_sel_hi:[1,0,0]
	v_dot4_i32_i8 v52, v39, v58, 0
	v_cvt_f32_i32_e32 v52, v52
	v_fma_mix_f32 v51, v59, v52, v51 op_sel_hi:[1,0,0]
	s_waitcnt vmcnt(1)
	v_dot4_i32_i8 v52, v40, v60, 0
	v_mul_lo_u32 v52, v41, v52
	v_cvt_f32_i32_e32 v52, v52
	s_waitcnt vmcnt(0)
	v_fma_mix_f32 v50, v61, v52, v50 op_sel_hi:[1,0,0]
	v_dot4_i32_i8 v52, v42, v60, 0
	v_cvt_f32_i32_e32 v52, v52
	v_fma_mix_f32 v51, v61, v52, v51 op_sel_hi:[1,0,0]
	v_mul_f32_e32 v51, v51, v43
	v_fma_mix_f32 v50, v50, v30, -v51 op_sel_hi:[0,1,0]
	v_add_f32_e32 v9, v9, v50
	v_dot4_i32_i8 v50, v47, v54, 0
	v_mul_lo_u32 v50, v48, v50
	v_dot4_i32_i8 v52, v45, v56, 0
	v_mul_lo_u32 v52, v46, v52
	v_dot4_i32_i8 v51, v49, v54, 0
	v_cvt_f32_i32_e32 v50, v50
	v_cvt_f32_i32_e32 v51, v51
	;; [unrolled: 1-line block ×3, first 2 shown]
	v_fma_mix_f32 v50, v55, v50, 0 op_sel_hi:[1,0,0]
	v_fma_mix_f32 v51, v55, v51, 0 op_sel_hi:[1,0,0]
	;; [unrolled: 1-line block ×3, first 2 shown]
	v_dot4_i32_i8 v52, v44, v56, 0
	v_cvt_f32_i32_e32 v52, v52
	v_fma_mix_f32 v51, v57, v52, v51 op_sel_hi:[1,0,0]
	v_dot4_i32_i8 v52, v28, v58, 0
	v_mul_lo_u32 v52, v29, v52
	v_cvt_f32_i32_e32 v52, v52
	v_fma_mix_f32 v50, v59, v52, v50 op_sel_hi:[1,0,0]
	v_dot4_i32_i8 v52, v27, v58, 0
	v_cvt_f32_i32_e32 v52, v52
	v_fma_mix_f32 v51, v59, v52, v51 op_sel_hi:[1,0,0]
	v_dot4_i32_i8 v52, v24, v60, 0
	v_mul_lo_u32 v52, v23, v52
	v_cvt_f32_i32_e32 v52, v52
	v_fma_mix_f32 v50, v61, v52, v50 op_sel_hi:[1,0,0]
	v_dot4_i32_i8 v52, v25, v60, 0
	v_cvt_f32_i32_e32 v52, v52
	v_fma_mix_f32 v51, v61, v52, v51 op_sel_hi:[1,0,0]
	v_mul_f32_e32 v51, v51, v26
	v_fma_mix_f32 v50, v50, v22, -v51 op_sel_hi:[0,1,0]
	v_add_f32_e32 v8, v8, v50
	v_add_u32_e32 v50, s15, v19
	v_mad_u64_u32 v[52:53], s[24:25], v50, 36, v[2:3]
	v_add_u32_e32 v19, 32, v19
	v_add_co_u32_e32 v54, vcc, v52, v21
	v_addc_co_u32_e32 v55, vcc, 0, v53, vcc
	global_load_dword v56, v[54:55], off offset:4
	global_load_dword v57, v[52:53], off
	global_load_dword v58, v[54:55], off offset:40
	global_load_dword v59, v[52:53], off offset:36
	;; [unrolled: 1-line block ×6, first 2 shown]
	v_add_co_u32_e32 v4, vcc, 0x480, v4
	v_addc_co_u32_e32 v5, vcc, 0, v5, vcc
	v_cmp_le_u32_e32 vcc, s9, v16
	s_or_b64 s[12:13], vcc, s[12:13]
	s_waitcnt vmcnt(7)
	v_dot4_i32_i8 v31, v31, v56, 0
	v_mul_lo_u32 v31, v32, v31
	v_dot4_i32_i8 v32, v33, v56, 0
	s_waitcnt vmcnt(5)
	v_dot4_i32_i8 v33, v34, v58, 0
	v_mul_lo_u32 v33, v35, v33
	v_cvt_f32_i32_e32 v31, v31
	v_cvt_f32_i32_e32 v32, v32
	s_waitcnt vmcnt(3)
	v_dot4_i32_i8 v28, v28, v60, 0
	v_cvt_f32_i32_e32 v33, v33
	v_fma_mix_f32 v31, v57, v31, 0 op_sel_hi:[1,0,0]
	v_fma_mix_f32 v32, v57, v32, 0 op_sel_hi:[1,0,0]
	v_mul_lo_u32 v28, v29, v28
	v_fma_mix_f32 v31, v59, v33, v31 op_sel_hi:[1,0,0]
	v_dot4_i32_i8 v33, v36, v58, 0
	v_cvt_f32_i32_e32 v33, v33
	s_waitcnt vmcnt(1)
	v_dot4_i32_i8 v24, v24, v50, 0
	v_mul_lo_u32 v23, v23, v24
	v_dot4_i32_i8 v27, v27, v60, 0
	v_fma_mix_f32 v32, v59, v33, v32 op_sel_hi:[1,0,0]
	v_dot4_i32_i8 v33, v37, v60, 0
	v_mul_lo_u32 v33, v38, v33
	v_cvt_f32_i32_e32 v27, v27
	v_dot4_i32_i8 v24, v25, v50, 0
	v_cvt_f32_i32_e32 v28, v28
	v_cvt_f32_i32_e32 v33, v33
	;; [unrolled: 1-line block ×4, first 2 shown]
	v_fma_mix_f32 v31, v61, v33, v31 op_sel_hi:[1,0,0]
	v_dot4_i32_i8 v33, v39, v60, 0
	v_cvt_f32_i32_e32 v33, v33
	v_fma_mix_f32 v32, v61, v33, v32 op_sel_hi:[1,0,0]
	v_dot4_i32_i8 v33, v40, v50, 0
	v_mul_lo_u32 v33, v41, v33
	v_cvt_f32_i32_e32 v33, v33
	s_waitcnt vmcnt(0)
	v_fma_mix_f32 v31, v51, v33, v31 op_sel_hi:[1,0,0]
	v_dot4_i32_i8 v33, v42, v50, 0
	v_cvt_f32_i32_e32 v33, v33
	v_fma_mix_f32 v32, v51, v33, v32 op_sel_hi:[1,0,0]
	v_mul_f32_e32 v32, v32, v43
	v_fma_mix_f32 v30, v31, v30, -v32 op_sel_hi:[0,1,0]
	v_add_f32_e32 v7, v7, v30
	v_dot4_i32_i8 v30, v47, v56, 0
	v_mul_lo_u32 v30, v48, v30
	v_dot4_i32_i8 v32, v45, v58, 0
	v_mul_lo_u32 v32, v46, v32
	v_dot4_i32_i8 v31, v49, v56, 0
	v_cvt_f32_i32_e32 v30, v30
	v_cvt_f32_i32_e32 v31, v31
	;; [unrolled: 1-line block ×3, first 2 shown]
	v_fma_mix_f32 v30, v57, v30, 0 op_sel_hi:[1,0,0]
	v_fma_mix_f32 v31, v57, v31, 0 op_sel_hi:[1,0,0]
	;; [unrolled: 1-line block ×3, first 2 shown]
	v_dot4_i32_i8 v32, v44, v58, 0
	v_cvt_f32_i32_e32 v32, v32
	v_fma_mix_f32 v28, v61, v28, v30 op_sel_hi:[1,0,0]
	v_fma_mix_f32 v23, v51, v23, v28 op_sel_hi:[1,0,0]
	;; [unrolled: 1-line block ×5, first 2 shown]
	v_mul_f32_e32 v24, v24, v26
	v_fma_mix_f32 v22, v23, v22, -v24 op_sel_hi:[0,1,0]
	v_add_f32_e32 v6, v6, v22
	s_andn2_b64 exec, exec, s[12:13]
	s_cbranch_execnz .LBB104_2
; %bb.3:
	s_or_b64 exec, exec, s[12:13]
.LBB104_4:
	s_or_b64 exec, exec, s[10:11]
	s_mov_b32 s1, 0
	v_cmp_eq_u32_e32 vcc, 0, v1
	; wave barrier
	s_and_saveexec_b64 s[10:11], vcc
	s_cbranch_execz .LBB104_15
; %bb.5:
	v_mbcnt_lo_u32_b32 v1, -1, 0
	v_mbcnt_hi_u32_b32 v16, -1, v1
	v_and_b32_e32 v1, 64, v16
	v_add_u32_e32 v17, 64, v1
	v_xor_b32_e32 v1, 32, v16
	v_cmp_lt_i32_e32 vcc, v1, v17
	v_cndmask_b32_e32 v1, v16, v1, vcc
	v_lshlrev_b32_e32 v1, 2, v1
	ds_bpermute_b32 v5, v1, v15
	ds_bpermute_b32 v18, v1, v14
	v_xor_b32_e32 v2, 16, v16
	v_cmp_lt_i32_e32 vcc, v2, v17
	v_cndmask_b32_e32 v2, v16, v2, vcc
	v_lshlrev_b32_e32 v2, 2, v2
	s_waitcnt lgkmcnt(1)
	v_add_f32_e32 v5, v15, v5
	s_waitcnt lgkmcnt(0)
	v_add_f32_e32 v14, v14, v18
	ds_bpermute_b32 v15, v2, v5
	ds_bpermute_b32 v18, v2, v14
	v_xor_b32_e32 v3, 8, v16
	v_cmp_lt_i32_e32 vcc, v3, v17
	v_cndmask_b32_e32 v3, v16, v3, vcc
	v_lshlrev_b32_e32 v3, 2, v3
	s_waitcnt lgkmcnt(1)
	v_add_f32_e32 v15, v5, v15
	s_waitcnt lgkmcnt(0)
	v_add_f32_e32 v14, v14, v18
	;; [unrolled: 10-line block ×3, first 2 shown]
	ds_bpermute_b32 v20, v4, v15
	ds_bpermute_b32 v18, v4, v14
	v_xor_b32_e32 v19, 2, v16
	v_cmp_lt_i32_e32 vcc, v19, v17
	v_cndmask_b32_e32 v19, v16, v19, vcc
	v_lshlrev_b32_e32 v5, 2, v19
	v_xor_b32_e32 v19, 1, v16
	s_waitcnt lgkmcnt(1)
	v_add_f32_e32 v15, v15, v20
	s_waitcnt lgkmcnt(0)
	v_add_f32_e32 v14, v14, v18
	v_cmp_lt_i32_e32 vcc, v19, v17
	ds_bpermute_b32 v17, v5, v15
	ds_bpermute_b32 v18, v5, v14
	s_load_dwordx2 s[4:5], s[4:5], 0x38
	v_cndmask_b32_e32 v16, v16, v19, vcc
	s_mul_i32 s3, s14, s7
	v_lshlrev_b32_e32 v16, 2, v16
	s_waitcnt lgkmcnt(0)
	v_add_f32_e32 v15, v15, v17
	v_add_f32_e32 v18, v14, v18
	s_mul_i32 s0, s18, s8
	s_add_i32 s3, s3, s6
	ds_bpermute_b32 v17, v16, v15
	ds_bpermute_b32 v19, v16, v18
	s_add_i32 s0, s3, s0
	s_lshl_b64 s[0:1], s[0:1], 2
	s_add_u32 s4, s4, s0
	v_add_u32_e32 v14, s6, v0
	s_addc_u32 s5, s5, s1
	v_cmp_gt_u32_e32 vcc, 2, v0
	v_cmp_gt_u32_e64 s[0:1], s2, v14
	s_and_b64 s[0:1], vcc, s[0:1]
	s_waitcnt lgkmcnt(1)
	v_add_f32_e32 v14, v15, v17
	s_waitcnt lgkmcnt(0)
	v_add_f32_e32 v15, v18, v19
	s_and_saveexec_b64 s[6:7], s[0:1]
	s_cbranch_execz .LBB104_7
; %bb.6:
	v_cmp_eq_u32_e32 vcc, 1, v0
	v_cndmask_b32_e32 v17, v14, v15, vcc
	v_cmp_eq_u32_e32 vcc, 2, v0
	v_cndmask_b32_e32 v17, v17, v13, vcc
	;; [unrolled: 2-line block ×9, first 2 shown]
	v_lshlrev_b32_e32 v18, 2, v0
	global_store_dword v18, v17, s[4:5]
.LBB104_7:
	s_or_b64 exec, exec, s[6:7]
	ds_bpermute_b32 v17, v1, v13
	ds_bpermute_b32 v18, v1, v12
	s_waitcnt lgkmcnt(1)
	v_add_f32_e32 v13, v13, v17
	s_waitcnt lgkmcnt(0)
	v_add_f32_e32 v12, v12, v18
	ds_bpermute_b32 v17, v2, v13
	ds_bpermute_b32 v18, v2, v12
	s_waitcnt lgkmcnt(1)
	v_add_f32_e32 v13, v13, v17
	s_waitcnt lgkmcnt(0)
	v_add_f32_e32 v12, v12, v18
	;; [unrolled: 6-line block ×6, first 2 shown]
	s_and_saveexec_b64 s[6:7], s[0:1]
	s_cbranch_execz .LBB104_9
; %bb.8:
	v_add_u32_e32 v17, 2, v0
	v_cmp_eq_u32_e32 vcc, 1, v17
	v_cndmask_b32_e32 v18, v14, v15, vcc
	v_cmp_eq_u32_e32 vcc, 2, v17
	v_cndmask_b32_e32 v18, v18, v13, vcc
	;; [unrolled: 2-line block ×9, first 2 shown]
	v_add_u32_e32 v17, s2, v0
	v_mov_b32_e32 v18, 0
	v_lshlrev_b64 v[17:18], 2, v[17:18]
	v_mov_b32_e32 v20, s5
	v_add_co_u32_e32 v17, vcc, s4, v17
	v_addc_co_u32_e32 v18, vcc, v20, v18, vcc
	global_store_dword v[17:18], v19, off
.LBB104_9:
	s_or_b64 exec, exec, s[6:7]
	ds_bpermute_b32 v17, v1, v11
	ds_bpermute_b32 v18, v1, v10
	s_waitcnt lgkmcnt(1)
	v_add_f32_e32 v11, v11, v17
	s_waitcnt lgkmcnt(0)
	v_add_f32_e32 v10, v10, v18
	ds_bpermute_b32 v17, v2, v11
	ds_bpermute_b32 v18, v2, v10
	s_waitcnt lgkmcnt(1)
	v_add_f32_e32 v11, v11, v17
	s_waitcnt lgkmcnt(0)
	v_add_f32_e32 v10, v10, v18
	;; [unrolled: 6-line block ×6, first 2 shown]
	s_and_saveexec_b64 s[6:7], s[0:1]
	s_cbranch_execz .LBB104_11
; %bb.10:
	v_add_u32_e32 v17, 4, v0
	v_cmp_eq_u32_e32 vcc, 1, v17
	v_cndmask_b32_e32 v18, v14, v15, vcc
	v_cmp_eq_u32_e32 vcc, 2, v17
	v_cndmask_b32_e32 v18, v18, v13, vcc
	;; [unrolled: 2-line block ×9, first 2 shown]
	v_lshl_or_b32 v17, s2, 1, v0
	v_mov_b32_e32 v18, 0
	v_lshlrev_b64 v[17:18], 2, v[17:18]
	v_mov_b32_e32 v20, s5
	v_add_co_u32_e32 v17, vcc, s4, v17
	v_addc_co_u32_e32 v18, vcc, v20, v18, vcc
	global_store_dword v[17:18], v19, off
.LBB104_11:
	s_or_b64 exec, exec, s[6:7]
	ds_bpermute_b32 v17, v1, v9
	ds_bpermute_b32 v18, v1, v8
	s_waitcnt lgkmcnt(1)
	v_add_f32_e32 v9, v9, v17
	s_waitcnt lgkmcnt(0)
	v_add_f32_e32 v8, v8, v18
	ds_bpermute_b32 v17, v2, v9
	ds_bpermute_b32 v18, v2, v8
	s_waitcnt lgkmcnt(1)
	v_add_f32_e32 v9, v9, v17
	s_waitcnt lgkmcnt(0)
	v_add_f32_e32 v8, v8, v18
	;; [unrolled: 6-line block ×6, first 2 shown]
	s_and_saveexec_b64 s[6:7], s[0:1]
	s_cbranch_execz .LBB104_13
; %bb.12:
	v_add_u32_e32 v19, 6, v0
	v_cmp_eq_u32_e32 vcc, 1, v19
	v_cndmask_b32_e32 v17, v14, v15, vcc
	v_cmp_eq_u32_e32 vcc, 2, v19
	v_cndmask_b32_e32 v17, v17, v13, vcc
	;; [unrolled: 2-line block ×8, first 2 shown]
	v_mad_u64_u32 v[17:18], s[8:9], s2, 3, v[0:1]
	v_mov_b32_e32 v18, 0
	v_cmp_eq_u32_e32 vcc, 9, v19
	v_lshlrev_b64 v[17:18], 2, v[17:18]
	v_cndmask_b32_e32 v19, v20, v6, vcc
	v_mov_b32_e32 v20, s5
	v_add_co_u32_e32 v17, vcc, s4, v17
	v_addc_co_u32_e32 v18, vcc, v20, v18, vcc
	global_store_dword v[17:18], v19, off
.LBB104_13:
	s_or_b64 exec, exec, s[6:7]
	ds_bpermute_b32 v17, v1, v7
	ds_bpermute_b32 v1, v1, v6
	s_waitcnt lgkmcnt(1)
	v_add_f32_e32 v7, v7, v17
	s_waitcnt lgkmcnt(0)
	v_add_f32_e32 v1, v6, v1
	ds_bpermute_b32 v6, v2, v7
	ds_bpermute_b32 v2, v2, v1
	s_waitcnt lgkmcnt(1)
	v_add_f32_e32 v6, v7, v6
	s_waitcnt lgkmcnt(0)
	v_add_f32_e32 v1, v1, v2
	;; [unrolled: 6-line block ×5, first 2 shown]
	ds_bpermute_b32 v3, v16, v1
	ds_bpermute_b32 v4, v16, v2
	s_and_b64 exec, exec, s[0:1]
	s_cbranch_execz .LBB104_15
; %bb.14:
	s_waitcnt lgkmcnt(1)
	v_add_f32_e32 v1, v1, v3
	v_add_u32_e32 v3, 8, v0
	v_cmp_eq_u32_e32 vcc, 1, v3
	s_waitcnt lgkmcnt(0)
	v_add_f32_e32 v2, v2, v4
	v_cndmask_b32_e32 v4, v14, v15, vcc
	v_cmp_eq_u32_e32 vcc, 2, v3
	v_cndmask_b32_e32 v4, v4, v13, vcc
	v_cmp_eq_u32_e32 vcc, 3, v3
	;; [unrolled: 2-line block ×8, first 2 shown]
	v_cndmask_b32_e32 v2, v1, v2, vcc
	v_lshl_or_b32 v0, s2, 2, v0
	v_mov_b32_e32 v1, 0
	v_lshlrev_b64 v[0:1], 2, v[0:1]
	v_mov_b32_e32 v3, s5
	v_add_co_u32_e32 v0, vcc, s4, v0
	v_addc_co_u32_e32 v1, vcc, v3, v1, vcc
	global_store_dword v[0:1], v2, off
.LBB104_15:
	s_endpgm
	.section	.rodata,"a",@progbits
	.p2align	6, 0x0
	.amdhsa_kernel _ZL13mul_mat_vec_qIL9ggml_type10ELi5ELb0ELb0EEvPKvS2_PKi31ggml_cuda_mm_fusion_args_devicePfj15HIP_vector_typeIjLj3EEjjjS8_jjjS8_jjjj
		.amdhsa_group_segment_fixed_size 0
		.amdhsa_private_segment_fixed_size 0
		.amdhsa_kernarg_size 144
		.amdhsa_user_sgpr_count 6
		.amdhsa_user_sgpr_private_segment_buffer 1
		.amdhsa_user_sgpr_dispatch_ptr 0
		.amdhsa_user_sgpr_queue_ptr 0
		.amdhsa_user_sgpr_kernarg_segment_ptr 1
		.amdhsa_user_sgpr_dispatch_id 0
		.amdhsa_user_sgpr_flat_scratch_init 0
		.amdhsa_user_sgpr_private_segment_size 0
		.amdhsa_uses_dynamic_stack 0
		.amdhsa_system_sgpr_private_segment_wavefront_offset 0
		.amdhsa_system_sgpr_workgroup_id_x 1
		.amdhsa_system_sgpr_workgroup_id_y 1
		.amdhsa_system_sgpr_workgroup_id_z 1
		.amdhsa_system_sgpr_workgroup_info 0
		.amdhsa_system_vgpr_workitem_id 1
		.amdhsa_next_free_vgpr 62
		.amdhsa_next_free_sgpr 26
		.amdhsa_reserve_vcc 1
		.amdhsa_reserve_flat_scratch 0
		.amdhsa_float_round_mode_32 0
		.amdhsa_float_round_mode_16_64 0
		.amdhsa_float_denorm_mode_32 3
		.amdhsa_float_denorm_mode_16_64 3
		.amdhsa_dx10_clamp 1
		.amdhsa_ieee_mode 1
		.amdhsa_fp16_overflow 0
		.amdhsa_exception_fp_ieee_invalid_op 0
		.amdhsa_exception_fp_denorm_src 0
		.amdhsa_exception_fp_ieee_div_zero 0
		.amdhsa_exception_fp_ieee_overflow 0
		.amdhsa_exception_fp_ieee_underflow 0
		.amdhsa_exception_fp_ieee_inexact 0
		.amdhsa_exception_int_div_zero 0
	.end_amdhsa_kernel
	.section	.text._ZL13mul_mat_vec_qIL9ggml_type10ELi5ELb0ELb0EEvPKvS2_PKi31ggml_cuda_mm_fusion_args_devicePfj15HIP_vector_typeIjLj3EEjjjS8_jjjS8_jjjj,"axG",@progbits,_ZL13mul_mat_vec_qIL9ggml_type10ELi5ELb0ELb0EEvPKvS2_PKi31ggml_cuda_mm_fusion_args_devicePfj15HIP_vector_typeIjLj3EEjjjS8_jjjS8_jjjj,comdat
.Lfunc_end104:
	.size	_ZL13mul_mat_vec_qIL9ggml_type10ELi5ELb0ELb0EEvPKvS2_PKi31ggml_cuda_mm_fusion_args_devicePfj15HIP_vector_typeIjLj3EEjjjS8_jjjS8_jjjj, .Lfunc_end104-_ZL13mul_mat_vec_qIL9ggml_type10ELi5ELb0ELb0EEvPKvS2_PKi31ggml_cuda_mm_fusion_args_devicePfj15HIP_vector_typeIjLj3EEjjjS8_jjjS8_jjjj
                                        ; -- End function
	.set _ZL13mul_mat_vec_qIL9ggml_type10ELi5ELb0ELb0EEvPKvS2_PKi31ggml_cuda_mm_fusion_args_devicePfj15HIP_vector_typeIjLj3EEjjjS8_jjjS8_jjjj.num_vgpr, 62
	.set _ZL13mul_mat_vec_qIL9ggml_type10ELi5ELb0ELb0EEvPKvS2_PKi31ggml_cuda_mm_fusion_args_devicePfj15HIP_vector_typeIjLj3EEjjjS8_jjjS8_jjjj.num_agpr, 0
	.set _ZL13mul_mat_vec_qIL9ggml_type10ELi5ELb0ELb0EEvPKvS2_PKi31ggml_cuda_mm_fusion_args_devicePfj15HIP_vector_typeIjLj3EEjjjS8_jjjS8_jjjj.numbered_sgpr, 26
	.set _ZL13mul_mat_vec_qIL9ggml_type10ELi5ELb0ELb0EEvPKvS2_PKi31ggml_cuda_mm_fusion_args_devicePfj15HIP_vector_typeIjLj3EEjjjS8_jjjS8_jjjj.num_named_barrier, 0
	.set _ZL13mul_mat_vec_qIL9ggml_type10ELi5ELb0ELb0EEvPKvS2_PKi31ggml_cuda_mm_fusion_args_devicePfj15HIP_vector_typeIjLj3EEjjjS8_jjjS8_jjjj.private_seg_size, 0
	.set _ZL13mul_mat_vec_qIL9ggml_type10ELi5ELb0ELb0EEvPKvS2_PKi31ggml_cuda_mm_fusion_args_devicePfj15HIP_vector_typeIjLj3EEjjjS8_jjjS8_jjjj.uses_vcc, 1
	.set _ZL13mul_mat_vec_qIL9ggml_type10ELi5ELb0ELb0EEvPKvS2_PKi31ggml_cuda_mm_fusion_args_devicePfj15HIP_vector_typeIjLj3EEjjjS8_jjjS8_jjjj.uses_flat_scratch, 0
	.set _ZL13mul_mat_vec_qIL9ggml_type10ELi5ELb0ELb0EEvPKvS2_PKi31ggml_cuda_mm_fusion_args_devicePfj15HIP_vector_typeIjLj3EEjjjS8_jjjS8_jjjj.has_dyn_sized_stack, 0
	.set _ZL13mul_mat_vec_qIL9ggml_type10ELi5ELb0ELb0EEvPKvS2_PKi31ggml_cuda_mm_fusion_args_devicePfj15HIP_vector_typeIjLj3EEjjjS8_jjjS8_jjjj.has_recursion, 0
	.set _ZL13mul_mat_vec_qIL9ggml_type10ELi5ELb0ELb0EEvPKvS2_PKi31ggml_cuda_mm_fusion_args_devicePfj15HIP_vector_typeIjLj3EEjjjS8_jjjS8_jjjj.has_indirect_call, 0
	.section	.AMDGPU.csdata,"",@progbits
; Kernel info:
; codeLenInByte = 5224
; TotalNumSgprs: 30
; NumVgprs: 62
; ScratchSize: 0
; MemoryBound: 0
; FloatMode: 240
; IeeeMode: 1
; LDSByteSize: 0 bytes/workgroup (compile time only)
; SGPRBlocks: 3
; VGPRBlocks: 15
; NumSGPRsForWavesPerEU: 30
; NumVGPRsForWavesPerEU: 62
; Occupancy: 4
; WaveLimiterHint : 0
; COMPUTE_PGM_RSRC2:SCRATCH_EN: 0
; COMPUTE_PGM_RSRC2:USER_SGPR: 6
; COMPUTE_PGM_RSRC2:TRAP_HANDLER: 0
; COMPUTE_PGM_RSRC2:TGID_X_EN: 1
; COMPUTE_PGM_RSRC2:TGID_Y_EN: 1
; COMPUTE_PGM_RSRC2:TGID_Z_EN: 1
; COMPUTE_PGM_RSRC2:TIDIG_COMP_CNT: 1
	.section	.text._ZL13mul_mat_vec_qIL9ggml_type10ELi6ELb0ELb0EEvPKvS2_PKi31ggml_cuda_mm_fusion_args_devicePfj15HIP_vector_typeIjLj3EEjjjS8_jjjS8_jjjj,"axG",@progbits,_ZL13mul_mat_vec_qIL9ggml_type10ELi6ELb0ELb0EEvPKvS2_PKi31ggml_cuda_mm_fusion_args_devicePfj15HIP_vector_typeIjLj3EEjjjS8_jjjS8_jjjj,comdat
	.globl	_ZL13mul_mat_vec_qIL9ggml_type10ELi6ELb0ELb0EEvPKvS2_PKi31ggml_cuda_mm_fusion_args_devicePfj15HIP_vector_typeIjLj3EEjjjS8_jjjS8_jjjj ; -- Begin function _ZL13mul_mat_vec_qIL9ggml_type10ELi6ELb0ELb0EEvPKvS2_PKi31ggml_cuda_mm_fusion_args_devicePfj15HIP_vector_typeIjLj3EEjjjS8_jjjS8_jjjj
	.p2align	8
	.type	_ZL13mul_mat_vec_qIL9ggml_type10ELi6ELb0ELb0EEvPKvS2_PKi31ggml_cuda_mm_fusion_args_devicePfj15HIP_vector_typeIjLj3EEjjjS8_jjjS8_jjjj,@function
_ZL13mul_mat_vec_qIL9ggml_type10ELi6ELb0ELb0EEvPKvS2_PKi31ggml_cuda_mm_fusion_args_devicePfj15HIP_vector_typeIjLj3EEjjjS8_jjjS8_jjjj: ; @_ZL13mul_mat_vec_qIL9ggml_type10ELi6ELb0ELb0EEvPKvS2_PKi31ggml_cuda_mm_fusion_args_devicePfj15HIP_vector_typeIjLj3EEjjjS8_jjjS8_jjjj
; %bb.0:
	s_load_dword s9, s[4:5], 0x40
	s_load_dwordx4 s[0:3], s[4:5], 0x50
	s_load_dword s25, s[4:5], 0x60
	s_load_dwordx4 s[12:15], s[4:5], 0x68
	;; [unrolled: 2-line block ×3, first 2 shown]
	v_lshl_or_b32 v2, v1, 6, v0
	s_waitcnt lgkmcnt(0)
	s_lshr_b32 s9, s9, 8
	v_lshrrev_b32_e32 v18, 4, v2
	v_mov_b32_e32 v6, 0
	s_lshl_b32 s6, s6, 1
	v_cmp_gt_u32_e32 vcc, s9, v18
	v_mov_b32_e32 v7, v6
	v_mov_b32_e32 v8, v6
	;; [unrolled: 1-line block ×11, first 2 shown]
	s_and_saveexec_b64 s[10:11], vcc
	s_cbranch_execz .LBB105_4
; %bb.1:
	s_mul_hi_u32 s3, s3, s7
	s_add_i32 s3, s7, s3
	s_lshr_b32 s3, s3, s25
	s_load_dwordx4 s[20:23], s[4:5], 0x0
	s_mul_i32 s3, s3, s12
	s_mul_hi_u32 s12, s15, s8
	s_add_i32 s12, s8, s12
	s_lshr_b32 s12, s12, s24
	s_mul_i32 s15, s12, s16
	s_mul_i32 s12, s17, s8
	s_mul_hi_u32 s16, s12, 36
	s_mul_i32 s12, s12, 36
	s_waitcnt lgkmcnt(0)
	s_add_u32 s12, s22, s12
	s_mul_i32 s13, s13, s7
	s_addc_u32 s16, s23, s16
	s_mul_hi_u32 s17, s13, 36
	s_mul_i32 s13, s13, 36
	s_add_u32 s12, s12, s13
	v_lshrrev_b32_e32 v2, 1, v0
	s_addc_u32 s13, s16, s17
	v_and_b32_e32 v2, 4, v2
	v_mad_u64_u32 v[2:3], s[16:17], v2, 36, s[12:13]
	v_bfe_u32 v4, v0, 2, 1
	s_add_i32 s16, s6, 1
	s_add_i32 s15, s15, s3
	v_and_or_b32 v19, v0, 8, v4
	s_mul_i32 s3, s6, s0
	s_mul_i32 s0, s0, s16
	v_bfe_u32 v4, v0, 3, 1
	s_add_i32 s3, s15, s3
	s_add_i32 s0, s15, s0
	v_mul_hi_u32_u24_e32 v5, 0x90, v4
	v_mul_u32_u24_e32 v4, 0x90, v4
	s_movk_i32 s15, 0x120
	v_mad_u64_u32 v[4:5], s[16:17], v18, s15, v[4:5]
	v_and_b32_e32 v7, 15, v0
	v_mov_b32_e32 v6, 0
	v_and_b32_e32 v8, 7, v0
	v_mov_b32_e32 v9, s13
	v_add_co_u32_e32 v4, vcc, s12, v4
	v_lshlrev_b32_e32 v20, 2, v8
	v_addc_co_u32_e32 v5, vcc, v9, v5, vcc
	v_lshlrev_b32_e32 v21, 3, v18
	s_mul_i32 s15, s1, 5
	s_lshl_b32 s16, s1, 1
	s_mul_i32 s17, s1, 3
	s_lshl_b32 s19, s1, 2
	s_mov_b64 s[12:13], 0
	s_movk_i32 s22, 0x54
	v_lshlrev_b32_e32 v22, 2, v7
	s_mov_b32 s23, 0x1010101
	v_lshlrev_b32_e32 v23, 2, v8
	v_mov_b32_e32 v7, v6
	v_mov_b32_e32 v8, v6
	;; [unrolled: 1-line block ×11, first 2 shown]
.LBB105_2:                              ; =>This Inner Loop Header: Depth=1
	v_add_co_u32_e32 v24, vcc, v4, v20
	v_addc_co_u32_e32 v25, vcc, 0, v5, vcc
	global_load_dword v30, v[24:25], off offset:4
	global_load_dword v31, v[4:5], off
	global_load_dword v52, v[24:25], off offset:40
	global_load_dword v53, v[4:5], off offset:36
	;; [unrolled: 1-line block ×6, first 2 shown]
	v_mov_b32_e32 v25, s21
	v_add_u32_e32 v26, s3, v18
	v_mov_b32_e32 v24, s20
	v_mad_i64_i32 v[26:27], s[24:25], v26, s22, v[24:25]
	v_add_co_u32_e32 v28, vcc, v26, v22
	v_addc_co_u32_e32 v29, vcc, 0, v27, vcc
	global_load_dword v42, v[28:29], off offset:16
	v_add_co_u32_e32 v28, vcc, v26, v19
	v_addc_co_u32_e32 v29, vcc, 0, v27, vcc
	global_load_dword v32, v[26:27], off offset:80
	global_load_ubyte v35, v[28:29], off
	global_load_ubyte v38, v[28:29], off offset:2
	global_load_ubyte v41, v[28:29], off offset:4
	s_waitcnt vmcnt(4)
	v_and_b32_e32 v33, 0x3030303, v42
	global_load_ubyte v28, v[28:29], off offset:6
	v_lshrrev_b32_e32 v36, 2, v42
	v_dot4_i32_i8 v26, v33, v30, 0
	v_and_b32_e32 v36, 0x3030303, v36
	s_waitcnt vmcnt(3)
	v_and_b32_e32 v34, 15, v35
	v_mul_lo_u32 v26, v34, v26
	v_dot4_i32_i8 v39, v36, v52, 0
	s_waitcnt vmcnt(2)
	v_and_b32_e32 v37, 15, v38
	v_mul_lo_u32 v39, v37, v39
	v_lshrrev_b32_e32 v27, 4, v35
	v_cvt_f32_i32_e32 v26, v26
	v_mul_lo_u32 v35, v27, s23
	v_lshrrev_b32_e32 v38, 4, v38
	v_cvt_f32_i32_e32 v39, v39
	v_mul_lo_u32 v38, v38, s23
	v_fma_mix_f32 v26, v31, v26, 0 op_sel_hi:[1,0,0]
	v_dot4_i32_i8 v27, v35, v30, 0
	v_cvt_f32_i32_e32 v27, v27
	v_fma_mix_f32 v26, v53, v39, v26 op_sel_hi:[1,0,0]
	v_dot4_i32_i8 v39, v38, v52, 0
	v_cvt_f32_i32_e32 v39, v39
	v_fma_mix_f32 v27, v31, v27, 0 op_sel_hi:[1,0,0]
	s_waitcnt vmcnt(1)
	v_and_b32_e32 v40, 15, v41
	v_lshrrev_b32_e32 v41, 4, v41
	v_fma_mix_f32 v27, v53, v39, v27 op_sel_hi:[1,0,0]
	v_lshrrev_b32_e32 v39, 4, v42
	v_and_b32_e32 v39, 0x3030303, v39
	v_dot4_i32_i8 v43, v39, v54, 0
	v_mul_lo_u32 v43, v40, v43
	v_mul_lo_u32 v41, v41, s23
	v_lshrrev_b32_e32 v29, 6, v42
	v_and_b32_e32 v42, 0x3030303, v29
	v_cvt_f32_i32_e32 v43, v43
	v_dot4_i32_i8 v29, v42, v56, 0
	v_cvt_f32_f16_sdwa v45, v32 dst_sel:DWORD dst_unused:UNUSED_PAD src0_sel:WORD_1
	v_fma_mix_f32 v26, v55, v43, v26 op_sel_hi:[1,0,0]
	v_dot4_i32_i8 v43, v41, v54, 0
	v_cvt_f32_i32_e32 v43, v43
	v_fma_mix_f32 v27, v55, v43, v27 op_sel_hi:[1,0,0]
	s_waitcnt vmcnt(0)
	v_and_b32_e32 v43, 15, v28
	v_lshrrev_b32_e32 v28, 4, v28
	v_mul_lo_u32 v44, v28, s23
	v_mul_lo_u32 v29, v43, v29
	v_dot4_i32_i8 v28, v44, v56, 0
	v_cvt_f32_i32_e32 v28, v28
	v_cvt_f32_i32_e32 v29, v29
	v_fma_mix_f32 v27, v57, v28, v27 op_sel_hi:[1,0,0]
	v_fma_mix_f32 v26, v57, v29, v26 op_sel_hi:[1,0,0]
	v_mul_f32_e32 v27, v27, v45
	v_fma_mix_f32 v26, v26, v32, -v27 op_sel_hi:[0,1,0]
	v_add_f32_e32 v17, v17, v26
	v_add_u32_e32 v26, s0, v18
	v_mad_i64_i32 v[25:26], s[24:25], v26, s22, v[24:25]
	v_add_u32_e32 v18, 4, v18
	v_add_co_u32_e32 v27, vcc, v25, v22
	v_addc_co_u32_e32 v28, vcc, 0, v26, vcc
	global_load_dword v58, v[27:28], off offset:16
	v_add_co_u32_e32 v27, vcc, v25, v19
	v_addc_co_u32_e32 v28, vcc, 0, v26, vcc
	global_load_dword v24, v[25:26], off offset:80
	global_load_ubyte v29, v[27:28], off
	s_waitcnt vmcnt(2)
	v_and_b32_e32 v49, 0x3030303, v58
	v_dot4_i32_i8 v25, v49, v30, 0
	s_waitcnt vmcnt(0)
	v_and_b32_e32 v50, 15, v29
	v_lshrrev_b32_e32 v26, 4, v29
	global_load_ubyte v29, v[27:28], off offset:2
	v_mul_lo_u32 v51, v26, s23
	v_mul_lo_u32 v25, v50, v25
	v_dot4_i32_i8 v26, v51, v30, 0
	v_cvt_f32_i32_e32 v26, v26
	v_lshrrev_b32_e32 v30, 2, v58
	v_and_b32_e32 v47, 0x3030303, v30
	v_dot4_i32_i8 v30, v47, v52, 0
	v_fma_mix_f32 v26, v31, v26, 0 op_sel_hi:[1,0,0]
	v_cvt_f32_i32_e32 v25, v25
	v_fma_mix_f32 v25, v31, v25, 0 op_sel_hi:[1,0,0]
	s_waitcnt vmcnt(0)
	v_and_b32_e32 v48, 15, v29
	v_lshrrev_b32_e32 v29, 4, v29
	v_mul_lo_u32 v46, v29, s23
	v_mul_lo_u32 v30, v48, v30
	v_dot4_i32_i8 v29, v46, v52, 0
	v_cvt_f32_i32_e32 v29, v29
	v_cvt_f32_i32_e32 v30, v30
	v_fma_mix_f32 v26, v53, v29, v26 op_sel_hi:[1,0,0]
	global_load_ubyte v29, v[27:28], off offset:4
	v_fma_mix_f32 v25, v53, v30, v25 op_sel_hi:[1,0,0]
	global_load_ubyte v27, v[27:28], off offset:6
	v_lshrrev_b32_e32 v30, 4, v58
	v_and_b32_e32 v30, 0x3030303, v30
	v_dot4_i32_i8 v52, v30, v54, 0
	s_waitcnt vmcnt(1)
	v_and_b32_e32 v31, 15, v29
	v_mul_lo_u32 v52, v31, v52
	v_cvt_f32_i32_e32 v52, v52
	v_fma_mix_f32 v52, v55, v52, v25 op_sel_hi:[1,0,0]
	v_lshrrev_b32_e32 v25, 4, v29
	v_mul_lo_u32 v29, v25, s23
	v_dot4_i32_i8 v25, v29, v54, 0
	v_cvt_f32_i32_e32 v25, v25
	v_fma_mix_f32 v53, v55, v25, v26 op_sel_hi:[1,0,0]
	v_lshrrev_b32_e32 v25, 6, v58
	v_and_b32_e32 v25, 0x3030303, v25
	v_dot4_i32_i8 v28, v25, v56, 0
	s_waitcnt vmcnt(0)
	v_and_b32_e32 v26, 15, v27
	v_mul_lo_u32 v28, v26, v28
	v_lshrrev_b32_e32 v27, 4, v27
	v_mul_lo_u32 v27, v27, s23
	v_cvt_f32_i32_e32 v28, v28
	v_fma_mix_f32 v52, v57, v28, v52 op_sel_hi:[1,0,0]
	v_dot4_i32_i8 v28, v27, v56, 0
	v_cvt_f32_i32_e32 v28, v28
	v_fma_mix_f32 v53, v57, v28, v53 op_sel_hi:[1,0,0]
	v_cvt_f32_f16_sdwa v28, v24 dst_sel:DWORD dst_unused:UNUSED_PAD src0_sel:WORD_1
	v_mul_f32_e32 v53, v53, v28
	v_fma_mix_f32 v52, v52, v24, -v53 op_sel_hi:[0,1,0]
	v_add_f32_e32 v16, v16, v52
	v_add_u32_e32 v52, s1, v21
	v_mad_u64_u32 v[52:53], s[24:25], v52, 36, v[2:3]
	v_add_co_u32_e32 v54, vcc, v52, v23
	v_addc_co_u32_e32 v55, vcc, 0, v53, vcc
	global_load_dword v56, v[54:55], off offset:4
	global_load_dword v57, v[52:53], off
	global_load_dword v58, v[54:55], off offset:40
	global_load_dword v59, v[52:53], off offset:36
	;; [unrolled: 1-line block ×6, first 2 shown]
	s_waitcnt vmcnt(7)
	v_dot4_i32_i8 v52, v33, v56, 0
	v_mul_lo_u32 v52, v34, v52
	s_waitcnt vmcnt(5)
	v_dot4_i32_i8 v54, v36, v58, 0
	v_mul_lo_u32 v54, v37, v54
	v_dot4_i32_i8 v53, v35, v56, 0
	v_cvt_f32_i32_e32 v52, v52
	v_cvt_f32_i32_e32 v53, v53
	;; [unrolled: 1-line block ×3, first 2 shown]
	v_fma_mix_f32 v52, v57, v52, 0 op_sel_hi:[1,0,0]
	v_fma_mix_f32 v53, v57, v53, 0 op_sel_hi:[1,0,0]
	s_waitcnt vmcnt(4)
	v_fma_mix_f32 v52, v59, v54, v52 op_sel_hi:[1,0,0]
	v_dot4_i32_i8 v54, v38, v58, 0
	v_cvt_f32_i32_e32 v54, v54
	v_fma_mix_f32 v53, v59, v54, v53 op_sel_hi:[1,0,0]
	s_waitcnt vmcnt(3)
	v_dot4_i32_i8 v54, v39, v60, 0
	v_mul_lo_u32 v54, v40, v54
	v_cvt_f32_i32_e32 v54, v54
	s_waitcnt vmcnt(2)
	v_fma_mix_f32 v52, v61, v54, v52 op_sel_hi:[1,0,0]
	v_dot4_i32_i8 v54, v41, v60, 0
	v_cvt_f32_i32_e32 v54, v54
	v_fma_mix_f32 v53, v61, v54, v53 op_sel_hi:[1,0,0]
	s_waitcnt vmcnt(1)
	v_dot4_i32_i8 v54, v42, v62, 0
	v_mul_lo_u32 v54, v43, v54
	v_cvt_f32_i32_e32 v54, v54
	s_waitcnt vmcnt(0)
	v_fma_mix_f32 v52, v63, v54, v52 op_sel_hi:[1,0,0]
	v_dot4_i32_i8 v54, v44, v62, 0
	v_cvt_f32_i32_e32 v54, v54
	v_fma_mix_f32 v53, v63, v54, v53 op_sel_hi:[1,0,0]
	v_mul_f32_e32 v53, v53, v45
	v_fma_mix_f32 v52, v52, v32, -v53 op_sel_hi:[0,1,0]
	v_add_f32_e32 v15, v15, v52
	v_dot4_i32_i8 v52, v49, v56, 0
	v_mul_lo_u32 v52, v50, v52
	v_dot4_i32_i8 v54, v47, v58, 0
	v_mul_lo_u32 v54, v48, v54
	v_dot4_i32_i8 v53, v51, v56, 0
	v_cvt_f32_i32_e32 v52, v52
	v_cvt_f32_i32_e32 v53, v53
	;; [unrolled: 1-line block ×3, first 2 shown]
	v_fma_mix_f32 v52, v57, v52, 0 op_sel_hi:[1,0,0]
	v_fma_mix_f32 v53, v57, v53, 0 op_sel_hi:[1,0,0]
	;; [unrolled: 1-line block ×3, first 2 shown]
	v_dot4_i32_i8 v54, v46, v58, 0
	v_cvt_f32_i32_e32 v54, v54
	v_fma_mix_f32 v53, v59, v54, v53 op_sel_hi:[1,0,0]
	v_dot4_i32_i8 v54, v30, v60, 0
	v_mul_lo_u32 v54, v31, v54
	v_cvt_f32_i32_e32 v54, v54
	v_fma_mix_f32 v52, v61, v54, v52 op_sel_hi:[1,0,0]
	v_dot4_i32_i8 v54, v29, v60, 0
	v_cvt_f32_i32_e32 v54, v54
	v_fma_mix_f32 v53, v61, v54, v53 op_sel_hi:[1,0,0]
	v_dot4_i32_i8 v54, v25, v62, 0
	v_mul_lo_u32 v54, v26, v54
	v_cvt_f32_i32_e32 v54, v54
	v_fma_mix_f32 v52, v63, v54, v52 op_sel_hi:[1,0,0]
	v_dot4_i32_i8 v54, v27, v62, 0
	v_cvt_f32_i32_e32 v54, v54
	v_fma_mix_f32 v53, v63, v54, v53 op_sel_hi:[1,0,0]
	v_mul_f32_e32 v53, v53, v28
	v_fma_mix_f32 v52, v52, v24, -v53 op_sel_hi:[0,1,0]
	v_add_f32_e32 v14, v14, v52
	v_add_u32_e32 v52, s16, v21
	v_mad_u64_u32 v[52:53], s[24:25], v52, 36, v[2:3]
	v_add_co_u32_e32 v54, vcc, v52, v23
	v_addc_co_u32_e32 v55, vcc, 0, v53, vcc
	global_load_dword v56, v[54:55], off offset:4
	global_load_dword v57, v[52:53], off
	global_load_dword v58, v[54:55], off offset:40
	global_load_dword v59, v[52:53], off offset:36
	;; [unrolled: 1-line block ×6, first 2 shown]
	s_waitcnt vmcnt(7)
	v_dot4_i32_i8 v52, v33, v56, 0
	v_mul_lo_u32 v52, v34, v52
	s_waitcnt vmcnt(5)
	v_dot4_i32_i8 v54, v36, v58, 0
	v_mul_lo_u32 v54, v37, v54
	v_dot4_i32_i8 v53, v35, v56, 0
	v_cvt_f32_i32_e32 v52, v52
	v_cvt_f32_i32_e32 v53, v53
	;; [unrolled: 1-line block ×3, first 2 shown]
	v_fma_mix_f32 v52, v57, v52, 0 op_sel_hi:[1,0,0]
	v_fma_mix_f32 v53, v57, v53, 0 op_sel_hi:[1,0,0]
	s_waitcnt vmcnt(4)
	v_fma_mix_f32 v52, v59, v54, v52 op_sel_hi:[1,0,0]
	v_dot4_i32_i8 v54, v38, v58, 0
	v_cvt_f32_i32_e32 v54, v54
	v_fma_mix_f32 v53, v59, v54, v53 op_sel_hi:[1,0,0]
	s_waitcnt vmcnt(3)
	v_dot4_i32_i8 v54, v39, v60, 0
	v_mul_lo_u32 v54, v40, v54
	v_cvt_f32_i32_e32 v54, v54
	s_waitcnt vmcnt(2)
	v_fma_mix_f32 v52, v61, v54, v52 op_sel_hi:[1,0,0]
	v_dot4_i32_i8 v54, v41, v60, 0
	v_cvt_f32_i32_e32 v54, v54
	v_fma_mix_f32 v53, v61, v54, v53 op_sel_hi:[1,0,0]
	s_waitcnt vmcnt(1)
	v_dot4_i32_i8 v54, v42, v62, 0
	v_mul_lo_u32 v54, v43, v54
	v_cvt_f32_i32_e32 v54, v54
	s_waitcnt vmcnt(0)
	v_fma_mix_f32 v52, v63, v54, v52 op_sel_hi:[1,0,0]
	v_dot4_i32_i8 v54, v44, v62, 0
	v_cvt_f32_i32_e32 v54, v54
	v_fma_mix_f32 v53, v63, v54, v53 op_sel_hi:[1,0,0]
	v_mul_f32_e32 v53, v53, v45
	v_fma_mix_f32 v52, v52, v32, -v53 op_sel_hi:[0,1,0]
	v_add_f32_e32 v13, v13, v52
	v_dot4_i32_i8 v52, v49, v56, 0
	v_mul_lo_u32 v52, v50, v52
	v_dot4_i32_i8 v54, v47, v58, 0
	v_mul_lo_u32 v54, v48, v54
	v_dot4_i32_i8 v53, v51, v56, 0
	v_cvt_f32_i32_e32 v52, v52
	v_cvt_f32_i32_e32 v53, v53
	;; [unrolled: 1-line block ×3, first 2 shown]
	v_fma_mix_f32 v52, v57, v52, 0 op_sel_hi:[1,0,0]
	v_fma_mix_f32 v53, v57, v53, 0 op_sel_hi:[1,0,0]
	;; [unrolled: 1-line block ×3, first 2 shown]
	v_dot4_i32_i8 v54, v46, v58, 0
	v_cvt_f32_i32_e32 v54, v54
	v_fma_mix_f32 v53, v59, v54, v53 op_sel_hi:[1,0,0]
	v_dot4_i32_i8 v54, v30, v60, 0
	v_mul_lo_u32 v54, v31, v54
	v_cvt_f32_i32_e32 v54, v54
	v_fma_mix_f32 v52, v61, v54, v52 op_sel_hi:[1,0,0]
	v_dot4_i32_i8 v54, v29, v60, 0
	v_cvt_f32_i32_e32 v54, v54
	v_fma_mix_f32 v53, v61, v54, v53 op_sel_hi:[1,0,0]
	v_dot4_i32_i8 v54, v25, v62, 0
	v_mul_lo_u32 v54, v26, v54
	v_cvt_f32_i32_e32 v54, v54
	v_fma_mix_f32 v52, v63, v54, v52 op_sel_hi:[1,0,0]
	v_dot4_i32_i8 v54, v27, v62, 0
	v_cvt_f32_i32_e32 v54, v54
	v_fma_mix_f32 v53, v63, v54, v53 op_sel_hi:[1,0,0]
	v_mul_f32_e32 v53, v53, v28
	v_fma_mix_f32 v52, v52, v24, -v53 op_sel_hi:[0,1,0]
	v_add_f32_e32 v12, v12, v52
	v_add_u32_e32 v52, s17, v21
	v_mad_u64_u32 v[52:53], s[24:25], v52, 36, v[2:3]
	v_add_co_u32_e32 v54, vcc, v52, v23
	v_addc_co_u32_e32 v55, vcc, 0, v53, vcc
	global_load_dword v56, v[54:55], off offset:4
	global_load_dword v57, v[52:53], off
	global_load_dword v58, v[54:55], off offset:40
	global_load_dword v59, v[52:53], off offset:36
	global_load_dword v60, v[54:55], off offset:76
	global_load_dword v61, v[52:53], off offset:72
	global_load_dword v62, v[54:55], off offset:112
	global_load_dword v63, v[52:53], off offset:108
	s_waitcnt vmcnt(7)
	v_dot4_i32_i8 v52, v33, v56, 0
	v_mul_lo_u32 v52, v34, v52
	s_waitcnt vmcnt(5)
	v_dot4_i32_i8 v54, v36, v58, 0
	v_mul_lo_u32 v54, v37, v54
	v_dot4_i32_i8 v53, v35, v56, 0
	v_cvt_f32_i32_e32 v52, v52
	v_cvt_f32_i32_e32 v53, v53
	;; [unrolled: 1-line block ×3, first 2 shown]
	v_fma_mix_f32 v52, v57, v52, 0 op_sel_hi:[1,0,0]
	v_fma_mix_f32 v53, v57, v53, 0 op_sel_hi:[1,0,0]
	s_waitcnt vmcnt(4)
	v_fma_mix_f32 v52, v59, v54, v52 op_sel_hi:[1,0,0]
	v_dot4_i32_i8 v54, v38, v58, 0
	v_cvt_f32_i32_e32 v54, v54
	v_fma_mix_f32 v53, v59, v54, v53 op_sel_hi:[1,0,0]
	s_waitcnt vmcnt(3)
	v_dot4_i32_i8 v54, v39, v60, 0
	v_mul_lo_u32 v54, v40, v54
	v_cvt_f32_i32_e32 v54, v54
	s_waitcnt vmcnt(2)
	v_fma_mix_f32 v52, v61, v54, v52 op_sel_hi:[1,0,0]
	v_dot4_i32_i8 v54, v41, v60, 0
	v_cvt_f32_i32_e32 v54, v54
	v_fma_mix_f32 v53, v61, v54, v53 op_sel_hi:[1,0,0]
	s_waitcnt vmcnt(1)
	v_dot4_i32_i8 v54, v42, v62, 0
	v_mul_lo_u32 v54, v43, v54
	v_cvt_f32_i32_e32 v54, v54
	s_waitcnt vmcnt(0)
	v_fma_mix_f32 v52, v63, v54, v52 op_sel_hi:[1,0,0]
	v_dot4_i32_i8 v54, v44, v62, 0
	v_cvt_f32_i32_e32 v54, v54
	v_fma_mix_f32 v53, v63, v54, v53 op_sel_hi:[1,0,0]
	v_mul_f32_e32 v53, v53, v45
	v_fma_mix_f32 v52, v52, v32, -v53 op_sel_hi:[0,1,0]
	v_add_f32_e32 v11, v11, v52
	v_dot4_i32_i8 v52, v49, v56, 0
	v_mul_lo_u32 v52, v50, v52
	v_dot4_i32_i8 v54, v47, v58, 0
	v_mul_lo_u32 v54, v48, v54
	v_dot4_i32_i8 v53, v51, v56, 0
	v_cvt_f32_i32_e32 v52, v52
	v_cvt_f32_i32_e32 v53, v53
	;; [unrolled: 1-line block ×3, first 2 shown]
	v_fma_mix_f32 v52, v57, v52, 0 op_sel_hi:[1,0,0]
	v_fma_mix_f32 v53, v57, v53, 0 op_sel_hi:[1,0,0]
	;; [unrolled: 1-line block ×3, first 2 shown]
	v_dot4_i32_i8 v54, v46, v58, 0
	v_cvt_f32_i32_e32 v54, v54
	v_fma_mix_f32 v53, v59, v54, v53 op_sel_hi:[1,0,0]
	v_dot4_i32_i8 v54, v30, v60, 0
	v_mul_lo_u32 v54, v31, v54
	v_cvt_f32_i32_e32 v54, v54
	v_fma_mix_f32 v52, v61, v54, v52 op_sel_hi:[1,0,0]
	v_dot4_i32_i8 v54, v29, v60, 0
	v_cvt_f32_i32_e32 v54, v54
	v_fma_mix_f32 v53, v61, v54, v53 op_sel_hi:[1,0,0]
	v_dot4_i32_i8 v54, v25, v62, 0
	v_mul_lo_u32 v54, v26, v54
	v_cvt_f32_i32_e32 v54, v54
	v_fma_mix_f32 v52, v63, v54, v52 op_sel_hi:[1,0,0]
	v_dot4_i32_i8 v54, v27, v62, 0
	v_cvt_f32_i32_e32 v54, v54
	v_fma_mix_f32 v53, v63, v54, v53 op_sel_hi:[1,0,0]
	v_mul_f32_e32 v53, v53, v28
	v_fma_mix_f32 v52, v52, v24, -v53 op_sel_hi:[0,1,0]
	v_add_f32_e32 v10, v10, v52
	v_add_u32_e32 v52, s19, v21
	v_mad_u64_u32 v[52:53], s[24:25], v52, 36, v[2:3]
	v_add_co_u32_e32 v54, vcc, v52, v23
	v_addc_co_u32_e32 v55, vcc, 0, v53, vcc
	global_load_dword v56, v[54:55], off offset:4
	global_load_dword v57, v[52:53], off
	global_load_dword v58, v[54:55], off offset:40
	global_load_dword v59, v[52:53], off offset:36
	;; [unrolled: 1-line block ×6, first 2 shown]
	s_waitcnt vmcnt(7)
	v_dot4_i32_i8 v52, v33, v56, 0
	v_mul_lo_u32 v52, v34, v52
	s_waitcnt vmcnt(5)
	v_dot4_i32_i8 v54, v36, v58, 0
	v_mul_lo_u32 v54, v37, v54
	v_dot4_i32_i8 v53, v35, v56, 0
	v_cvt_f32_i32_e32 v52, v52
	v_cvt_f32_i32_e32 v53, v53
	;; [unrolled: 1-line block ×3, first 2 shown]
	v_fma_mix_f32 v52, v57, v52, 0 op_sel_hi:[1,0,0]
	v_fma_mix_f32 v53, v57, v53, 0 op_sel_hi:[1,0,0]
	s_waitcnt vmcnt(4)
	v_fma_mix_f32 v52, v59, v54, v52 op_sel_hi:[1,0,0]
	v_dot4_i32_i8 v54, v38, v58, 0
	v_cvt_f32_i32_e32 v54, v54
	v_fma_mix_f32 v53, v59, v54, v53 op_sel_hi:[1,0,0]
	s_waitcnt vmcnt(3)
	v_dot4_i32_i8 v54, v39, v60, 0
	v_mul_lo_u32 v54, v40, v54
	v_cvt_f32_i32_e32 v54, v54
	s_waitcnt vmcnt(2)
	v_fma_mix_f32 v52, v61, v54, v52 op_sel_hi:[1,0,0]
	v_dot4_i32_i8 v54, v41, v60, 0
	v_cvt_f32_i32_e32 v54, v54
	v_fma_mix_f32 v53, v61, v54, v53 op_sel_hi:[1,0,0]
	s_waitcnt vmcnt(1)
	v_dot4_i32_i8 v54, v42, v62, 0
	v_mul_lo_u32 v54, v43, v54
	v_cvt_f32_i32_e32 v54, v54
	s_waitcnt vmcnt(0)
	v_fma_mix_f32 v52, v63, v54, v52 op_sel_hi:[1,0,0]
	v_dot4_i32_i8 v54, v44, v62, 0
	v_cvt_f32_i32_e32 v54, v54
	v_fma_mix_f32 v53, v63, v54, v53 op_sel_hi:[1,0,0]
	v_mul_f32_e32 v53, v53, v45
	v_fma_mix_f32 v52, v52, v32, -v53 op_sel_hi:[0,1,0]
	v_add_f32_e32 v9, v9, v52
	v_dot4_i32_i8 v52, v49, v56, 0
	v_mul_lo_u32 v52, v50, v52
	v_dot4_i32_i8 v54, v47, v58, 0
	v_mul_lo_u32 v54, v48, v54
	v_dot4_i32_i8 v53, v51, v56, 0
	v_cvt_f32_i32_e32 v52, v52
	v_cvt_f32_i32_e32 v53, v53
	;; [unrolled: 1-line block ×3, first 2 shown]
	v_fma_mix_f32 v52, v57, v52, 0 op_sel_hi:[1,0,0]
	v_fma_mix_f32 v53, v57, v53, 0 op_sel_hi:[1,0,0]
	;; [unrolled: 1-line block ×3, first 2 shown]
	v_dot4_i32_i8 v54, v46, v58, 0
	v_cvt_f32_i32_e32 v54, v54
	v_fma_mix_f32 v53, v59, v54, v53 op_sel_hi:[1,0,0]
	v_dot4_i32_i8 v54, v30, v60, 0
	v_mul_lo_u32 v54, v31, v54
	v_cvt_f32_i32_e32 v54, v54
	v_fma_mix_f32 v52, v61, v54, v52 op_sel_hi:[1,0,0]
	v_dot4_i32_i8 v54, v29, v60, 0
	v_cvt_f32_i32_e32 v54, v54
	v_fma_mix_f32 v53, v61, v54, v53 op_sel_hi:[1,0,0]
	v_dot4_i32_i8 v54, v25, v62, 0
	v_mul_lo_u32 v54, v26, v54
	v_cvt_f32_i32_e32 v54, v54
	v_fma_mix_f32 v52, v63, v54, v52 op_sel_hi:[1,0,0]
	v_dot4_i32_i8 v54, v27, v62, 0
	v_cvt_f32_i32_e32 v54, v54
	v_fma_mix_f32 v53, v63, v54, v53 op_sel_hi:[1,0,0]
	v_mul_f32_e32 v53, v53, v28
	v_fma_mix_f32 v52, v52, v24, -v53 op_sel_hi:[0,1,0]
	v_add_f32_e32 v8, v8, v52
	v_add_u32_e32 v52, s15, v21
	v_mad_u64_u32 v[55:56], s[24:25], v52, 36, v[2:3]
	v_add_u32_e32 v21, 32, v21
	v_add_co_u32_e32 v57, vcc, v55, v23
	v_addc_co_u32_e32 v58, vcc, 0, v56, vcc
	global_load_dword v59, v[57:58], off offset:4
	global_load_dword v60, v[55:56], off
	global_load_dword v61, v[57:58], off offset:40
	global_load_dword v62, v[55:56], off offset:36
	;; [unrolled: 1-line block ×6, first 2 shown]
	v_add_co_u32_e32 v4, vcc, 0x480, v4
	v_addc_co_u32_e32 v5, vcc, 0, v5, vcc
	v_cmp_le_u32_e32 vcc, s9, v18
	s_or_b64 s[12:13], vcc, s[12:13]
	s_waitcnt vmcnt(7)
	v_dot4_i32_i8 v33, v33, v59, 0
	v_mul_lo_u32 v33, v34, v33
	v_dot4_i32_i8 v34, v35, v59, 0
	s_waitcnt vmcnt(5)
	v_dot4_i32_i8 v35, v36, v61, 0
	v_mul_lo_u32 v35, v37, v35
	v_cvt_f32_i32_e32 v33, v33
	v_cvt_f32_i32_e32 v34, v34
	s_waitcnt vmcnt(3)
	v_dot4_i32_i8 v30, v30, v63, 0
	v_cvt_f32_i32_e32 v35, v35
	v_fma_mix_f32 v33, v60, v33, 0 op_sel_hi:[1,0,0]
	v_fma_mix_f32 v34, v60, v34, 0 op_sel_hi:[1,0,0]
	v_mul_lo_u32 v30, v31, v30
	v_fma_mix_f32 v33, v62, v35, v33 op_sel_hi:[1,0,0]
	v_dot4_i32_i8 v35, v38, v61, 0
	v_cvt_f32_i32_e32 v35, v35
	s_waitcnt vmcnt(1)
	v_dot4_i32_i8 v25, v25, v52, 0
	v_mul_lo_u32 v25, v26, v25
	v_dot4_i32_i8 v29, v29, v63, 0
	v_fma_mix_f32 v34, v62, v35, v34 op_sel_hi:[1,0,0]
	v_dot4_i32_i8 v35, v39, v63, 0
	v_mul_lo_u32 v35, v40, v35
	v_cvt_f32_i32_e32 v29, v29
	v_dot4_i32_i8 v26, v27, v52, 0
	v_cvt_f32_i32_e32 v30, v30
	v_cvt_f32_i32_e32 v35, v35
	;; [unrolled: 1-line block ×4, first 2 shown]
	v_fma_mix_f32 v33, v54, v35, v33 op_sel_hi:[1,0,0]
	v_dot4_i32_i8 v35, v41, v63, 0
	v_cvt_f32_i32_e32 v35, v35
	v_fma_mix_f32 v34, v54, v35, v34 op_sel_hi:[1,0,0]
	v_dot4_i32_i8 v35, v42, v52, 0
	v_mul_lo_u32 v35, v43, v35
	v_cvt_f32_i32_e32 v35, v35
	s_waitcnt vmcnt(0)
	v_fma_mix_f32 v33, v53, v35, v33 op_sel_hi:[1,0,0]
	v_dot4_i32_i8 v35, v44, v52, 0
	v_cvt_f32_i32_e32 v35, v35
	v_fma_mix_f32 v34, v53, v35, v34 op_sel_hi:[1,0,0]
	v_mul_f32_e32 v34, v34, v45
	v_fma_mix_f32 v32, v33, v32, -v34 op_sel_hi:[0,1,0]
	v_add_f32_e32 v7, v7, v32
	v_dot4_i32_i8 v32, v49, v59, 0
	v_mul_lo_u32 v32, v50, v32
	v_dot4_i32_i8 v34, v47, v61, 0
	v_mul_lo_u32 v34, v48, v34
	v_dot4_i32_i8 v33, v51, v59, 0
	v_cvt_f32_i32_e32 v32, v32
	v_cvt_f32_i32_e32 v33, v33
	;; [unrolled: 1-line block ×3, first 2 shown]
	v_fma_mix_f32 v32, v60, v32, 0 op_sel_hi:[1,0,0]
	v_fma_mix_f32 v33, v60, v33, 0 op_sel_hi:[1,0,0]
	;; [unrolled: 1-line block ×3, first 2 shown]
	v_dot4_i32_i8 v34, v46, v61, 0
	v_cvt_f32_i32_e32 v34, v34
	v_fma_mix_f32 v30, v54, v30, v32 op_sel_hi:[1,0,0]
	v_fma_mix_f32 v25, v53, v25, v30 op_sel_hi:[1,0,0]
	;; [unrolled: 1-line block ×5, first 2 shown]
	v_mul_f32_e32 v26, v26, v28
	v_fma_mix_f32 v24, v25, v24, -v26 op_sel_hi:[0,1,0]
	v_add_f32_e32 v6, v6, v24
	s_andn2_b64 exec, exec, s[12:13]
	s_cbranch_execnz .LBB105_2
; %bb.3:
	s_or_b64 exec, exec, s[12:13]
.LBB105_4:
	s_or_b64 exec, exec, s[10:11]
	s_mov_b32 s1, 0
	v_cmp_eq_u32_e32 vcc, 0, v1
	; wave barrier
	s_and_saveexec_b64 s[10:11], vcc
	s_cbranch_execz .LBB105_17
; %bb.5:
	v_mbcnt_lo_u32_b32 v1, -1, 0
	v_mbcnt_hi_u32_b32 v18, -1, v1
	v_and_b32_e32 v1, 64, v18
	v_add_u32_e32 v19, 64, v1
	v_xor_b32_e32 v1, 32, v18
	v_cmp_lt_i32_e32 vcc, v1, v19
	v_cndmask_b32_e32 v1, v18, v1, vcc
	v_lshlrev_b32_e32 v1, 2, v1
	ds_bpermute_b32 v5, v1, v17
	ds_bpermute_b32 v20, v1, v16
	v_xor_b32_e32 v2, 16, v18
	v_cmp_lt_i32_e32 vcc, v2, v19
	v_cndmask_b32_e32 v2, v18, v2, vcc
	v_lshlrev_b32_e32 v2, 2, v2
	s_waitcnt lgkmcnt(1)
	v_add_f32_e32 v5, v17, v5
	s_waitcnt lgkmcnt(0)
	v_add_f32_e32 v16, v16, v20
	ds_bpermute_b32 v17, v2, v5
	ds_bpermute_b32 v20, v2, v16
	v_xor_b32_e32 v3, 8, v18
	v_cmp_lt_i32_e32 vcc, v3, v19
	v_cndmask_b32_e32 v3, v18, v3, vcc
	v_lshlrev_b32_e32 v3, 2, v3
	s_waitcnt lgkmcnt(1)
	v_add_f32_e32 v17, v5, v17
	s_waitcnt lgkmcnt(0)
	v_add_f32_e32 v16, v16, v20
	;; [unrolled: 10-line block ×3, first 2 shown]
	ds_bpermute_b32 v22, v4, v17
	ds_bpermute_b32 v20, v4, v16
	v_xor_b32_e32 v21, 2, v18
	v_cmp_lt_i32_e32 vcc, v21, v19
	v_cndmask_b32_e32 v21, v18, v21, vcc
	v_lshlrev_b32_e32 v5, 2, v21
	v_xor_b32_e32 v21, 1, v18
	s_waitcnt lgkmcnt(1)
	v_add_f32_e32 v17, v17, v22
	s_waitcnt lgkmcnt(0)
	v_add_f32_e32 v16, v16, v20
	v_cmp_lt_i32_e32 vcc, v21, v19
	ds_bpermute_b32 v19, v5, v17
	ds_bpermute_b32 v20, v5, v16
	s_load_dwordx2 s[4:5], s[4:5], 0x38
	v_cndmask_b32_e32 v18, v18, v21, vcc
	s_mul_i32 s3, s14, s7
	v_lshlrev_b32_e32 v18, 2, v18
	s_waitcnt lgkmcnt(0)
	v_add_f32_e32 v17, v17, v19
	v_add_f32_e32 v20, v16, v20
	s_mul_i32 s0, s18, s8
	s_add_i32 s3, s3, s6
	ds_bpermute_b32 v19, v18, v17
	ds_bpermute_b32 v21, v18, v20
	s_add_i32 s0, s3, s0
	s_lshl_b64 s[0:1], s[0:1], 2
	s_add_u32 s4, s4, s0
	v_add_u32_e32 v16, s6, v0
	s_addc_u32 s5, s5, s1
	v_cmp_gt_u32_e32 vcc, 2, v0
	v_cmp_gt_u32_e64 s[0:1], s2, v16
	s_and_b64 s[0:1], vcc, s[0:1]
	s_waitcnt lgkmcnt(1)
	v_add_f32_e32 v16, v17, v19
	s_waitcnt lgkmcnt(0)
	v_add_f32_e32 v17, v20, v21
	s_and_saveexec_b64 s[6:7], s[0:1]
	s_cbranch_execz .LBB105_7
; %bb.6:
	v_cmp_eq_u32_e32 vcc, 1, v0
	v_cndmask_b32_e32 v19, v16, v17, vcc
	v_cmp_eq_u32_e32 vcc, 2, v0
	v_cndmask_b32_e32 v19, v19, v15, vcc
	;; [unrolled: 2-line block ×11, first 2 shown]
	v_lshlrev_b32_e32 v20, 2, v0
	global_store_dword v20, v19, s[4:5]
.LBB105_7:
	s_or_b64 exec, exec, s[6:7]
	ds_bpermute_b32 v19, v1, v15
	ds_bpermute_b32 v20, v1, v14
	s_waitcnt lgkmcnt(1)
	v_add_f32_e32 v15, v15, v19
	s_waitcnt lgkmcnt(0)
	v_add_f32_e32 v14, v14, v20
	ds_bpermute_b32 v19, v2, v15
	ds_bpermute_b32 v20, v2, v14
	s_waitcnt lgkmcnt(1)
	v_add_f32_e32 v15, v15, v19
	s_waitcnt lgkmcnt(0)
	v_add_f32_e32 v14, v14, v20
	;; [unrolled: 6-line block ×6, first 2 shown]
	s_and_saveexec_b64 s[6:7], s[0:1]
	s_cbranch_execz .LBB105_9
; %bb.8:
	v_add_u32_e32 v19, 2, v0
	v_cmp_eq_u32_e32 vcc, 1, v19
	v_cndmask_b32_e32 v20, v16, v17, vcc
	v_cmp_eq_u32_e32 vcc, 2, v19
	v_cndmask_b32_e32 v20, v20, v15, vcc
	;; [unrolled: 2-line block ×11, first 2 shown]
	v_add_u32_e32 v19, s2, v0
	v_mov_b32_e32 v20, 0
	v_lshlrev_b64 v[19:20], 2, v[19:20]
	v_mov_b32_e32 v22, s5
	v_add_co_u32_e32 v19, vcc, s4, v19
	v_addc_co_u32_e32 v20, vcc, v22, v20, vcc
	global_store_dword v[19:20], v21, off
.LBB105_9:
	s_or_b64 exec, exec, s[6:7]
	ds_bpermute_b32 v19, v1, v13
	ds_bpermute_b32 v20, v1, v12
	s_waitcnt lgkmcnt(1)
	v_add_f32_e32 v13, v13, v19
	s_waitcnt lgkmcnt(0)
	v_add_f32_e32 v12, v12, v20
	ds_bpermute_b32 v19, v2, v13
	ds_bpermute_b32 v20, v2, v12
	s_waitcnt lgkmcnt(1)
	v_add_f32_e32 v13, v13, v19
	s_waitcnt lgkmcnt(0)
	v_add_f32_e32 v12, v12, v20
	;; [unrolled: 6-line block ×6, first 2 shown]
	s_and_saveexec_b64 s[6:7], s[0:1]
	s_cbranch_execz .LBB105_11
; %bb.10:
	v_add_u32_e32 v19, 4, v0
	v_cmp_eq_u32_e32 vcc, 1, v19
	v_cndmask_b32_e32 v20, v16, v17, vcc
	v_cmp_eq_u32_e32 vcc, 2, v19
	v_cndmask_b32_e32 v20, v20, v15, vcc
	;; [unrolled: 2-line block ×11, first 2 shown]
	v_lshl_or_b32 v19, s2, 1, v0
	v_mov_b32_e32 v20, 0
	v_lshlrev_b64 v[19:20], 2, v[19:20]
	v_mov_b32_e32 v22, s5
	v_add_co_u32_e32 v19, vcc, s4, v19
	v_addc_co_u32_e32 v20, vcc, v22, v20, vcc
	global_store_dword v[19:20], v21, off
.LBB105_11:
	s_or_b64 exec, exec, s[6:7]
	ds_bpermute_b32 v19, v1, v11
	ds_bpermute_b32 v20, v1, v10
	s_waitcnt lgkmcnt(1)
	v_add_f32_e32 v11, v11, v19
	s_waitcnt lgkmcnt(0)
	v_add_f32_e32 v10, v10, v20
	ds_bpermute_b32 v19, v2, v11
	ds_bpermute_b32 v20, v2, v10
	s_waitcnt lgkmcnt(1)
	v_add_f32_e32 v11, v11, v19
	s_waitcnt lgkmcnt(0)
	v_add_f32_e32 v10, v10, v20
	;; [unrolled: 6-line block ×6, first 2 shown]
	s_and_saveexec_b64 s[6:7], s[0:1]
	s_cbranch_execz .LBB105_13
; %bb.12:
	v_add_u32_e32 v21, 6, v0
	v_cmp_eq_u32_e32 vcc, 1, v21
	v_cndmask_b32_e32 v19, v16, v17, vcc
	v_cmp_eq_u32_e32 vcc, 2, v21
	v_cndmask_b32_e32 v19, v19, v15, vcc
	;; [unrolled: 2-line block ×10, first 2 shown]
	v_mad_u64_u32 v[19:20], s[8:9], s2, 3, v[0:1]
	v_mov_b32_e32 v20, 0
	v_cmp_eq_u32_e32 vcc, 11, v21
	v_lshlrev_b64 v[19:20], 2, v[19:20]
	v_cndmask_b32_e32 v21, v22, v6, vcc
	v_mov_b32_e32 v22, s5
	v_add_co_u32_e32 v19, vcc, s4, v19
	v_addc_co_u32_e32 v20, vcc, v22, v20, vcc
	global_store_dword v[19:20], v21, off
.LBB105_13:
	s_or_b64 exec, exec, s[6:7]
	ds_bpermute_b32 v19, v1, v9
	ds_bpermute_b32 v20, v1, v8
	s_waitcnt lgkmcnt(1)
	v_add_f32_e32 v9, v9, v19
	s_waitcnt lgkmcnt(0)
	v_add_f32_e32 v8, v8, v20
	ds_bpermute_b32 v19, v2, v9
	ds_bpermute_b32 v20, v2, v8
	s_waitcnt lgkmcnt(1)
	v_add_f32_e32 v9, v9, v19
	s_waitcnt lgkmcnt(0)
	v_add_f32_e32 v8, v8, v20
	;; [unrolled: 6-line block ×6, first 2 shown]
	s_and_saveexec_b64 s[6:7], s[0:1]
	s_cbranch_execz .LBB105_15
; %bb.14:
	v_add_u32_e32 v19, 8, v0
	v_cmp_eq_u32_e32 vcc, 1, v19
	v_cndmask_b32_e32 v20, v16, v17, vcc
	v_cmp_eq_u32_e32 vcc, 2, v19
	v_cndmask_b32_e32 v20, v20, v15, vcc
	;; [unrolled: 2-line block ×11, first 2 shown]
	v_lshl_or_b32 v19, s2, 2, v0
	v_mov_b32_e32 v20, 0
	v_lshlrev_b64 v[19:20], 2, v[19:20]
	v_mov_b32_e32 v22, s5
	v_add_co_u32_e32 v19, vcc, s4, v19
	v_addc_co_u32_e32 v20, vcc, v22, v20, vcc
	global_store_dword v[19:20], v21, off
.LBB105_15:
	s_or_b64 exec, exec, s[6:7]
	ds_bpermute_b32 v19, v1, v7
	ds_bpermute_b32 v1, v1, v6
	s_waitcnt lgkmcnt(1)
	v_add_f32_e32 v7, v7, v19
	s_waitcnt lgkmcnt(0)
	v_add_f32_e32 v1, v6, v1
	ds_bpermute_b32 v6, v2, v7
	ds_bpermute_b32 v2, v2, v1
	s_waitcnt lgkmcnt(1)
	v_add_f32_e32 v6, v7, v6
	s_waitcnt lgkmcnt(0)
	v_add_f32_e32 v1, v1, v2
	;; [unrolled: 6-line block ×5, first 2 shown]
	ds_bpermute_b32 v3, v18, v1
	ds_bpermute_b32 v4, v18, v2
	s_and_b64 exec, exec, s[0:1]
	s_cbranch_execz .LBB105_17
; %bb.16:
	s_waitcnt lgkmcnt(1)
	v_add_f32_e32 v1, v1, v3
	v_add_u32_e32 v3, 10, v0
	v_cmp_eq_u32_e32 vcc, 1, v3
	s_waitcnt lgkmcnt(0)
	v_add_f32_e32 v2, v2, v4
	v_cndmask_b32_e32 v4, v16, v17, vcc
	v_cmp_eq_u32_e32 vcc, 2, v3
	v_cndmask_b32_e32 v4, v4, v15, vcc
	v_cmp_eq_u32_e32 vcc, 3, v3
	;; [unrolled: 2-line block ×9, first 2 shown]
	v_cndmask_b32_e32 v4, v4, v1, vcc
	v_mad_u64_u32 v[0:1], s[0:1], s2, 5, v[0:1]
	v_mov_b32_e32 v1, 0
	v_cmp_eq_u32_e32 vcc, 11, v3
	v_lshlrev_b64 v[0:1], 2, v[0:1]
	v_cndmask_b32_e32 v2, v4, v2, vcc
	v_mov_b32_e32 v3, s5
	v_add_co_u32_e32 v0, vcc, s4, v0
	v_addc_co_u32_e32 v1, vcc, v3, v1, vcc
	global_store_dword v[0:1], v2, off
.LBB105_17:
	s_endpgm
	.section	.rodata,"a",@progbits
	.p2align	6, 0x0
	.amdhsa_kernel _ZL13mul_mat_vec_qIL9ggml_type10ELi6ELb0ELb0EEvPKvS2_PKi31ggml_cuda_mm_fusion_args_devicePfj15HIP_vector_typeIjLj3EEjjjS8_jjjS8_jjjj
		.amdhsa_group_segment_fixed_size 0
		.amdhsa_private_segment_fixed_size 0
		.amdhsa_kernarg_size 144
		.amdhsa_user_sgpr_count 6
		.amdhsa_user_sgpr_private_segment_buffer 1
		.amdhsa_user_sgpr_dispatch_ptr 0
		.amdhsa_user_sgpr_queue_ptr 0
		.amdhsa_user_sgpr_kernarg_segment_ptr 1
		.amdhsa_user_sgpr_dispatch_id 0
		.amdhsa_user_sgpr_flat_scratch_init 0
		.amdhsa_user_sgpr_private_segment_size 0
		.amdhsa_uses_dynamic_stack 0
		.amdhsa_system_sgpr_private_segment_wavefront_offset 0
		.amdhsa_system_sgpr_workgroup_id_x 1
		.amdhsa_system_sgpr_workgroup_id_y 1
		.amdhsa_system_sgpr_workgroup_id_z 1
		.amdhsa_system_sgpr_workgroup_info 0
		.amdhsa_system_vgpr_workitem_id 1
		.amdhsa_next_free_vgpr 64
		.amdhsa_next_free_sgpr 26
		.amdhsa_reserve_vcc 1
		.amdhsa_reserve_flat_scratch 0
		.amdhsa_float_round_mode_32 0
		.amdhsa_float_round_mode_16_64 0
		.amdhsa_float_denorm_mode_32 3
		.amdhsa_float_denorm_mode_16_64 3
		.amdhsa_dx10_clamp 1
		.amdhsa_ieee_mode 1
		.amdhsa_fp16_overflow 0
		.amdhsa_exception_fp_ieee_invalid_op 0
		.amdhsa_exception_fp_denorm_src 0
		.amdhsa_exception_fp_ieee_div_zero 0
		.amdhsa_exception_fp_ieee_overflow 0
		.amdhsa_exception_fp_ieee_underflow 0
		.amdhsa_exception_fp_ieee_inexact 0
		.amdhsa_exception_int_div_zero 0
	.end_amdhsa_kernel
	.section	.text._ZL13mul_mat_vec_qIL9ggml_type10ELi6ELb0ELb0EEvPKvS2_PKi31ggml_cuda_mm_fusion_args_devicePfj15HIP_vector_typeIjLj3EEjjjS8_jjjS8_jjjj,"axG",@progbits,_ZL13mul_mat_vec_qIL9ggml_type10ELi6ELb0ELb0EEvPKvS2_PKi31ggml_cuda_mm_fusion_args_devicePfj15HIP_vector_typeIjLj3EEjjjS8_jjjS8_jjjj,comdat
.Lfunc_end105:
	.size	_ZL13mul_mat_vec_qIL9ggml_type10ELi6ELb0ELb0EEvPKvS2_PKi31ggml_cuda_mm_fusion_args_devicePfj15HIP_vector_typeIjLj3EEjjjS8_jjjS8_jjjj, .Lfunc_end105-_ZL13mul_mat_vec_qIL9ggml_type10ELi6ELb0ELb0EEvPKvS2_PKi31ggml_cuda_mm_fusion_args_devicePfj15HIP_vector_typeIjLj3EEjjjS8_jjjS8_jjjj
                                        ; -- End function
	.set _ZL13mul_mat_vec_qIL9ggml_type10ELi6ELb0ELb0EEvPKvS2_PKi31ggml_cuda_mm_fusion_args_devicePfj15HIP_vector_typeIjLj3EEjjjS8_jjjS8_jjjj.num_vgpr, 64
	.set _ZL13mul_mat_vec_qIL9ggml_type10ELi6ELb0ELb0EEvPKvS2_PKi31ggml_cuda_mm_fusion_args_devicePfj15HIP_vector_typeIjLj3EEjjjS8_jjjS8_jjjj.num_agpr, 0
	.set _ZL13mul_mat_vec_qIL9ggml_type10ELi6ELb0ELb0EEvPKvS2_PKi31ggml_cuda_mm_fusion_args_devicePfj15HIP_vector_typeIjLj3EEjjjS8_jjjS8_jjjj.numbered_sgpr, 26
	.set _ZL13mul_mat_vec_qIL9ggml_type10ELi6ELb0ELb0EEvPKvS2_PKi31ggml_cuda_mm_fusion_args_devicePfj15HIP_vector_typeIjLj3EEjjjS8_jjjS8_jjjj.num_named_barrier, 0
	.set _ZL13mul_mat_vec_qIL9ggml_type10ELi6ELb0ELb0EEvPKvS2_PKi31ggml_cuda_mm_fusion_args_devicePfj15HIP_vector_typeIjLj3EEjjjS8_jjjS8_jjjj.private_seg_size, 0
	.set _ZL13mul_mat_vec_qIL9ggml_type10ELi6ELb0ELb0EEvPKvS2_PKi31ggml_cuda_mm_fusion_args_devicePfj15HIP_vector_typeIjLj3EEjjjS8_jjjS8_jjjj.uses_vcc, 1
	.set _ZL13mul_mat_vec_qIL9ggml_type10ELi6ELb0ELb0EEvPKvS2_PKi31ggml_cuda_mm_fusion_args_devicePfj15HIP_vector_typeIjLj3EEjjjS8_jjjS8_jjjj.uses_flat_scratch, 0
	.set _ZL13mul_mat_vec_qIL9ggml_type10ELi6ELb0ELb0EEvPKvS2_PKi31ggml_cuda_mm_fusion_args_devicePfj15HIP_vector_typeIjLj3EEjjjS8_jjjS8_jjjj.has_dyn_sized_stack, 0
	.set _ZL13mul_mat_vec_qIL9ggml_type10ELi6ELb0ELb0EEvPKvS2_PKi31ggml_cuda_mm_fusion_args_devicePfj15HIP_vector_typeIjLj3EEjjjS8_jjjS8_jjjj.has_recursion, 0
	.set _ZL13mul_mat_vec_qIL9ggml_type10ELi6ELb0ELb0EEvPKvS2_PKi31ggml_cuda_mm_fusion_args_devicePfj15HIP_vector_typeIjLj3EEjjjS8_jjjS8_jjjj.has_indirect_call, 0
	.section	.AMDGPU.csdata,"",@progbits
; Kernel info:
; codeLenInByte = 6188
; TotalNumSgprs: 30
; NumVgprs: 64
; ScratchSize: 0
; MemoryBound: 0
; FloatMode: 240
; IeeeMode: 1
; LDSByteSize: 0 bytes/workgroup (compile time only)
; SGPRBlocks: 3
; VGPRBlocks: 15
; NumSGPRsForWavesPerEU: 30
; NumVGPRsForWavesPerEU: 64
; Occupancy: 4
; WaveLimiterHint : 0
; COMPUTE_PGM_RSRC2:SCRATCH_EN: 0
; COMPUTE_PGM_RSRC2:USER_SGPR: 6
; COMPUTE_PGM_RSRC2:TRAP_HANDLER: 0
; COMPUTE_PGM_RSRC2:TGID_X_EN: 1
; COMPUTE_PGM_RSRC2:TGID_Y_EN: 1
; COMPUTE_PGM_RSRC2:TGID_Z_EN: 1
; COMPUTE_PGM_RSRC2:TIDIG_COMP_CNT: 1
	.section	.text._ZL13mul_mat_vec_qIL9ggml_type10ELi7ELb0ELb0EEvPKvS2_PKi31ggml_cuda_mm_fusion_args_devicePfj15HIP_vector_typeIjLj3EEjjjS8_jjjS8_jjjj,"axG",@progbits,_ZL13mul_mat_vec_qIL9ggml_type10ELi7ELb0ELb0EEvPKvS2_PKi31ggml_cuda_mm_fusion_args_devicePfj15HIP_vector_typeIjLj3EEjjjS8_jjjS8_jjjj,comdat
	.globl	_ZL13mul_mat_vec_qIL9ggml_type10ELi7ELb0ELb0EEvPKvS2_PKi31ggml_cuda_mm_fusion_args_devicePfj15HIP_vector_typeIjLj3EEjjjS8_jjjS8_jjjj ; -- Begin function _ZL13mul_mat_vec_qIL9ggml_type10ELi7ELb0ELb0EEvPKvS2_PKi31ggml_cuda_mm_fusion_args_devicePfj15HIP_vector_typeIjLj3EEjjjS8_jjjS8_jjjj
	.p2align	8
	.type	_ZL13mul_mat_vec_qIL9ggml_type10ELi7ELb0ELb0EEvPKvS2_PKi31ggml_cuda_mm_fusion_args_devicePfj15HIP_vector_typeIjLj3EEjjjS8_jjjS8_jjjj,@function
_ZL13mul_mat_vec_qIL9ggml_type10ELi7ELb0ELb0EEvPKvS2_PKi31ggml_cuda_mm_fusion_args_devicePfj15HIP_vector_typeIjLj3EEjjjS8_jjjS8_jjjj: ; @_ZL13mul_mat_vec_qIL9ggml_type10ELi7ELb0ELb0EEvPKvS2_PKi31ggml_cuda_mm_fusion_args_devicePfj15HIP_vector_typeIjLj3EEjjjS8_jjjS8_jjjj
; %bb.0:
	s_load_dword s9, s[4:5], 0x40
	s_load_dwordx4 s[0:3], s[4:5], 0x50
	s_load_dword s25, s[4:5], 0x60
	s_load_dwordx4 s[12:15], s[4:5], 0x68
	;; [unrolled: 2-line block ×3, first 2 shown]
	v_lshl_or_b32 v2, v1, 6, v0
	s_waitcnt lgkmcnt(0)
	s_lshr_b32 s9, s9, 8
	v_lshrrev_b32_e32 v20, 4, v2
	s_lshl_b32 s6, s6, 1
	v_cmp_gt_u32_e32 vcc, s9, v20
	v_mov_b32_e32 v6, 0
	v_mov_b32_e32 v7, 0
	;; [unrolled: 1-line block ×14, first 2 shown]
	s_and_saveexec_b64 s[10:11], vcc
	s_cbranch_execz .LBB106_4
; %bb.1:
	s_mul_hi_u32 s3, s3, s7
	s_add_i32 s3, s7, s3
	s_lshr_b32 s3, s3, s25
	s_load_dwordx4 s[20:23], s[4:5], 0x0
	s_mul_i32 s3, s3, s12
	s_mul_hi_u32 s12, s15, s8
	s_add_i32 s12, s8, s12
	s_lshr_b32 s12, s12, s24
	s_mul_i32 s15, s12, s16
	s_mul_i32 s12, s17, s8
	s_mul_hi_u32 s16, s12, 36
	s_mul_i32 s12, s12, 36
	s_waitcnt lgkmcnt(0)
	s_add_u32 s12, s22, s12
	s_mul_i32 s13, s13, s7
	s_addc_u32 s16, s23, s16
	s_mul_hi_u32 s17, s13, 36
	s_mul_i32 s13, s13, 36
	s_add_u32 s12, s12, s13
	v_lshrrev_b32_e32 v2, 1, v0
	s_addc_u32 s13, s16, s17
	v_and_b32_e32 v2, 4, v2
	v_mad_u64_u32 v[2:3], s[16:17], v2, 36, s[12:13]
	v_bfe_u32 v4, v0, 2, 1
	s_add_i32 s16, s6, 1
	s_add_i32 s15, s15, s3
	v_and_or_b32 v21, v0, 8, v4
	s_mul_i32 s3, s6, s0
	s_mul_i32 s0, s0, s16
	v_bfe_u32 v4, v0, 3, 1
	s_add_i32 s3, s15, s3
	s_add_i32 s0, s15, s0
	v_mul_hi_u32_u24_e32 v5, 0x90, v4
	v_mul_u32_u24_e32 v4, 0x90, v4
	s_movk_i32 s15, 0x120
	v_mad_u64_u32 v[4:5], s[16:17], v20, s15, v[4:5]
	v_and_b32_e32 v7, 15, v0
	v_and_b32_e32 v8, 7, v0
	v_mov_b32_e32 v9, s13
	v_add_co_u32_e32 v4, vcc, s12, v4
	v_mov_b32_e32 v6, 0
	v_lshlrev_b32_e32 v22, 2, v8
	v_addc_co_u32_e32 v5, vcc, v9, v5, vcc
	v_lshlrev_b32_e32 v23, 3, v20
	s_mul_i32 s15, s1, 6
	s_lshl_b32 s16, s1, 1
	s_mul_i32 s17, s1, 3
	s_lshl_b32 s19, s1, 2
	s_mul_i32 s22, s1, 5
	s_mov_b64 s[12:13], 0
	s_movk_i32 s23, 0x54
	v_lshlrev_b32_e32 v24, 2, v7
	s_mov_b32 s24, 0x1010101
	v_lshlrev_b32_e32 v25, 2, v8
	v_mov_b32_e32 v7, 0
	v_mov_b32_e32 v8, 0
	;; [unrolled: 1-line block ×13, first 2 shown]
.LBB106_2:                              ; =>This Inner Loop Header: Depth=1
	v_add_co_u32_e32 v26, vcc, v4, v22
	v_addc_co_u32_e32 v27, vcc, 0, v5, vcc
	global_load_dword v32, v[26:27], off offset:4
	global_load_dword v33, v[4:5], off
	global_load_dword v54, v[26:27], off offset:40
	global_load_dword v55, v[4:5], off offset:36
	;; [unrolled: 1-line block ×6, first 2 shown]
	v_mov_b32_e32 v27, s21
	v_add_u32_e32 v28, s3, v20
	v_mov_b32_e32 v26, s20
	v_mad_i64_i32 v[28:29], s[26:27], v28, s23, v[26:27]
	v_add_co_u32_e32 v30, vcc, v28, v24
	v_addc_co_u32_e32 v31, vcc, 0, v29, vcc
	global_load_dword v44, v[30:31], off offset:16
	v_add_co_u32_e32 v30, vcc, v28, v21
	v_addc_co_u32_e32 v31, vcc, 0, v29, vcc
	global_load_dword v34, v[28:29], off offset:80
	global_load_ubyte v37, v[30:31], off
	global_load_ubyte v40, v[30:31], off offset:2
	global_load_ubyte v43, v[30:31], off offset:4
	s_waitcnt vmcnt(4)
	v_and_b32_e32 v35, 0x3030303, v44
	global_load_ubyte v30, v[30:31], off offset:6
	v_lshrrev_b32_e32 v38, 2, v44
	v_dot4_i32_i8 v28, v35, v32, 0
	v_and_b32_e32 v38, 0x3030303, v38
	s_waitcnt vmcnt(3)
	v_and_b32_e32 v36, 15, v37
	v_mul_lo_u32 v28, v36, v28
	v_dot4_i32_i8 v41, v38, v54, 0
	s_waitcnt vmcnt(2)
	v_and_b32_e32 v39, 15, v40
	v_mul_lo_u32 v41, v39, v41
	v_lshrrev_b32_e32 v29, 4, v37
	v_cvt_f32_i32_e32 v28, v28
	v_mul_lo_u32 v37, v29, s24
	v_lshrrev_b32_e32 v40, 4, v40
	v_cvt_f32_i32_e32 v41, v41
	v_mul_lo_u32 v40, v40, s24
	v_fma_mix_f32 v28, v33, v28, 0 op_sel_hi:[1,0,0]
	v_dot4_i32_i8 v29, v37, v32, 0
	v_cvt_f32_i32_e32 v29, v29
	v_fma_mix_f32 v28, v55, v41, v28 op_sel_hi:[1,0,0]
	v_dot4_i32_i8 v41, v40, v54, 0
	v_cvt_f32_i32_e32 v41, v41
	v_fma_mix_f32 v29, v33, v29, 0 op_sel_hi:[1,0,0]
	s_waitcnt vmcnt(1)
	v_and_b32_e32 v42, 15, v43
	v_lshrrev_b32_e32 v43, 4, v43
	v_fma_mix_f32 v29, v55, v41, v29 op_sel_hi:[1,0,0]
	v_lshrrev_b32_e32 v41, 4, v44
	v_and_b32_e32 v41, 0x3030303, v41
	v_dot4_i32_i8 v45, v41, v56, 0
	v_mul_lo_u32 v45, v42, v45
	v_mul_lo_u32 v43, v43, s24
	v_lshrrev_b32_e32 v31, 6, v44
	v_and_b32_e32 v44, 0x3030303, v31
	v_cvt_f32_i32_e32 v45, v45
	v_dot4_i32_i8 v31, v44, v58, 0
	v_cvt_f32_f16_sdwa v47, v34 dst_sel:DWORD dst_unused:UNUSED_PAD src0_sel:WORD_1
	v_fma_mix_f32 v28, v57, v45, v28 op_sel_hi:[1,0,0]
	v_dot4_i32_i8 v45, v43, v56, 0
	v_cvt_f32_i32_e32 v45, v45
	v_fma_mix_f32 v29, v57, v45, v29 op_sel_hi:[1,0,0]
	s_waitcnt vmcnt(0)
	v_and_b32_e32 v45, 15, v30
	v_lshrrev_b32_e32 v30, 4, v30
	v_mul_lo_u32 v46, v30, s24
	v_mul_lo_u32 v31, v45, v31
	v_dot4_i32_i8 v30, v46, v58, 0
	v_cvt_f32_i32_e32 v30, v30
	v_cvt_f32_i32_e32 v31, v31
	v_fma_mix_f32 v29, v59, v30, v29 op_sel_hi:[1,0,0]
	v_fma_mix_f32 v28, v59, v31, v28 op_sel_hi:[1,0,0]
	v_mul_f32_e32 v29, v29, v47
	v_fma_mix_f32 v28, v28, v34, -v29 op_sel_hi:[0,1,0]
	v_add_f32_e32 v19, v19, v28
	v_add_u32_e32 v28, s0, v20
	v_mad_i64_i32 v[27:28], s[26:27], v28, s23, v[26:27]
	v_add_u32_e32 v20, 4, v20
	v_add_co_u32_e32 v29, vcc, v27, v24
	v_addc_co_u32_e32 v30, vcc, 0, v28, vcc
	global_load_dword v60, v[29:30], off offset:16
	v_add_co_u32_e32 v29, vcc, v27, v21
	v_addc_co_u32_e32 v30, vcc, 0, v28, vcc
	global_load_dword v26, v[27:28], off offset:80
	global_load_ubyte v31, v[29:30], off
	s_waitcnt vmcnt(2)
	v_and_b32_e32 v51, 0x3030303, v60
	v_dot4_i32_i8 v27, v51, v32, 0
	s_waitcnt vmcnt(0)
	v_and_b32_e32 v52, 15, v31
	v_lshrrev_b32_e32 v28, 4, v31
	global_load_ubyte v31, v[29:30], off offset:2
	v_mul_lo_u32 v53, v28, s24
	v_mul_lo_u32 v27, v52, v27
	v_dot4_i32_i8 v28, v53, v32, 0
	v_cvt_f32_i32_e32 v28, v28
	v_lshrrev_b32_e32 v32, 2, v60
	v_and_b32_e32 v49, 0x3030303, v32
	v_dot4_i32_i8 v32, v49, v54, 0
	v_fma_mix_f32 v28, v33, v28, 0 op_sel_hi:[1,0,0]
	v_cvt_f32_i32_e32 v27, v27
	v_fma_mix_f32 v27, v33, v27, 0 op_sel_hi:[1,0,0]
	s_waitcnt vmcnt(0)
	v_and_b32_e32 v50, 15, v31
	v_lshrrev_b32_e32 v31, 4, v31
	v_mul_lo_u32 v48, v31, s24
	v_mul_lo_u32 v32, v50, v32
	v_dot4_i32_i8 v31, v48, v54, 0
	v_cvt_f32_i32_e32 v31, v31
	v_cvt_f32_i32_e32 v32, v32
	v_fma_mix_f32 v28, v55, v31, v28 op_sel_hi:[1,0,0]
	global_load_ubyte v31, v[29:30], off offset:4
	v_fma_mix_f32 v27, v55, v32, v27 op_sel_hi:[1,0,0]
	v_lshrrev_b32_e32 v32, 4, v60
	v_and_b32_e32 v32, 0x3030303, v32
	v_dot4_i32_i8 v54, v32, v56, 0
	s_waitcnt vmcnt(0)
	v_and_b32_e32 v33, 15, v31
	v_mul_lo_u32 v54, v33, v54
	v_cvt_f32_i32_e32 v54, v54
	v_fma_mix_f32 v54, v57, v54, v27 op_sel_hi:[1,0,0]
	v_lshrrev_b32_e32 v27, 4, v31
	v_mul_lo_u32 v31, v27, s24
	v_dot4_i32_i8 v27, v31, v56, 0
	v_cvt_f32_i32_e32 v27, v27
	v_fma_mix_f32 v55, v57, v27, v28 op_sel_hi:[1,0,0]
	global_load_ubyte v28, v[29:30], off offset:6
	v_lshrrev_b32_e32 v27, 6, v60
	v_and_b32_e32 v30, 0x3030303, v27
	v_dot4_i32_i8 v29, v30, v58, 0
	s_waitcnt vmcnt(0)
	v_and_b32_e32 v27, 15, v28
	v_mul_lo_u32 v29, v27, v29
	v_lshrrev_b32_e32 v28, 4, v28
	v_mul_lo_u32 v28, v28, s24
	v_cvt_f32_i32_e32 v29, v29
	v_fma_mix_f32 v54, v59, v29, v54 op_sel_hi:[1,0,0]
	v_dot4_i32_i8 v29, v28, v58, 0
	v_cvt_f32_i32_e32 v29, v29
	v_fma_mix_f32 v55, v59, v29, v55 op_sel_hi:[1,0,0]
	v_cvt_f32_f16_sdwa v29, v26 dst_sel:DWORD dst_unused:UNUSED_PAD src0_sel:WORD_1
	v_mul_f32_e32 v55, v55, v29
	v_fma_mix_f32 v54, v54, v26, -v55 op_sel_hi:[0,1,0]
	v_add_f32_e32 v18, v18, v54
	v_add_u32_e32 v54, s1, v23
	v_mad_u64_u32 v[54:55], s[26:27], v54, 36, v[2:3]
	v_add_co_u32_e32 v56, vcc, v54, v25
	v_addc_co_u32_e32 v57, vcc, 0, v55, vcc
	global_load_dword v58, v[56:57], off offset:4
	global_load_dword v59, v[54:55], off
	global_load_dword v60, v[56:57], off offset:40
	global_load_dword v61, v[54:55], off offset:36
	;; [unrolled: 1-line block ×6, first 2 shown]
	s_waitcnt vmcnt(7)
	v_dot4_i32_i8 v54, v35, v58, 0
	v_mul_lo_u32 v54, v36, v54
	s_waitcnt vmcnt(5)
	v_dot4_i32_i8 v56, v38, v60, 0
	v_mul_lo_u32 v56, v39, v56
	v_dot4_i32_i8 v55, v37, v58, 0
	v_cvt_f32_i32_e32 v54, v54
	v_cvt_f32_i32_e32 v55, v55
	;; [unrolled: 1-line block ×3, first 2 shown]
	v_fma_mix_f32 v54, v59, v54, 0 op_sel_hi:[1,0,0]
	v_fma_mix_f32 v55, v59, v55, 0 op_sel_hi:[1,0,0]
	s_waitcnt vmcnt(4)
	v_fma_mix_f32 v54, v61, v56, v54 op_sel_hi:[1,0,0]
	v_dot4_i32_i8 v56, v40, v60, 0
	v_cvt_f32_i32_e32 v56, v56
	v_fma_mix_f32 v55, v61, v56, v55 op_sel_hi:[1,0,0]
	s_waitcnt vmcnt(3)
	v_dot4_i32_i8 v56, v41, v62, 0
	v_mul_lo_u32 v56, v42, v56
	v_cvt_f32_i32_e32 v56, v56
	s_waitcnt vmcnt(2)
	v_fma_mix_f32 v54, v63, v56, v54 op_sel_hi:[1,0,0]
	v_dot4_i32_i8 v56, v43, v62, 0
	v_cvt_f32_i32_e32 v56, v56
	v_fma_mix_f32 v55, v63, v56, v55 op_sel_hi:[1,0,0]
	s_waitcnt vmcnt(1)
	v_dot4_i32_i8 v56, v44, v64, 0
	v_mul_lo_u32 v56, v45, v56
	v_cvt_f32_i32_e32 v56, v56
	s_waitcnt vmcnt(0)
	v_fma_mix_f32 v54, v65, v56, v54 op_sel_hi:[1,0,0]
	v_dot4_i32_i8 v56, v46, v64, 0
	v_cvt_f32_i32_e32 v56, v56
	v_fma_mix_f32 v55, v65, v56, v55 op_sel_hi:[1,0,0]
	v_mul_f32_e32 v55, v55, v47
	v_fma_mix_f32 v54, v54, v34, -v55 op_sel_hi:[0,1,0]
	v_add_f32_e32 v17, v17, v54
	v_dot4_i32_i8 v54, v51, v58, 0
	v_mul_lo_u32 v54, v52, v54
	v_dot4_i32_i8 v56, v49, v60, 0
	v_mul_lo_u32 v56, v50, v56
	v_dot4_i32_i8 v55, v53, v58, 0
	v_cvt_f32_i32_e32 v54, v54
	v_cvt_f32_i32_e32 v55, v55
	;; [unrolled: 1-line block ×3, first 2 shown]
	v_fma_mix_f32 v54, v59, v54, 0 op_sel_hi:[1,0,0]
	v_fma_mix_f32 v55, v59, v55, 0 op_sel_hi:[1,0,0]
	;; [unrolled: 1-line block ×3, first 2 shown]
	v_dot4_i32_i8 v56, v48, v60, 0
	v_cvt_f32_i32_e32 v56, v56
	v_fma_mix_f32 v55, v61, v56, v55 op_sel_hi:[1,0,0]
	v_dot4_i32_i8 v56, v32, v62, 0
	v_mul_lo_u32 v56, v33, v56
	v_cvt_f32_i32_e32 v56, v56
	v_fma_mix_f32 v54, v63, v56, v54 op_sel_hi:[1,0,0]
	v_dot4_i32_i8 v56, v31, v62, 0
	v_cvt_f32_i32_e32 v56, v56
	v_fma_mix_f32 v55, v63, v56, v55 op_sel_hi:[1,0,0]
	v_dot4_i32_i8 v56, v30, v64, 0
	v_mul_lo_u32 v56, v27, v56
	v_cvt_f32_i32_e32 v56, v56
	v_fma_mix_f32 v54, v65, v56, v54 op_sel_hi:[1,0,0]
	v_dot4_i32_i8 v56, v28, v64, 0
	v_cvt_f32_i32_e32 v56, v56
	v_fma_mix_f32 v55, v65, v56, v55 op_sel_hi:[1,0,0]
	v_mul_f32_e32 v55, v55, v29
	v_fma_mix_f32 v54, v54, v26, -v55 op_sel_hi:[0,1,0]
	v_add_f32_e32 v16, v16, v54
	v_add_u32_e32 v54, s16, v23
	v_mad_u64_u32 v[54:55], s[26:27], v54, 36, v[2:3]
	v_add_co_u32_e32 v56, vcc, v54, v25
	v_addc_co_u32_e32 v57, vcc, 0, v55, vcc
	global_load_dword v58, v[56:57], off offset:4
	global_load_dword v59, v[54:55], off
	global_load_dword v60, v[56:57], off offset:40
	global_load_dword v61, v[54:55], off offset:36
	;; [unrolled: 1-line block ×6, first 2 shown]
	s_waitcnt vmcnt(7)
	v_dot4_i32_i8 v54, v35, v58, 0
	v_mul_lo_u32 v54, v36, v54
	s_waitcnt vmcnt(5)
	v_dot4_i32_i8 v56, v38, v60, 0
	v_mul_lo_u32 v56, v39, v56
	v_dot4_i32_i8 v55, v37, v58, 0
	v_cvt_f32_i32_e32 v54, v54
	v_cvt_f32_i32_e32 v55, v55
	;; [unrolled: 1-line block ×3, first 2 shown]
	v_fma_mix_f32 v54, v59, v54, 0 op_sel_hi:[1,0,0]
	v_fma_mix_f32 v55, v59, v55, 0 op_sel_hi:[1,0,0]
	s_waitcnt vmcnt(4)
	v_fma_mix_f32 v54, v61, v56, v54 op_sel_hi:[1,0,0]
	v_dot4_i32_i8 v56, v40, v60, 0
	v_cvt_f32_i32_e32 v56, v56
	v_fma_mix_f32 v55, v61, v56, v55 op_sel_hi:[1,0,0]
	s_waitcnt vmcnt(3)
	v_dot4_i32_i8 v56, v41, v62, 0
	v_mul_lo_u32 v56, v42, v56
	v_cvt_f32_i32_e32 v56, v56
	s_waitcnt vmcnt(2)
	v_fma_mix_f32 v54, v63, v56, v54 op_sel_hi:[1,0,0]
	v_dot4_i32_i8 v56, v43, v62, 0
	v_cvt_f32_i32_e32 v56, v56
	v_fma_mix_f32 v55, v63, v56, v55 op_sel_hi:[1,0,0]
	s_waitcnt vmcnt(1)
	v_dot4_i32_i8 v56, v44, v64, 0
	v_mul_lo_u32 v56, v45, v56
	v_cvt_f32_i32_e32 v56, v56
	s_waitcnt vmcnt(0)
	v_fma_mix_f32 v54, v65, v56, v54 op_sel_hi:[1,0,0]
	v_dot4_i32_i8 v56, v46, v64, 0
	v_cvt_f32_i32_e32 v56, v56
	v_fma_mix_f32 v55, v65, v56, v55 op_sel_hi:[1,0,0]
	v_mul_f32_e32 v55, v55, v47
	v_fma_mix_f32 v54, v54, v34, -v55 op_sel_hi:[0,1,0]
	v_add_f32_e32 v15, v15, v54
	v_dot4_i32_i8 v54, v51, v58, 0
	v_mul_lo_u32 v54, v52, v54
	v_dot4_i32_i8 v56, v49, v60, 0
	v_mul_lo_u32 v56, v50, v56
	v_dot4_i32_i8 v55, v53, v58, 0
	v_cvt_f32_i32_e32 v54, v54
	v_cvt_f32_i32_e32 v55, v55
	;; [unrolled: 1-line block ×3, first 2 shown]
	v_fma_mix_f32 v54, v59, v54, 0 op_sel_hi:[1,0,0]
	v_fma_mix_f32 v55, v59, v55, 0 op_sel_hi:[1,0,0]
	;; [unrolled: 1-line block ×3, first 2 shown]
	v_dot4_i32_i8 v56, v48, v60, 0
	v_cvt_f32_i32_e32 v56, v56
	v_fma_mix_f32 v55, v61, v56, v55 op_sel_hi:[1,0,0]
	v_dot4_i32_i8 v56, v32, v62, 0
	v_mul_lo_u32 v56, v33, v56
	v_cvt_f32_i32_e32 v56, v56
	v_fma_mix_f32 v54, v63, v56, v54 op_sel_hi:[1,0,0]
	v_dot4_i32_i8 v56, v31, v62, 0
	v_cvt_f32_i32_e32 v56, v56
	v_fma_mix_f32 v55, v63, v56, v55 op_sel_hi:[1,0,0]
	v_dot4_i32_i8 v56, v30, v64, 0
	v_mul_lo_u32 v56, v27, v56
	v_cvt_f32_i32_e32 v56, v56
	v_fma_mix_f32 v54, v65, v56, v54 op_sel_hi:[1,0,0]
	v_dot4_i32_i8 v56, v28, v64, 0
	v_cvt_f32_i32_e32 v56, v56
	v_fma_mix_f32 v55, v65, v56, v55 op_sel_hi:[1,0,0]
	v_mul_f32_e32 v55, v55, v29
	v_fma_mix_f32 v54, v54, v26, -v55 op_sel_hi:[0,1,0]
	v_add_f32_e32 v14, v14, v54
	v_add_u32_e32 v54, s17, v23
	v_mad_u64_u32 v[54:55], s[26:27], v54, 36, v[2:3]
	v_add_co_u32_e32 v56, vcc, v54, v25
	v_addc_co_u32_e32 v57, vcc, 0, v55, vcc
	global_load_dword v58, v[56:57], off offset:4
	global_load_dword v59, v[54:55], off
	global_load_dword v60, v[56:57], off offset:40
	global_load_dword v61, v[54:55], off offset:36
	;; [unrolled: 1-line block ×6, first 2 shown]
	s_waitcnt vmcnt(7)
	v_dot4_i32_i8 v54, v35, v58, 0
	v_mul_lo_u32 v54, v36, v54
	s_waitcnt vmcnt(5)
	v_dot4_i32_i8 v56, v38, v60, 0
	v_mul_lo_u32 v56, v39, v56
	v_dot4_i32_i8 v55, v37, v58, 0
	v_cvt_f32_i32_e32 v54, v54
	v_cvt_f32_i32_e32 v55, v55
	;; [unrolled: 1-line block ×3, first 2 shown]
	v_fma_mix_f32 v54, v59, v54, 0 op_sel_hi:[1,0,0]
	v_fma_mix_f32 v55, v59, v55, 0 op_sel_hi:[1,0,0]
	s_waitcnt vmcnt(4)
	v_fma_mix_f32 v54, v61, v56, v54 op_sel_hi:[1,0,0]
	v_dot4_i32_i8 v56, v40, v60, 0
	v_cvt_f32_i32_e32 v56, v56
	v_fma_mix_f32 v55, v61, v56, v55 op_sel_hi:[1,0,0]
	s_waitcnt vmcnt(3)
	v_dot4_i32_i8 v56, v41, v62, 0
	v_mul_lo_u32 v56, v42, v56
	v_cvt_f32_i32_e32 v56, v56
	s_waitcnt vmcnt(2)
	v_fma_mix_f32 v54, v63, v56, v54 op_sel_hi:[1,0,0]
	v_dot4_i32_i8 v56, v43, v62, 0
	v_cvt_f32_i32_e32 v56, v56
	v_fma_mix_f32 v55, v63, v56, v55 op_sel_hi:[1,0,0]
	s_waitcnt vmcnt(1)
	v_dot4_i32_i8 v56, v44, v64, 0
	v_mul_lo_u32 v56, v45, v56
	v_cvt_f32_i32_e32 v56, v56
	s_waitcnt vmcnt(0)
	v_fma_mix_f32 v54, v65, v56, v54 op_sel_hi:[1,0,0]
	v_dot4_i32_i8 v56, v46, v64, 0
	v_cvt_f32_i32_e32 v56, v56
	v_fma_mix_f32 v55, v65, v56, v55 op_sel_hi:[1,0,0]
	v_mul_f32_e32 v55, v55, v47
	v_fma_mix_f32 v54, v54, v34, -v55 op_sel_hi:[0,1,0]
	v_add_f32_e32 v13, v13, v54
	v_dot4_i32_i8 v54, v51, v58, 0
	v_mul_lo_u32 v54, v52, v54
	v_dot4_i32_i8 v56, v49, v60, 0
	v_mul_lo_u32 v56, v50, v56
	v_dot4_i32_i8 v55, v53, v58, 0
	v_cvt_f32_i32_e32 v54, v54
	v_cvt_f32_i32_e32 v55, v55
	;; [unrolled: 1-line block ×3, first 2 shown]
	v_fma_mix_f32 v54, v59, v54, 0 op_sel_hi:[1,0,0]
	v_fma_mix_f32 v55, v59, v55, 0 op_sel_hi:[1,0,0]
	;; [unrolled: 1-line block ×3, first 2 shown]
	v_dot4_i32_i8 v56, v48, v60, 0
	v_cvt_f32_i32_e32 v56, v56
	v_fma_mix_f32 v55, v61, v56, v55 op_sel_hi:[1,0,0]
	v_dot4_i32_i8 v56, v32, v62, 0
	v_mul_lo_u32 v56, v33, v56
	v_cvt_f32_i32_e32 v56, v56
	v_fma_mix_f32 v54, v63, v56, v54 op_sel_hi:[1,0,0]
	v_dot4_i32_i8 v56, v31, v62, 0
	v_cvt_f32_i32_e32 v56, v56
	v_fma_mix_f32 v55, v63, v56, v55 op_sel_hi:[1,0,0]
	v_dot4_i32_i8 v56, v30, v64, 0
	v_mul_lo_u32 v56, v27, v56
	v_cvt_f32_i32_e32 v56, v56
	v_fma_mix_f32 v54, v65, v56, v54 op_sel_hi:[1,0,0]
	v_dot4_i32_i8 v56, v28, v64, 0
	v_cvt_f32_i32_e32 v56, v56
	v_fma_mix_f32 v55, v65, v56, v55 op_sel_hi:[1,0,0]
	v_mul_f32_e32 v55, v55, v29
	v_fma_mix_f32 v54, v54, v26, -v55 op_sel_hi:[0,1,0]
	v_add_f32_e32 v12, v12, v54
	v_add_u32_e32 v54, s19, v23
	v_mad_u64_u32 v[54:55], s[26:27], v54, 36, v[2:3]
	v_add_co_u32_e32 v56, vcc, v54, v25
	v_addc_co_u32_e32 v57, vcc, 0, v55, vcc
	global_load_dword v58, v[56:57], off offset:4
	global_load_dword v59, v[54:55], off
	global_load_dword v60, v[56:57], off offset:40
	global_load_dword v61, v[54:55], off offset:36
	;; [unrolled: 1-line block ×6, first 2 shown]
	s_waitcnt vmcnt(7)
	v_dot4_i32_i8 v54, v35, v58, 0
	v_mul_lo_u32 v54, v36, v54
	s_waitcnt vmcnt(5)
	v_dot4_i32_i8 v56, v38, v60, 0
	v_mul_lo_u32 v56, v39, v56
	v_dot4_i32_i8 v55, v37, v58, 0
	v_cvt_f32_i32_e32 v54, v54
	v_cvt_f32_i32_e32 v55, v55
	;; [unrolled: 1-line block ×3, first 2 shown]
	v_fma_mix_f32 v54, v59, v54, 0 op_sel_hi:[1,0,0]
	v_fma_mix_f32 v55, v59, v55, 0 op_sel_hi:[1,0,0]
	s_waitcnt vmcnt(4)
	v_fma_mix_f32 v54, v61, v56, v54 op_sel_hi:[1,0,0]
	v_dot4_i32_i8 v56, v40, v60, 0
	v_cvt_f32_i32_e32 v56, v56
	v_fma_mix_f32 v55, v61, v56, v55 op_sel_hi:[1,0,0]
	s_waitcnt vmcnt(3)
	v_dot4_i32_i8 v56, v41, v62, 0
	v_mul_lo_u32 v56, v42, v56
	v_cvt_f32_i32_e32 v56, v56
	s_waitcnt vmcnt(2)
	v_fma_mix_f32 v54, v63, v56, v54 op_sel_hi:[1,0,0]
	v_dot4_i32_i8 v56, v43, v62, 0
	v_cvt_f32_i32_e32 v56, v56
	v_fma_mix_f32 v55, v63, v56, v55 op_sel_hi:[1,0,0]
	s_waitcnt vmcnt(1)
	v_dot4_i32_i8 v56, v44, v64, 0
	v_mul_lo_u32 v56, v45, v56
	v_cvt_f32_i32_e32 v56, v56
	s_waitcnt vmcnt(0)
	v_fma_mix_f32 v54, v65, v56, v54 op_sel_hi:[1,0,0]
	v_dot4_i32_i8 v56, v46, v64, 0
	v_cvt_f32_i32_e32 v56, v56
	v_fma_mix_f32 v55, v65, v56, v55 op_sel_hi:[1,0,0]
	v_mul_f32_e32 v55, v55, v47
	v_fma_mix_f32 v54, v54, v34, -v55 op_sel_hi:[0,1,0]
	v_add_f32_e32 v11, v11, v54
	v_dot4_i32_i8 v54, v51, v58, 0
	v_mul_lo_u32 v54, v52, v54
	v_dot4_i32_i8 v56, v49, v60, 0
	v_mul_lo_u32 v56, v50, v56
	v_dot4_i32_i8 v55, v53, v58, 0
	v_cvt_f32_i32_e32 v54, v54
	v_cvt_f32_i32_e32 v55, v55
	;; [unrolled: 1-line block ×3, first 2 shown]
	v_fma_mix_f32 v54, v59, v54, 0 op_sel_hi:[1,0,0]
	v_fma_mix_f32 v55, v59, v55, 0 op_sel_hi:[1,0,0]
	;; [unrolled: 1-line block ×3, first 2 shown]
	v_dot4_i32_i8 v56, v48, v60, 0
	v_cvt_f32_i32_e32 v56, v56
	v_fma_mix_f32 v55, v61, v56, v55 op_sel_hi:[1,0,0]
	v_dot4_i32_i8 v56, v32, v62, 0
	v_mul_lo_u32 v56, v33, v56
	v_cvt_f32_i32_e32 v56, v56
	v_fma_mix_f32 v54, v63, v56, v54 op_sel_hi:[1,0,0]
	v_dot4_i32_i8 v56, v31, v62, 0
	v_cvt_f32_i32_e32 v56, v56
	v_fma_mix_f32 v55, v63, v56, v55 op_sel_hi:[1,0,0]
	v_dot4_i32_i8 v56, v30, v64, 0
	v_mul_lo_u32 v56, v27, v56
	v_cvt_f32_i32_e32 v56, v56
	v_fma_mix_f32 v54, v65, v56, v54 op_sel_hi:[1,0,0]
	v_dot4_i32_i8 v56, v28, v64, 0
	v_cvt_f32_i32_e32 v56, v56
	v_fma_mix_f32 v55, v65, v56, v55 op_sel_hi:[1,0,0]
	v_mul_f32_e32 v55, v55, v29
	v_fma_mix_f32 v54, v54, v26, -v55 op_sel_hi:[0,1,0]
	v_add_f32_e32 v10, v10, v54
	v_add_u32_e32 v54, s22, v23
	v_mad_u64_u32 v[54:55], s[26:27], v54, 36, v[2:3]
	v_add_co_u32_e32 v56, vcc, v54, v25
	v_addc_co_u32_e32 v57, vcc, 0, v55, vcc
	global_load_dword v58, v[56:57], off offset:4
	global_load_dword v59, v[54:55], off
	global_load_dword v60, v[56:57], off offset:40
	global_load_dword v61, v[54:55], off offset:36
	;; [unrolled: 1-line block ×6, first 2 shown]
	s_waitcnt vmcnt(7)
	v_dot4_i32_i8 v54, v35, v58, 0
	v_mul_lo_u32 v54, v36, v54
	s_waitcnt vmcnt(5)
	v_dot4_i32_i8 v56, v38, v60, 0
	v_mul_lo_u32 v56, v39, v56
	v_dot4_i32_i8 v55, v37, v58, 0
	v_cvt_f32_i32_e32 v54, v54
	v_cvt_f32_i32_e32 v55, v55
	;; [unrolled: 1-line block ×3, first 2 shown]
	v_fma_mix_f32 v54, v59, v54, 0 op_sel_hi:[1,0,0]
	v_fma_mix_f32 v55, v59, v55, 0 op_sel_hi:[1,0,0]
	s_waitcnt vmcnt(4)
	v_fma_mix_f32 v54, v61, v56, v54 op_sel_hi:[1,0,0]
	v_dot4_i32_i8 v56, v40, v60, 0
	v_cvt_f32_i32_e32 v56, v56
	v_fma_mix_f32 v55, v61, v56, v55 op_sel_hi:[1,0,0]
	s_waitcnt vmcnt(3)
	v_dot4_i32_i8 v56, v41, v62, 0
	v_mul_lo_u32 v56, v42, v56
	v_cvt_f32_i32_e32 v56, v56
	s_waitcnt vmcnt(2)
	v_fma_mix_f32 v54, v63, v56, v54 op_sel_hi:[1,0,0]
	v_dot4_i32_i8 v56, v43, v62, 0
	v_cvt_f32_i32_e32 v56, v56
	v_fma_mix_f32 v55, v63, v56, v55 op_sel_hi:[1,0,0]
	s_waitcnt vmcnt(1)
	v_dot4_i32_i8 v56, v44, v64, 0
	v_mul_lo_u32 v56, v45, v56
	v_cvt_f32_i32_e32 v56, v56
	s_waitcnt vmcnt(0)
	v_fma_mix_f32 v54, v65, v56, v54 op_sel_hi:[1,0,0]
	v_dot4_i32_i8 v56, v46, v64, 0
	v_cvt_f32_i32_e32 v56, v56
	v_fma_mix_f32 v55, v65, v56, v55 op_sel_hi:[1,0,0]
	v_mul_f32_e32 v55, v55, v47
	v_fma_mix_f32 v54, v54, v34, -v55 op_sel_hi:[0,1,0]
	v_add_f32_e32 v9, v9, v54
	v_dot4_i32_i8 v54, v51, v58, 0
	v_mul_lo_u32 v54, v52, v54
	v_dot4_i32_i8 v56, v49, v60, 0
	v_mul_lo_u32 v56, v50, v56
	v_dot4_i32_i8 v55, v53, v58, 0
	v_cvt_f32_i32_e32 v54, v54
	v_cvt_f32_i32_e32 v55, v55
	v_cvt_f32_i32_e32 v56, v56
	v_fma_mix_f32 v54, v59, v54, 0 op_sel_hi:[1,0,0]
	v_fma_mix_f32 v55, v59, v55, 0 op_sel_hi:[1,0,0]
	;; [unrolled: 1-line block ×3, first 2 shown]
	v_dot4_i32_i8 v56, v48, v60, 0
	v_cvt_f32_i32_e32 v56, v56
	v_fma_mix_f32 v55, v61, v56, v55 op_sel_hi:[1,0,0]
	v_dot4_i32_i8 v56, v32, v62, 0
	v_mul_lo_u32 v56, v33, v56
	v_cvt_f32_i32_e32 v56, v56
	v_fma_mix_f32 v54, v63, v56, v54 op_sel_hi:[1,0,0]
	v_dot4_i32_i8 v56, v31, v62, 0
	v_cvt_f32_i32_e32 v56, v56
	v_fma_mix_f32 v55, v63, v56, v55 op_sel_hi:[1,0,0]
	v_dot4_i32_i8 v56, v30, v64, 0
	v_mul_lo_u32 v56, v27, v56
	v_cvt_f32_i32_e32 v56, v56
	v_fma_mix_f32 v54, v65, v56, v54 op_sel_hi:[1,0,0]
	v_dot4_i32_i8 v56, v28, v64, 0
	v_cvt_f32_i32_e32 v56, v56
	v_fma_mix_f32 v55, v65, v56, v55 op_sel_hi:[1,0,0]
	v_mul_f32_e32 v55, v55, v29
	v_fma_mix_f32 v54, v54, v26, -v55 op_sel_hi:[0,1,0]
	v_add_f32_e32 v8, v8, v54
	v_add_u32_e32 v54, s15, v23
	v_mad_u64_u32 v[58:59], s[26:27], v54, 36, v[2:3]
	v_add_u32_e32 v23, 32, v23
	v_add_co_u32_e32 v60, vcc, v58, v25
	v_addc_co_u32_e32 v61, vcc, 0, v59, vcc
	global_load_dword v62, v[60:61], off offset:4
	global_load_dword v63, v[58:59], off
	global_load_dword v64, v[60:61], off offset:40
	global_load_dword v65, v[58:59], off offset:36
	global_load_dword v57, v[60:61], off offset:76
	global_load_dword v56, v[58:59], off offset:72
	global_load_dword v54, v[60:61], off offset:112
	global_load_dword v55, v[58:59], off offset:108
	v_add_co_u32_e32 v4, vcc, 0x480, v4
	v_addc_co_u32_e32 v5, vcc, 0, v5, vcc
	v_cmp_le_u32_e32 vcc, s9, v20
	s_or_b64 s[12:13], vcc, s[12:13]
	s_waitcnt vmcnt(7)
	v_dot4_i32_i8 v35, v35, v62, 0
	v_mul_lo_u32 v35, v36, v35
	v_dot4_i32_i8 v36, v37, v62, 0
	s_waitcnt vmcnt(5)
	v_dot4_i32_i8 v37, v38, v64, 0
	v_mul_lo_u32 v37, v39, v37
	v_cvt_f32_i32_e32 v35, v35
	v_cvt_f32_i32_e32 v36, v36
	s_waitcnt vmcnt(3)
	v_dot4_i32_i8 v32, v32, v57, 0
	v_cvt_f32_i32_e32 v37, v37
	v_fma_mix_f32 v35, v63, v35, 0 op_sel_hi:[1,0,0]
	v_fma_mix_f32 v36, v63, v36, 0 op_sel_hi:[1,0,0]
	v_mul_lo_u32 v32, v33, v32
	v_fma_mix_f32 v35, v65, v37, v35 op_sel_hi:[1,0,0]
	v_dot4_i32_i8 v37, v40, v64, 0
	v_cvt_f32_i32_e32 v37, v37
	s_waitcnt vmcnt(1)
	v_dot4_i32_i8 v30, v30, v54, 0
	v_mul_lo_u32 v27, v27, v30
	v_dot4_i32_i8 v31, v31, v57, 0
	v_fma_mix_f32 v36, v65, v37, v36 op_sel_hi:[1,0,0]
	v_dot4_i32_i8 v37, v41, v57, 0
	v_mul_lo_u32 v37, v42, v37
	v_cvt_f32_i32_e32 v31, v31
	v_dot4_i32_i8 v28, v28, v54, 0
	v_cvt_f32_i32_e32 v32, v32
	v_cvt_f32_i32_e32 v37, v37
	;; [unrolled: 1-line block ×4, first 2 shown]
	v_fma_mix_f32 v35, v56, v37, v35 op_sel_hi:[1,0,0]
	v_dot4_i32_i8 v37, v43, v57, 0
	v_cvt_f32_i32_e32 v37, v37
	v_fma_mix_f32 v36, v56, v37, v36 op_sel_hi:[1,0,0]
	v_dot4_i32_i8 v37, v44, v54, 0
	v_mul_lo_u32 v37, v45, v37
	v_cvt_f32_i32_e32 v37, v37
	s_waitcnt vmcnt(0)
	v_fma_mix_f32 v35, v55, v37, v35 op_sel_hi:[1,0,0]
	v_dot4_i32_i8 v37, v46, v54, 0
	v_cvt_f32_i32_e32 v37, v37
	v_fma_mix_f32 v36, v55, v37, v36 op_sel_hi:[1,0,0]
	v_mul_f32_e32 v36, v36, v47
	v_fma_mix_f32 v34, v35, v34, -v36 op_sel_hi:[0,1,0]
	v_add_f32_e32 v7, v7, v34
	v_dot4_i32_i8 v34, v51, v62, 0
	v_mul_lo_u32 v34, v52, v34
	v_dot4_i32_i8 v36, v49, v64, 0
	v_mul_lo_u32 v36, v50, v36
	v_dot4_i32_i8 v35, v53, v62, 0
	v_cvt_f32_i32_e32 v34, v34
	v_cvt_f32_i32_e32 v35, v35
	;; [unrolled: 1-line block ×3, first 2 shown]
	v_fma_mix_f32 v34, v63, v34, 0 op_sel_hi:[1,0,0]
	v_fma_mix_f32 v35, v63, v35, 0 op_sel_hi:[1,0,0]
	;; [unrolled: 1-line block ×3, first 2 shown]
	v_dot4_i32_i8 v36, v48, v64, 0
	v_cvt_f32_i32_e32 v36, v36
	v_fma_mix_f32 v32, v56, v32, v34 op_sel_hi:[1,0,0]
	v_fma_mix_f32 v27, v55, v27, v32 op_sel_hi:[1,0,0]
	;; [unrolled: 1-line block ×5, first 2 shown]
	v_mul_f32_e32 v28, v28, v29
	v_fma_mix_f32 v26, v27, v26, -v28 op_sel_hi:[0,1,0]
	v_add_f32_e32 v6, v6, v26
	s_andn2_b64 exec, exec, s[12:13]
	s_cbranch_execnz .LBB106_2
; %bb.3:
	s_or_b64 exec, exec, s[12:13]
.LBB106_4:
	s_or_b64 exec, exec, s[10:11]
	s_mov_b32 s1, 0
	v_cmp_eq_u32_e32 vcc, 0, v1
	; wave barrier
	s_and_saveexec_b64 s[10:11], vcc
	s_cbranch_execz .LBB106_19
; %bb.5:
	v_mbcnt_lo_u32_b32 v1, -1, 0
	v_mbcnt_hi_u32_b32 v20, -1, v1
	v_and_b32_e32 v1, 64, v20
	v_add_u32_e32 v21, 64, v1
	v_xor_b32_e32 v1, 32, v20
	v_cmp_lt_i32_e32 vcc, v1, v21
	v_cndmask_b32_e32 v1, v20, v1, vcc
	v_lshlrev_b32_e32 v1, 2, v1
	ds_bpermute_b32 v5, v1, v19
	ds_bpermute_b32 v22, v1, v18
	v_xor_b32_e32 v2, 16, v20
	v_cmp_lt_i32_e32 vcc, v2, v21
	v_cndmask_b32_e32 v2, v20, v2, vcc
	v_lshlrev_b32_e32 v2, 2, v2
	s_waitcnt lgkmcnt(1)
	v_add_f32_e32 v5, v19, v5
	s_waitcnt lgkmcnt(0)
	v_add_f32_e32 v18, v18, v22
	ds_bpermute_b32 v19, v2, v5
	ds_bpermute_b32 v22, v2, v18
	v_xor_b32_e32 v3, 8, v20
	v_cmp_lt_i32_e32 vcc, v3, v21
	v_cndmask_b32_e32 v3, v20, v3, vcc
	v_lshlrev_b32_e32 v3, 2, v3
	s_waitcnt lgkmcnt(1)
	v_add_f32_e32 v19, v5, v19
	s_waitcnt lgkmcnt(0)
	v_add_f32_e32 v18, v18, v22
	;; [unrolled: 10-line block ×3, first 2 shown]
	ds_bpermute_b32 v24, v4, v19
	ds_bpermute_b32 v22, v4, v18
	v_xor_b32_e32 v23, 2, v20
	v_cmp_lt_i32_e32 vcc, v23, v21
	v_cndmask_b32_e32 v23, v20, v23, vcc
	v_lshlrev_b32_e32 v5, 2, v23
	v_xor_b32_e32 v23, 1, v20
	s_waitcnt lgkmcnt(1)
	v_add_f32_e32 v19, v19, v24
	s_waitcnt lgkmcnt(0)
	v_add_f32_e32 v18, v18, v22
	v_cmp_lt_i32_e32 vcc, v23, v21
	ds_bpermute_b32 v21, v5, v19
	ds_bpermute_b32 v22, v5, v18
	s_load_dwordx2 s[4:5], s[4:5], 0x38
	v_cndmask_b32_e32 v20, v20, v23, vcc
	s_mul_i32 s3, s14, s7
	v_lshlrev_b32_e32 v20, 2, v20
	s_waitcnt lgkmcnt(0)
	v_add_f32_e32 v19, v19, v21
	v_add_f32_e32 v22, v18, v22
	s_mul_i32 s0, s18, s8
	s_add_i32 s3, s3, s6
	ds_bpermute_b32 v21, v20, v19
	ds_bpermute_b32 v23, v20, v22
	s_add_i32 s0, s3, s0
	s_lshl_b64 s[0:1], s[0:1], 2
	s_add_u32 s4, s4, s0
	v_add_u32_e32 v18, s6, v0
	s_addc_u32 s5, s5, s1
	v_cmp_gt_u32_e32 vcc, 2, v0
	v_cmp_gt_u32_e64 s[0:1], s2, v18
	s_and_b64 s[0:1], vcc, s[0:1]
	s_waitcnt lgkmcnt(1)
	v_add_f32_e32 v18, v19, v21
	s_waitcnt lgkmcnt(0)
	v_add_f32_e32 v19, v22, v23
	s_and_saveexec_b64 s[6:7], s[0:1]
	s_cbranch_execz .LBB106_7
; %bb.6:
	v_cmp_eq_u32_e32 vcc, 1, v0
	v_cndmask_b32_e32 v21, v18, v19, vcc
	v_cmp_eq_u32_e32 vcc, 2, v0
	v_cndmask_b32_e32 v21, v21, v17, vcc
	;; [unrolled: 2-line block ×13, first 2 shown]
	v_lshlrev_b32_e32 v22, 2, v0
	global_store_dword v22, v21, s[4:5]
.LBB106_7:
	s_or_b64 exec, exec, s[6:7]
	ds_bpermute_b32 v21, v1, v17
	ds_bpermute_b32 v22, v1, v16
	s_waitcnt lgkmcnt(1)
	v_add_f32_e32 v17, v17, v21
	s_waitcnt lgkmcnt(0)
	v_add_f32_e32 v16, v16, v22
	ds_bpermute_b32 v21, v2, v17
	ds_bpermute_b32 v22, v2, v16
	s_waitcnt lgkmcnt(1)
	v_add_f32_e32 v17, v17, v21
	s_waitcnt lgkmcnt(0)
	v_add_f32_e32 v16, v16, v22
	;; [unrolled: 6-line block ×6, first 2 shown]
	s_and_saveexec_b64 s[6:7], s[0:1]
	s_cbranch_execz .LBB106_9
; %bb.8:
	v_add_u32_e32 v21, 2, v0
	v_cmp_eq_u32_e32 vcc, 1, v21
	v_cndmask_b32_e32 v22, v18, v19, vcc
	v_cmp_eq_u32_e32 vcc, 2, v21
	v_cndmask_b32_e32 v22, v22, v17, vcc
	;; [unrolled: 2-line block ×13, first 2 shown]
	v_add_u32_e32 v21, s2, v0
	v_mov_b32_e32 v22, 0
	v_lshlrev_b64 v[21:22], 2, v[21:22]
	v_mov_b32_e32 v24, s5
	v_add_co_u32_e32 v21, vcc, s4, v21
	v_addc_co_u32_e32 v22, vcc, v24, v22, vcc
	global_store_dword v[21:22], v23, off
.LBB106_9:
	s_or_b64 exec, exec, s[6:7]
	ds_bpermute_b32 v21, v1, v15
	ds_bpermute_b32 v22, v1, v14
	s_waitcnt lgkmcnt(1)
	v_add_f32_e32 v15, v15, v21
	s_waitcnt lgkmcnt(0)
	v_add_f32_e32 v14, v14, v22
	ds_bpermute_b32 v21, v2, v15
	ds_bpermute_b32 v22, v2, v14
	s_waitcnt lgkmcnt(1)
	v_add_f32_e32 v15, v15, v21
	s_waitcnt lgkmcnt(0)
	v_add_f32_e32 v14, v14, v22
	;; [unrolled: 6-line block ×6, first 2 shown]
	s_and_saveexec_b64 s[6:7], s[0:1]
	s_cbranch_execz .LBB106_11
; %bb.10:
	v_add_u32_e32 v21, 4, v0
	v_cmp_eq_u32_e32 vcc, 1, v21
	v_cndmask_b32_e32 v22, v18, v19, vcc
	v_cmp_eq_u32_e32 vcc, 2, v21
	v_cndmask_b32_e32 v22, v22, v17, vcc
	;; [unrolled: 2-line block ×13, first 2 shown]
	v_lshl_or_b32 v21, s2, 1, v0
	v_mov_b32_e32 v22, 0
	v_lshlrev_b64 v[21:22], 2, v[21:22]
	v_mov_b32_e32 v24, s5
	v_add_co_u32_e32 v21, vcc, s4, v21
	v_addc_co_u32_e32 v22, vcc, v24, v22, vcc
	global_store_dword v[21:22], v23, off
.LBB106_11:
	s_or_b64 exec, exec, s[6:7]
	ds_bpermute_b32 v21, v1, v13
	ds_bpermute_b32 v22, v1, v12
	s_waitcnt lgkmcnt(1)
	v_add_f32_e32 v13, v13, v21
	s_waitcnt lgkmcnt(0)
	v_add_f32_e32 v12, v12, v22
	ds_bpermute_b32 v21, v2, v13
	ds_bpermute_b32 v22, v2, v12
	s_waitcnt lgkmcnt(1)
	v_add_f32_e32 v13, v13, v21
	s_waitcnt lgkmcnt(0)
	v_add_f32_e32 v12, v12, v22
	;; [unrolled: 6-line block ×6, first 2 shown]
	s_and_saveexec_b64 s[6:7], s[0:1]
	s_cbranch_execz .LBB106_13
; %bb.12:
	v_add_u32_e32 v23, 6, v0
	v_cmp_eq_u32_e32 vcc, 1, v23
	v_cndmask_b32_e32 v21, v18, v19, vcc
	v_cmp_eq_u32_e32 vcc, 2, v23
	v_cndmask_b32_e32 v21, v21, v17, vcc
	;; [unrolled: 2-line block ×12, first 2 shown]
	v_mad_u64_u32 v[21:22], s[8:9], s2, 3, v[0:1]
	v_mov_b32_e32 v22, 0
	v_cmp_eq_u32_e32 vcc, 13, v23
	v_lshlrev_b64 v[21:22], 2, v[21:22]
	v_cndmask_b32_e32 v23, v24, v6, vcc
	v_mov_b32_e32 v24, s5
	v_add_co_u32_e32 v21, vcc, s4, v21
	v_addc_co_u32_e32 v22, vcc, v24, v22, vcc
	global_store_dword v[21:22], v23, off
.LBB106_13:
	s_or_b64 exec, exec, s[6:7]
	ds_bpermute_b32 v21, v1, v11
	ds_bpermute_b32 v22, v1, v10
	s_waitcnt lgkmcnt(1)
	v_add_f32_e32 v11, v11, v21
	s_waitcnt lgkmcnt(0)
	v_add_f32_e32 v10, v10, v22
	ds_bpermute_b32 v21, v2, v11
	ds_bpermute_b32 v22, v2, v10
	s_waitcnt lgkmcnt(1)
	v_add_f32_e32 v11, v11, v21
	s_waitcnt lgkmcnt(0)
	v_add_f32_e32 v10, v10, v22
	ds_bpermute_b32 v21, v3, v11
	ds_bpermute_b32 v22, v3, v10
	s_waitcnt lgkmcnt(1)
	v_add_f32_e32 v11, v11, v21
	s_waitcnt lgkmcnt(0)
	v_add_f32_e32 v10, v10, v22
	ds_bpermute_b32 v21, v4, v11
	ds_bpermute_b32 v22, v4, v10
	s_waitcnt lgkmcnt(1)
	v_add_f32_e32 v11, v11, v21
	s_waitcnt lgkmcnt(0)
	v_add_f32_e32 v10, v10, v22
	ds_bpermute_b32 v21, v5, v11
	ds_bpermute_b32 v22, v5, v10
	s_waitcnt lgkmcnt(1)
	v_add_f32_e32 v11, v11, v21
	s_waitcnt lgkmcnt(0)
	v_add_f32_e32 v10, v10, v22
	ds_bpermute_b32 v21, v20, v11
	ds_bpermute_b32 v22, v20, v10
	s_waitcnt lgkmcnt(1)
	v_add_f32_e32 v11, v11, v21
	s_waitcnt lgkmcnt(0)
	v_add_f32_e32 v10, v10, v22
	s_and_saveexec_b64 s[6:7], s[0:1]
	s_cbranch_execz .LBB106_15
; %bb.14:
	v_add_u32_e32 v21, 8, v0
	v_cmp_eq_u32_e32 vcc, 1, v21
	v_cndmask_b32_e32 v22, v18, v19, vcc
	v_cmp_eq_u32_e32 vcc, 2, v21
	v_cndmask_b32_e32 v22, v22, v17, vcc
	;; [unrolled: 2-line block ×13, first 2 shown]
	v_lshl_or_b32 v21, s2, 2, v0
	v_mov_b32_e32 v22, 0
	v_lshlrev_b64 v[21:22], 2, v[21:22]
	v_mov_b32_e32 v24, s5
	v_add_co_u32_e32 v21, vcc, s4, v21
	v_addc_co_u32_e32 v22, vcc, v24, v22, vcc
	global_store_dword v[21:22], v23, off
.LBB106_15:
	s_or_b64 exec, exec, s[6:7]
	ds_bpermute_b32 v21, v1, v9
	ds_bpermute_b32 v22, v1, v8
	s_waitcnt lgkmcnt(1)
	v_add_f32_e32 v9, v9, v21
	s_waitcnt lgkmcnt(0)
	v_add_f32_e32 v8, v8, v22
	ds_bpermute_b32 v21, v2, v9
	ds_bpermute_b32 v22, v2, v8
	s_waitcnt lgkmcnt(1)
	v_add_f32_e32 v9, v9, v21
	s_waitcnt lgkmcnt(0)
	v_add_f32_e32 v8, v8, v22
	;; [unrolled: 6-line block ×6, first 2 shown]
	s_and_saveexec_b64 s[6:7], s[0:1]
	s_cbranch_execz .LBB106_17
; %bb.16:
	v_add_u32_e32 v23, 10, v0
	v_cmp_eq_u32_e32 vcc, 1, v23
	v_cndmask_b32_e32 v21, v18, v19, vcc
	v_cmp_eq_u32_e32 vcc, 2, v23
	v_cndmask_b32_e32 v21, v21, v17, vcc
	;; [unrolled: 2-line block ×12, first 2 shown]
	v_mad_u64_u32 v[21:22], s[8:9], s2, 5, v[0:1]
	v_mov_b32_e32 v22, 0
	v_cmp_eq_u32_e32 vcc, 13, v23
	v_lshlrev_b64 v[21:22], 2, v[21:22]
	v_cndmask_b32_e32 v23, v24, v6, vcc
	v_mov_b32_e32 v24, s5
	v_add_co_u32_e32 v21, vcc, s4, v21
	v_addc_co_u32_e32 v22, vcc, v24, v22, vcc
	global_store_dword v[21:22], v23, off
.LBB106_17:
	s_or_b64 exec, exec, s[6:7]
	ds_bpermute_b32 v21, v1, v7
	ds_bpermute_b32 v1, v1, v6
	s_waitcnt lgkmcnt(1)
	v_add_f32_e32 v7, v7, v21
	s_waitcnt lgkmcnt(0)
	v_add_f32_e32 v1, v6, v1
	ds_bpermute_b32 v6, v2, v7
	ds_bpermute_b32 v2, v2, v1
	s_waitcnt lgkmcnt(1)
	v_add_f32_e32 v6, v7, v6
	s_waitcnt lgkmcnt(0)
	v_add_f32_e32 v1, v1, v2
	;; [unrolled: 6-line block ×5, first 2 shown]
	ds_bpermute_b32 v3, v20, v1
	ds_bpermute_b32 v4, v20, v2
	s_and_b64 exec, exec, s[0:1]
	s_cbranch_execz .LBB106_19
; %bb.18:
	s_waitcnt lgkmcnt(1)
	v_add_f32_e32 v1, v1, v3
	v_add_u32_e32 v3, 12, v0
	v_cmp_eq_u32_e32 vcc, 1, v3
	s_waitcnt lgkmcnt(0)
	v_add_f32_e32 v2, v2, v4
	v_cndmask_b32_e32 v4, v18, v19, vcc
	v_cmp_eq_u32_e32 vcc, 2, v3
	v_cndmask_b32_e32 v4, v4, v17, vcc
	v_cmp_eq_u32_e32 vcc, 3, v3
	;; [unrolled: 2-line block ×12, first 2 shown]
	s_mul_i32 s0, s2, 6
	v_cndmask_b32_e32 v2, v1, v2, vcc
	v_or_b32_e32 v0, s0, v0
	v_mov_b32_e32 v1, 0
	v_lshlrev_b64 v[0:1], 2, v[0:1]
	v_mov_b32_e32 v3, s5
	v_add_co_u32_e32 v0, vcc, s4, v0
	v_addc_co_u32_e32 v1, vcc, v3, v1, vcc
	global_store_dword v[0:1], v2, off
.LBB106_19:
	s_endpgm
	.section	.rodata,"a",@progbits
	.p2align	6, 0x0
	.amdhsa_kernel _ZL13mul_mat_vec_qIL9ggml_type10ELi7ELb0ELb0EEvPKvS2_PKi31ggml_cuda_mm_fusion_args_devicePfj15HIP_vector_typeIjLj3EEjjjS8_jjjS8_jjjj
		.amdhsa_group_segment_fixed_size 0
		.amdhsa_private_segment_fixed_size 0
		.amdhsa_kernarg_size 144
		.amdhsa_user_sgpr_count 6
		.amdhsa_user_sgpr_private_segment_buffer 1
		.amdhsa_user_sgpr_dispatch_ptr 0
		.amdhsa_user_sgpr_queue_ptr 0
		.amdhsa_user_sgpr_kernarg_segment_ptr 1
		.amdhsa_user_sgpr_dispatch_id 0
		.amdhsa_user_sgpr_flat_scratch_init 0
		.amdhsa_user_sgpr_private_segment_size 0
		.amdhsa_uses_dynamic_stack 0
		.amdhsa_system_sgpr_private_segment_wavefront_offset 0
		.amdhsa_system_sgpr_workgroup_id_x 1
		.amdhsa_system_sgpr_workgroup_id_y 1
		.amdhsa_system_sgpr_workgroup_id_z 1
		.amdhsa_system_sgpr_workgroup_info 0
		.amdhsa_system_vgpr_workitem_id 1
		.amdhsa_next_free_vgpr 66
		.amdhsa_next_free_sgpr 28
		.amdhsa_reserve_vcc 1
		.amdhsa_reserve_flat_scratch 0
		.amdhsa_float_round_mode_32 0
		.amdhsa_float_round_mode_16_64 0
		.amdhsa_float_denorm_mode_32 3
		.amdhsa_float_denorm_mode_16_64 3
		.amdhsa_dx10_clamp 1
		.amdhsa_ieee_mode 1
		.amdhsa_fp16_overflow 0
		.amdhsa_exception_fp_ieee_invalid_op 0
		.amdhsa_exception_fp_denorm_src 0
		.amdhsa_exception_fp_ieee_div_zero 0
		.amdhsa_exception_fp_ieee_overflow 0
		.amdhsa_exception_fp_ieee_underflow 0
		.amdhsa_exception_fp_ieee_inexact 0
		.amdhsa_exception_int_div_zero 0
	.end_amdhsa_kernel
	.section	.text._ZL13mul_mat_vec_qIL9ggml_type10ELi7ELb0ELb0EEvPKvS2_PKi31ggml_cuda_mm_fusion_args_devicePfj15HIP_vector_typeIjLj3EEjjjS8_jjjS8_jjjj,"axG",@progbits,_ZL13mul_mat_vec_qIL9ggml_type10ELi7ELb0ELb0EEvPKvS2_PKi31ggml_cuda_mm_fusion_args_devicePfj15HIP_vector_typeIjLj3EEjjjS8_jjjS8_jjjj,comdat
.Lfunc_end106:
	.size	_ZL13mul_mat_vec_qIL9ggml_type10ELi7ELb0ELb0EEvPKvS2_PKi31ggml_cuda_mm_fusion_args_devicePfj15HIP_vector_typeIjLj3EEjjjS8_jjjS8_jjjj, .Lfunc_end106-_ZL13mul_mat_vec_qIL9ggml_type10ELi7ELb0ELb0EEvPKvS2_PKi31ggml_cuda_mm_fusion_args_devicePfj15HIP_vector_typeIjLj3EEjjjS8_jjjS8_jjjj
                                        ; -- End function
	.set _ZL13mul_mat_vec_qIL9ggml_type10ELi7ELb0ELb0EEvPKvS2_PKi31ggml_cuda_mm_fusion_args_devicePfj15HIP_vector_typeIjLj3EEjjjS8_jjjS8_jjjj.num_vgpr, 66
	.set _ZL13mul_mat_vec_qIL9ggml_type10ELi7ELb0ELb0EEvPKvS2_PKi31ggml_cuda_mm_fusion_args_devicePfj15HIP_vector_typeIjLj3EEjjjS8_jjjS8_jjjj.num_agpr, 0
	.set _ZL13mul_mat_vec_qIL9ggml_type10ELi7ELb0ELb0EEvPKvS2_PKi31ggml_cuda_mm_fusion_args_devicePfj15HIP_vector_typeIjLj3EEjjjS8_jjjS8_jjjj.numbered_sgpr, 28
	.set _ZL13mul_mat_vec_qIL9ggml_type10ELi7ELb0ELb0EEvPKvS2_PKi31ggml_cuda_mm_fusion_args_devicePfj15HIP_vector_typeIjLj3EEjjjS8_jjjS8_jjjj.num_named_barrier, 0
	.set _ZL13mul_mat_vec_qIL9ggml_type10ELi7ELb0ELb0EEvPKvS2_PKi31ggml_cuda_mm_fusion_args_devicePfj15HIP_vector_typeIjLj3EEjjjS8_jjjS8_jjjj.private_seg_size, 0
	.set _ZL13mul_mat_vec_qIL9ggml_type10ELi7ELb0ELb0EEvPKvS2_PKi31ggml_cuda_mm_fusion_args_devicePfj15HIP_vector_typeIjLj3EEjjjS8_jjjS8_jjjj.uses_vcc, 1
	.set _ZL13mul_mat_vec_qIL9ggml_type10ELi7ELb0ELb0EEvPKvS2_PKi31ggml_cuda_mm_fusion_args_devicePfj15HIP_vector_typeIjLj3EEjjjS8_jjjS8_jjjj.uses_flat_scratch, 0
	.set _ZL13mul_mat_vec_qIL9ggml_type10ELi7ELb0ELb0EEvPKvS2_PKi31ggml_cuda_mm_fusion_args_devicePfj15HIP_vector_typeIjLj3EEjjjS8_jjjS8_jjjj.has_dyn_sized_stack, 0
	.set _ZL13mul_mat_vec_qIL9ggml_type10ELi7ELb0ELb0EEvPKvS2_PKi31ggml_cuda_mm_fusion_args_devicePfj15HIP_vector_typeIjLj3EEjjjS8_jjjS8_jjjj.has_recursion, 0
	.set _ZL13mul_mat_vec_qIL9ggml_type10ELi7ELb0ELb0EEvPKvS2_PKi31ggml_cuda_mm_fusion_args_devicePfj15HIP_vector_typeIjLj3EEjjjS8_jjjS8_jjjj.has_indirect_call, 0
	.section	.AMDGPU.csdata,"",@progbits
; Kernel info:
; codeLenInByte = 7184
; TotalNumSgprs: 32
; NumVgprs: 66
; ScratchSize: 0
; MemoryBound: 0
; FloatMode: 240
; IeeeMode: 1
; LDSByteSize: 0 bytes/workgroup (compile time only)
; SGPRBlocks: 3
; VGPRBlocks: 16
; NumSGPRsForWavesPerEU: 32
; NumVGPRsForWavesPerEU: 66
; Occupancy: 3
; WaveLimiterHint : 0
; COMPUTE_PGM_RSRC2:SCRATCH_EN: 0
; COMPUTE_PGM_RSRC2:USER_SGPR: 6
; COMPUTE_PGM_RSRC2:TRAP_HANDLER: 0
; COMPUTE_PGM_RSRC2:TGID_X_EN: 1
; COMPUTE_PGM_RSRC2:TGID_Y_EN: 1
; COMPUTE_PGM_RSRC2:TGID_Z_EN: 1
; COMPUTE_PGM_RSRC2:TIDIG_COMP_CNT: 1
	.section	.text._ZL13mul_mat_vec_qIL9ggml_type10ELi8ELb0ELb0EEvPKvS2_PKi31ggml_cuda_mm_fusion_args_devicePfj15HIP_vector_typeIjLj3EEjjjS8_jjjS8_jjjj,"axG",@progbits,_ZL13mul_mat_vec_qIL9ggml_type10ELi8ELb0ELb0EEvPKvS2_PKi31ggml_cuda_mm_fusion_args_devicePfj15HIP_vector_typeIjLj3EEjjjS8_jjjS8_jjjj,comdat
	.globl	_ZL13mul_mat_vec_qIL9ggml_type10ELi8ELb0ELb0EEvPKvS2_PKi31ggml_cuda_mm_fusion_args_devicePfj15HIP_vector_typeIjLj3EEjjjS8_jjjS8_jjjj ; -- Begin function _ZL13mul_mat_vec_qIL9ggml_type10ELi8ELb0ELb0EEvPKvS2_PKi31ggml_cuda_mm_fusion_args_devicePfj15HIP_vector_typeIjLj3EEjjjS8_jjjS8_jjjj
	.p2align	8
	.type	_ZL13mul_mat_vec_qIL9ggml_type10ELi8ELb0ELb0EEvPKvS2_PKi31ggml_cuda_mm_fusion_args_devicePfj15HIP_vector_typeIjLj3EEjjjS8_jjjS8_jjjj,@function
_ZL13mul_mat_vec_qIL9ggml_type10ELi8ELb0ELb0EEvPKvS2_PKi31ggml_cuda_mm_fusion_args_devicePfj15HIP_vector_typeIjLj3EEjjjS8_jjjS8_jjjj: ; @_ZL13mul_mat_vec_qIL9ggml_type10ELi8ELb0ELb0EEvPKvS2_PKi31ggml_cuda_mm_fusion_args_devicePfj15HIP_vector_typeIjLj3EEjjjS8_jjjS8_jjjj
; %bb.0:
	s_load_dword s9, s[4:5], 0x40
	s_load_dwordx4 s[0:3], s[4:5], 0x50
	s_load_dword s25, s[4:5], 0x60
	s_load_dwordx4 s[12:15], s[4:5], 0x68
	;; [unrolled: 2-line block ×3, first 2 shown]
	v_lshl_or_b32 v2, v1, 6, v0
	s_waitcnt lgkmcnt(0)
	s_lshr_b32 s9, s9, 8
	v_lshrrev_b32_e32 v22, 4, v2
	v_mov_b32_e32 v6, 0
	s_lshl_b32 s6, s6, 1
	v_cmp_gt_u32_e32 vcc, s9, v22
	v_mov_b32_e32 v7, v6
	v_mov_b32_e32 v8, v6
	;; [unrolled: 1-line block ×15, first 2 shown]
	s_and_saveexec_b64 s[10:11], vcc
	s_cbranch_execz .LBB107_4
; %bb.1:
	s_mul_hi_u32 s3, s3, s7
	s_add_i32 s3, s7, s3
	s_lshr_b32 s3, s3, s25
	s_load_dwordx4 s[20:23], s[4:5], 0x0
	s_mul_i32 s3, s3, s12
	s_mul_hi_u32 s12, s15, s8
	s_add_i32 s12, s8, s12
	s_lshr_b32 s12, s12, s24
	s_mul_i32 s15, s12, s16
	s_mul_i32 s12, s17, s8
	s_mul_hi_u32 s16, s12, 36
	s_mul_i32 s12, s12, 36
	s_waitcnt lgkmcnt(0)
	s_add_u32 s12, s22, s12
	s_mul_i32 s13, s13, s7
	s_addc_u32 s16, s23, s16
	s_mul_hi_u32 s17, s13, 36
	s_mul_i32 s13, s13, 36
	s_add_u32 s12, s12, s13
	v_lshrrev_b32_e32 v2, 1, v0
	s_addc_u32 s13, s16, s17
	v_and_b32_e32 v2, 4, v2
	v_mad_u64_u32 v[2:3], s[16:17], v2, 36, s[12:13]
	v_bfe_u32 v4, v0, 2, 1
	s_add_i32 s16, s6, 1
	s_add_i32 s15, s15, s3
	v_and_or_b32 v23, v0, 8, v4
	s_mul_i32 s3, s6, s0
	s_mul_i32 s0, s0, s16
	v_bfe_u32 v4, v0, 3, 1
	s_add_i32 s3, s15, s3
	s_add_i32 s0, s15, s0
	v_mul_hi_u32_u24_e32 v5, 0x90, v4
	v_mul_u32_u24_e32 v4, 0x90, v4
	s_movk_i32 s15, 0x120
	v_mad_u64_u32 v[4:5], s[16:17], v22, s15, v[4:5]
	v_and_b32_e32 v7, 15, v0
	v_mov_b32_e32 v6, 0
	v_and_b32_e32 v8, 7, v0
	v_mov_b32_e32 v9, s13
	v_add_co_u32_e32 v4, vcc, s12, v4
	v_lshlrev_b32_e32 v24, 2, v8
	v_addc_co_u32_e32 v5, vcc, v9, v5, vcc
	v_lshlrev_b32_e32 v25, 3, v22
	s_mul_i32 s15, s1, 7
	s_lshl_b32 s16, s1, 1
	s_mul_i32 s17, s1, 3
	s_lshl_b32 s19, s1, 2
	s_mul_i32 s22, s1, 5
	s_mul_i32 s23, s1, 6
	s_mov_b64 s[12:13], 0
	s_movk_i32 s24, 0x54
	v_lshlrev_b32_e32 v26, 2, v7
	s_mov_b32 s25, 0x1010101
	v_lshlrev_b32_e32 v27, 2, v8
	v_mov_b32_e32 v7, v6
	v_mov_b32_e32 v8, v6
	;; [unrolled: 1-line block ×15, first 2 shown]
.LBB107_2:                              ; =>This Inner Loop Header: Depth=1
	v_add_co_u32_e32 v28, vcc, v4, v24
	v_addc_co_u32_e32 v29, vcc, 0, v5, vcc
	global_load_dword v34, v[28:29], off offset:4
	global_load_dword v35, v[4:5], off
	global_load_dword v56, v[28:29], off offset:40
	global_load_dword v57, v[4:5], off offset:36
	;; [unrolled: 1-line block ×6, first 2 shown]
	v_mov_b32_e32 v29, s21
	v_add_u32_e32 v30, s3, v22
	v_mov_b32_e32 v28, s20
	v_mad_i64_i32 v[30:31], s[26:27], v30, s24, v[28:29]
	v_add_co_u32_e32 v32, vcc, v30, v26
	v_addc_co_u32_e32 v33, vcc, 0, v31, vcc
	global_load_dword v46, v[32:33], off offset:16
	v_add_co_u32_e32 v32, vcc, v30, v23
	v_addc_co_u32_e32 v33, vcc, 0, v31, vcc
	global_load_dword v36, v[30:31], off offset:80
	global_load_ubyte v39, v[32:33], off
	global_load_ubyte v42, v[32:33], off offset:2
	global_load_ubyte v45, v[32:33], off offset:4
	s_waitcnt vmcnt(4)
	v_and_b32_e32 v37, 0x3030303, v46
	global_load_ubyte v32, v[32:33], off offset:6
	v_lshrrev_b32_e32 v40, 2, v46
	v_dot4_i32_i8 v30, v37, v34, 0
	v_and_b32_e32 v40, 0x3030303, v40
	s_waitcnt vmcnt(3)
	v_and_b32_e32 v38, 15, v39
	v_mul_lo_u32 v30, v38, v30
	v_dot4_i32_i8 v43, v40, v56, 0
	s_waitcnt vmcnt(2)
	v_and_b32_e32 v41, 15, v42
	v_mul_lo_u32 v43, v41, v43
	v_lshrrev_b32_e32 v31, 4, v39
	v_cvt_f32_i32_e32 v30, v30
	v_mul_lo_u32 v39, v31, s25
	v_lshrrev_b32_e32 v42, 4, v42
	v_cvt_f32_i32_e32 v43, v43
	v_mul_lo_u32 v42, v42, s25
	v_fma_mix_f32 v30, v35, v30, 0 op_sel_hi:[1,0,0]
	v_dot4_i32_i8 v31, v39, v34, 0
	v_cvt_f32_i32_e32 v31, v31
	v_fma_mix_f32 v30, v57, v43, v30 op_sel_hi:[1,0,0]
	v_dot4_i32_i8 v43, v42, v56, 0
	v_cvt_f32_i32_e32 v43, v43
	v_fma_mix_f32 v31, v35, v31, 0 op_sel_hi:[1,0,0]
	s_waitcnt vmcnt(1)
	v_and_b32_e32 v44, 15, v45
	v_lshrrev_b32_e32 v45, 4, v45
	v_fma_mix_f32 v31, v57, v43, v31 op_sel_hi:[1,0,0]
	v_lshrrev_b32_e32 v43, 4, v46
	v_and_b32_e32 v43, 0x3030303, v43
	v_dot4_i32_i8 v47, v43, v58, 0
	v_mul_lo_u32 v47, v44, v47
	v_mul_lo_u32 v45, v45, s25
	v_lshrrev_b32_e32 v33, 6, v46
	v_and_b32_e32 v46, 0x3030303, v33
	v_cvt_f32_i32_e32 v47, v47
	v_dot4_i32_i8 v33, v46, v60, 0
	v_cvt_f32_f16_sdwa v49, v36 dst_sel:DWORD dst_unused:UNUSED_PAD src0_sel:WORD_1
	v_fma_mix_f32 v30, v59, v47, v30 op_sel_hi:[1,0,0]
	v_dot4_i32_i8 v47, v45, v58, 0
	v_cvt_f32_i32_e32 v47, v47
	v_fma_mix_f32 v31, v59, v47, v31 op_sel_hi:[1,0,0]
	s_waitcnt vmcnt(0)
	v_and_b32_e32 v47, 15, v32
	v_lshrrev_b32_e32 v32, 4, v32
	v_mul_lo_u32 v48, v32, s25
	v_mul_lo_u32 v33, v47, v33
	v_dot4_i32_i8 v32, v48, v60, 0
	v_cvt_f32_i32_e32 v32, v32
	v_cvt_f32_i32_e32 v33, v33
	v_fma_mix_f32 v31, v61, v32, v31 op_sel_hi:[1,0,0]
	v_fma_mix_f32 v30, v61, v33, v30 op_sel_hi:[1,0,0]
	v_mul_f32_e32 v31, v31, v49
	v_fma_mix_f32 v30, v30, v36, -v31 op_sel_hi:[0,1,0]
	v_add_f32_e32 v21, v21, v30
	v_add_u32_e32 v30, s0, v22
	v_mad_i64_i32 v[29:30], s[26:27], v30, s24, v[28:29]
	v_add_u32_e32 v22, 4, v22
	v_add_co_u32_e32 v31, vcc, v29, v26
	v_addc_co_u32_e32 v32, vcc, 0, v30, vcc
	global_load_dword v62, v[31:32], off offset:16
	v_add_co_u32_e32 v31, vcc, v29, v23
	v_addc_co_u32_e32 v32, vcc, 0, v30, vcc
	global_load_dword v28, v[29:30], off offset:80
	global_load_ubyte v33, v[31:32], off
	s_waitcnt vmcnt(2)
	v_and_b32_e32 v53, 0x3030303, v62
	v_dot4_i32_i8 v29, v53, v34, 0
	s_waitcnt vmcnt(0)
	v_and_b32_e32 v54, 15, v33
	v_lshrrev_b32_e32 v30, 4, v33
	global_load_ubyte v33, v[31:32], off offset:2
	v_mul_lo_u32 v55, v30, s25
	v_mul_lo_u32 v29, v54, v29
	v_dot4_i32_i8 v30, v55, v34, 0
	v_cvt_f32_i32_e32 v30, v30
	v_lshrrev_b32_e32 v34, 2, v62
	v_and_b32_e32 v51, 0x3030303, v34
	v_dot4_i32_i8 v34, v51, v56, 0
	v_fma_mix_f32 v30, v35, v30, 0 op_sel_hi:[1,0,0]
	v_cvt_f32_i32_e32 v29, v29
	v_fma_mix_f32 v29, v35, v29, 0 op_sel_hi:[1,0,0]
	s_waitcnt vmcnt(0)
	v_and_b32_e32 v52, 15, v33
	v_lshrrev_b32_e32 v33, 4, v33
	v_mul_lo_u32 v50, v33, s25
	v_mul_lo_u32 v34, v52, v34
	v_dot4_i32_i8 v33, v50, v56, 0
	v_cvt_f32_i32_e32 v33, v33
	v_cvt_f32_i32_e32 v34, v34
	v_fma_mix_f32 v30, v57, v33, v30 op_sel_hi:[1,0,0]
	global_load_ubyte v33, v[31:32], off offset:4
	v_fma_mix_f32 v29, v57, v34, v29 op_sel_hi:[1,0,0]
	v_lshrrev_b32_e32 v34, 4, v62
	v_and_b32_e32 v34, 0x3030303, v34
	v_dot4_i32_i8 v56, v34, v58, 0
	s_waitcnt vmcnt(0)
	v_and_b32_e32 v35, 15, v33
	v_mul_lo_u32 v56, v35, v56
	v_lshrrev_b32_e32 v33, 4, v33
	v_mul_lo_u32 v33, v33, s25
	v_cvt_f32_i32_e32 v56, v56
	v_fma_mix_f32 v29, v59, v56, v29 op_sel_hi:[1,0,0]
	v_dot4_i32_i8 v56, v33, v58, 0
	v_cvt_f32_i32_e32 v56, v56
	v_fma_mix_f32 v30, v59, v56, v30 op_sel_hi:[1,0,0]
	global_load_ubyte v56, v[31:32], off offset:6
	v_lshrrev_b32_e32 v31, 6, v62
	v_and_b32_e32 v32, 0x3030303, v31
	v_dot4_i32_i8 v57, v32, v60, 0
	s_waitcnt vmcnt(0)
	v_and_b32_e32 v31, 15, v56
	v_mul_lo_u32 v57, v31, v57
	v_cvt_f32_i32_e32 v57, v57
	v_fma_mix_f32 v57, v61, v57, v29 op_sel_hi:[1,0,0]
	v_lshrrev_b32_e32 v29, 4, v56
	v_mul_lo_u32 v29, v29, s25
	v_dot4_i32_i8 v56, v29, v60, 0
	v_cvt_f32_i32_e32 v56, v56
	v_fma_mix_f32 v56, v61, v56, v30 op_sel_hi:[1,0,0]
	v_cvt_f32_f16_sdwa v30, v28 dst_sel:DWORD dst_unused:UNUSED_PAD src0_sel:WORD_1
	v_mul_f32_e32 v56, v56, v30
	v_fma_mix_f32 v56, v57, v28, -v56 op_sel_hi:[0,1,0]
	v_add_f32_e32 v20, v20, v56
	v_add_u32_e32 v56, s1, v25
	v_mad_u64_u32 v[56:57], s[26:27], v56, 36, v[2:3]
	v_add_co_u32_e32 v58, vcc, v56, v27
	v_addc_co_u32_e32 v59, vcc, 0, v57, vcc
	global_load_dword v60, v[58:59], off offset:4
	global_load_dword v61, v[56:57], off
	global_load_dword v62, v[58:59], off offset:40
	global_load_dword v63, v[56:57], off offset:36
	;; [unrolled: 1-line block ×6, first 2 shown]
	s_waitcnt vmcnt(7)
	v_dot4_i32_i8 v56, v37, v60, 0
	v_mul_lo_u32 v56, v38, v56
	s_waitcnt vmcnt(5)
	v_dot4_i32_i8 v58, v40, v62, 0
	v_mul_lo_u32 v58, v41, v58
	v_dot4_i32_i8 v57, v39, v60, 0
	v_cvt_f32_i32_e32 v56, v56
	v_cvt_f32_i32_e32 v57, v57
	;; [unrolled: 1-line block ×3, first 2 shown]
	v_fma_mix_f32 v56, v61, v56, 0 op_sel_hi:[1,0,0]
	v_fma_mix_f32 v57, v61, v57, 0 op_sel_hi:[1,0,0]
	s_waitcnt vmcnt(4)
	v_fma_mix_f32 v56, v63, v58, v56 op_sel_hi:[1,0,0]
	v_dot4_i32_i8 v58, v42, v62, 0
	v_cvt_f32_i32_e32 v58, v58
	v_fma_mix_f32 v57, v63, v58, v57 op_sel_hi:[1,0,0]
	s_waitcnt vmcnt(3)
	v_dot4_i32_i8 v58, v43, v64, 0
	v_mul_lo_u32 v58, v44, v58
	v_cvt_f32_i32_e32 v58, v58
	s_waitcnt vmcnt(2)
	v_fma_mix_f32 v56, v65, v58, v56 op_sel_hi:[1,0,0]
	v_dot4_i32_i8 v58, v45, v64, 0
	v_cvt_f32_i32_e32 v58, v58
	v_fma_mix_f32 v57, v65, v58, v57 op_sel_hi:[1,0,0]
	s_waitcnt vmcnt(1)
	v_dot4_i32_i8 v58, v46, v66, 0
	v_mul_lo_u32 v58, v47, v58
	v_cvt_f32_i32_e32 v58, v58
	s_waitcnt vmcnt(0)
	v_fma_mix_f32 v56, v67, v58, v56 op_sel_hi:[1,0,0]
	v_dot4_i32_i8 v58, v48, v66, 0
	v_cvt_f32_i32_e32 v58, v58
	v_fma_mix_f32 v57, v67, v58, v57 op_sel_hi:[1,0,0]
	v_mul_f32_e32 v57, v57, v49
	v_fma_mix_f32 v56, v56, v36, -v57 op_sel_hi:[0,1,0]
	v_add_f32_e32 v19, v19, v56
	v_dot4_i32_i8 v56, v53, v60, 0
	v_mul_lo_u32 v56, v54, v56
	v_dot4_i32_i8 v58, v51, v62, 0
	v_mul_lo_u32 v58, v52, v58
	v_dot4_i32_i8 v57, v55, v60, 0
	v_cvt_f32_i32_e32 v56, v56
	v_cvt_f32_i32_e32 v57, v57
	;; [unrolled: 1-line block ×3, first 2 shown]
	v_fma_mix_f32 v56, v61, v56, 0 op_sel_hi:[1,0,0]
	v_fma_mix_f32 v57, v61, v57, 0 op_sel_hi:[1,0,0]
	;; [unrolled: 1-line block ×3, first 2 shown]
	v_dot4_i32_i8 v58, v50, v62, 0
	v_cvt_f32_i32_e32 v58, v58
	v_fma_mix_f32 v57, v63, v58, v57 op_sel_hi:[1,0,0]
	v_dot4_i32_i8 v58, v34, v64, 0
	v_mul_lo_u32 v58, v35, v58
	v_cvt_f32_i32_e32 v58, v58
	v_fma_mix_f32 v56, v65, v58, v56 op_sel_hi:[1,0,0]
	v_dot4_i32_i8 v58, v33, v64, 0
	v_cvt_f32_i32_e32 v58, v58
	v_fma_mix_f32 v57, v65, v58, v57 op_sel_hi:[1,0,0]
	v_dot4_i32_i8 v58, v32, v66, 0
	v_mul_lo_u32 v58, v31, v58
	v_cvt_f32_i32_e32 v58, v58
	v_fma_mix_f32 v56, v67, v58, v56 op_sel_hi:[1,0,0]
	v_dot4_i32_i8 v58, v29, v66, 0
	v_cvt_f32_i32_e32 v58, v58
	v_fma_mix_f32 v57, v67, v58, v57 op_sel_hi:[1,0,0]
	v_mul_f32_e32 v57, v57, v30
	v_fma_mix_f32 v56, v56, v28, -v57 op_sel_hi:[0,1,0]
	v_add_f32_e32 v18, v18, v56
	v_add_u32_e32 v56, s16, v25
	v_mad_u64_u32 v[56:57], s[26:27], v56, 36, v[2:3]
	v_add_co_u32_e32 v58, vcc, v56, v27
	v_addc_co_u32_e32 v59, vcc, 0, v57, vcc
	global_load_dword v60, v[58:59], off offset:4
	global_load_dword v61, v[56:57], off
	global_load_dword v62, v[58:59], off offset:40
	global_load_dword v63, v[56:57], off offset:36
	global_load_dword v64, v[58:59], off offset:76
	global_load_dword v65, v[56:57], off offset:72
	global_load_dword v66, v[58:59], off offset:112
	global_load_dword v67, v[56:57], off offset:108
	s_waitcnt vmcnt(7)
	v_dot4_i32_i8 v56, v37, v60, 0
	v_mul_lo_u32 v56, v38, v56
	s_waitcnt vmcnt(5)
	v_dot4_i32_i8 v58, v40, v62, 0
	v_mul_lo_u32 v58, v41, v58
	v_dot4_i32_i8 v57, v39, v60, 0
	v_cvt_f32_i32_e32 v56, v56
	v_cvt_f32_i32_e32 v57, v57
	;; [unrolled: 1-line block ×3, first 2 shown]
	v_fma_mix_f32 v56, v61, v56, 0 op_sel_hi:[1,0,0]
	v_fma_mix_f32 v57, v61, v57, 0 op_sel_hi:[1,0,0]
	s_waitcnt vmcnt(4)
	v_fma_mix_f32 v56, v63, v58, v56 op_sel_hi:[1,0,0]
	v_dot4_i32_i8 v58, v42, v62, 0
	v_cvt_f32_i32_e32 v58, v58
	v_fma_mix_f32 v57, v63, v58, v57 op_sel_hi:[1,0,0]
	s_waitcnt vmcnt(3)
	v_dot4_i32_i8 v58, v43, v64, 0
	v_mul_lo_u32 v58, v44, v58
	v_cvt_f32_i32_e32 v58, v58
	s_waitcnt vmcnt(2)
	v_fma_mix_f32 v56, v65, v58, v56 op_sel_hi:[1,0,0]
	v_dot4_i32_i8 v58, v45, v64, 0
	v_cvt_f32_i32_e32 v58, v58
	v_fma_mix_f32 v57, v65, v58, v57 op_sel_hi:[1,0,0]
	s_waitcnt vmcnt(1)
	v_dot4_i32_i8 v58, v46, v66, 0
	v_mul_lo_u32 v58, v47, v58
	v_cvt_f32_i32_e32 v58, v58
	s_waitcnt vmcnt(0)
	v_fma_mix_f32 v56, v67, v58, v56 op_sel_hi:[1,0,0]
	v_dot4_i32_i8 v58, v48, v66, 0
	v_cvt_f32_i32_e32 v58, v58
	v_fma_mix_f32 v57, v67, v58, v57 op_sel_hi:[1,0,0]
	v_mul_f32_e32 v57, v57, v49
	v_fma_mix_f32 v56, v56, v36, -v57 op_sel_hi:[0,1,0]
	v_add_f32_e32 v17, v17, v56
	v_dot4_i32_i8 v56, v53, v60, 0
	v_mul_lo_u32 v56, v54, v56
	v_dot4_i32_i8 v58, v51, v62, 0
	v_mul_lo_u32 v58, v52, v58
	v_dot4_i32_i8 v57, v55, v60, 0
	v_cvt_f32_i32_e32 v56, v56
	v_cvt_f32_i32_e32 v57, v57
	;; [unrolled: 1-line block ×3, first 2 shown]
	v_fma_mix_f32 v56, v61, v56, 0 op_sel_hi:[1,0,0]
	v_fma_mix_f32 v57, v61, v57, 0 op_sel_hi:[1,0,0]
	;; [unrolled: 1-line block ×3, first 2 shown]
	v_dot4_i32_i8 v58, v50, v62, 0
	v_cvt_f32_i32_e32 v58, v58
	v_fma_mix_f32 v57, v63, v58, v57 op_sel_hi:[1,0,0]
	v_dot4_i32_i8 v58, v34, v64, 0
	v_mul_lo_u32 v58, v35, v58
	v_cvt_f32_i32_e32 v58, v58
	v_fma_mix_f32 v56, v65, v58, v56 op_sel_hi:[1,0,0]
	v_dot4_i32_i8 v58, v33, v64, 0
	v_cvt_f32_i32_e32 v58, v58
	v_fma_mix_f32 v57, v65, v58, v57 op_sel_hi:[1,0,0]
	v_dot4_i32_i8 v58, v32, v66, 0
	v_mul_lo_u32 v58, v31, v58
	v_cvt_f32_i32_e32 v58, v58
	v_fma_mix_f32 v56, v67, v58, v56 op_sel_hi:[1,0,0]
	v_dot4_i32_i8 v58, v29, v66, 0
	v_cvt_f32_i32_e32 v58, v58
	v_fma_mix_f32 v57, v67, v58, v57 op_sel_hi:[1,0,0]
	v_mul_f32_e32 v57, v57, v30
	v_fma_mix_f32 v56, v56, v28, -v57 op_sel_hi:[0,1,0]
	v_add_f32_e32 v16, v16, v56
	v_add_u32_e32 v56, s17, v25
	v_mad_u64_u32 v[56:57], s[26:27], v56, 36, v[2:3]
	v_add_co_u32_e32 v58, vcc, v56, v27
	v_addc_co_u32_e32 v59, vcc, 0, v57, vcc
	global_load_dword v60, v[58:59], off offset:4
	global_load_dword v61, v[56:57], off
	global_load_dword v62, v[58:59], off offset:40
	global_load_dword v63, v[56:57], off offset:36
	;; [unrolled: 1-line block ×6, first 2 shown]
	s_waitcnt vmcnt(7)
	v_dot4_i32_i8 v56, v37, v60, 0
	v_mul_lo_u32 v56, v38, v56
	s_waitcnt vmcnt(5)
	v_dot4_i32_i8 v58, v40, v62, 0
	v_mul_lo_u32 v58, v41, v58
	v_dot4_i32_i8 v57, v39, v60, 0
	v_cvt_f32_i32_e32 v56, v56
	v_cvt_f32_i32_e32 v57, v57
	;; [unrolled: 1-line block ×3, first 2 shown]
	v_fma_mix_f32 v56, v61, v56, 0 op_sel_hi:[1,0,0]
	v_fma_mix_f32 v57, v61, v57, 0 op_sel_hi:[1,0,0]
	s_waitcnt vmcnt(4)
	v_fma_mix_f32 v56, v63, v58, v56 op_sel_hi:[1,0,0]
	v_dot4_i32_i8 v58, v42, v62, 0
	v_cvt_f32_i32_e32 v58, v58
	v_fma_mix_f32 v57, v63, v58, v57 op_sel_hi:[1,0,0]
	s_waitcnt vmcnt(3)
	v_dot4_i32_i8 v58, v43, v64, 0
	v_mul_lo_u32 v58, v44, v58
	v_cvt_f32_i32_e32 v58, v58
	s_waitcnt vmcnt(2)
	v_fma_mix_f32 v56, v65, v58, v56 op_sel_hi:[1,0,0]
	v_dot4_i32_i8 v58, v45, v64, 0
	v_cvt_f32_i32_e32 v58, v58
	v_fma_mix_f32 v57, v65, v58, v57 op_sel_hi:[1,0,0]
	s_waitcnt vmcnt(1)
	v_dot4_i32_i8 v58, v46, v66, 0
	v_mul_lo_u32 v58, v47, v58
	v_cvt_f32_i32_e32 v58, v58
	s_waitcnt vmcnt(0)
	v_fma_mix_f32 v56, v67, v58, v56 op_sel_hi:[1,0,0]
	v_dot4_i32_i8 v58, v48, v66, 0
	v_cvt_f32_i32_e32 v58, v58
	v_fma_mix_f32 v57, v67, v58, v57 op_sel_hi:[1,0,0]
	v_mul_f32_e32 v57, v57, v49
	v_fma_mix_f32 v56, v56, v36, -v57 op_sel_hi:[0,1,0]
	v_add_f32_e32 v15, v15, v56
	v_dot4_i32_i8 v56, v53, v60, 0
	v_mul_lo_u32 v56, v54, v56
	v_dot4_i32_i8 v58, v51, v62, 0
	v_mul_lo_u32 v58, v52, v58
	v_dot4_i32_i8 v57, v55, v60, 0
	v_cvt_f32_i32_e32 v56, v56
	v_cvt_f32_i32_e32 v57, v57
	v_cvt_f32_i32_e32 v58, v58
	v_fma_mix_f32 v56, v61, v56, 0 op_sel_hi:[1,0,0]
	v_fma_mix_f32 v57, v61, v57, 0 op_sel_hi:[1,0,0]
	;; [unrolled: 1-line block ×3, first 2 shown]
	v_dot4_i32_i8 v58, v50, v62, 0
	v_cvt_f32_i32_e32 v58, v58
	v_fma_mix_f32 v57, v63, v58, v57 op_sel_hi:[1,0,0]
	v_dot4_i32_i8 v58, v34, v64, 0
	v_mul_lo_u32 v58, v35, v58
	v_cvt_f32_i32_e32 v58, v58
	v_fma_mix_f32 v56, v65, v58, v56 op_sel_hi:[1,0,0]
	v_dot4_i32_i8 v58, v33, v64, 0
	v_cvt_f32_i32_e32 v58, v58
	v_fma_mix_f32 v57, v65, v58, v57 op_sel_hi:[1,0,0]
	v_dot4_i32_i8 v58, v32, v66, 0
	v_mul_lo_u32 v58, v31, v58
	v_cvt_f32_i32_e32 v58, v58
	v_fma_mix_f32 v56, v67, v58, v56 op_sel_hi:[1,0,0]
	v_dot4_i32_i8 v58, v29, v66, 0
	v_cvt_f32_i32_e32 v58, v58
	v_fma_mix_f32 v57, v67, v58, v57 op_sel_hi:[1,0,0]
	v_mul_f32_e32 v57, v57, v30
	v_fma_mix_f32 v56, v56, v28, -v57 op_sel_hi:[0,1,0]
	v_add_f32_e32 v14, v14, v56
	v_add_u32_e32 v56, s19, v25
	v_mad_u64_u32 v[56:57], s[26:27], v56, 36, v[2:3]
	v_add_co_u32_e32 v58, vcc, v56, v27
	v_addc_co_u32_e32 v59, vcc, 0, v57, vcc
	global_load_dword v60, v[58:59], off offset:4
	global_load_dword v61, v[56:57], off
	global_load_dword v62, v[58:59], off offset:40
	global_load_dword v63, v[56:57], off offset:36
	;; [unrolled: 1-line block ×6, first 2 shown]
	s_waitcnt vmcnt(7)
	v_dot4_i32_i8 v56, v37, v60, 0
	v_mul_lo_u32 v56, v38, v56
	s_waitcnt vmcnt(5)
	v_dot4_i32_i8 v58, v40, v62, 0
	v_mul_lo_u32 v58, v41, v58
	v_dot4_i32_i8 v57, v39, v60, 0
	v_cvt_f32_i32_e32 v56, v56
	v_cvt_f32_i32_e32 v57, v57
	;; [unrolled: 1-line block ×3, first 2 shown]
	v_fma_mix_f32 v56, v61, v56, 0 op_sel_hi:[1,0,0]
	v_fma_mix_f32 v57, v61, v57, 0 op_sel_hi:[1,0,0]
	s_waitcnt vmcnt(4)
	v_fma_mix_f32 v56, v63, v58, v56 op_sel_hi:[1,0,0]
	v_dot4_i32_i8 v58, v42, v62, 0
	v_cvt_f32_i32_e32 v58, v58
	v_fma_mix_f32 v57, v63, v58, v57 op_sel_hi:[1,0,0]
	s_waitcnt vmcnt(3)
	v_dot4_i32_i8 v58, v43, v64, 0
	v_mul_lo_u32 v58, v44, v58
	v_cvt_f32_i32_e32 v58, v58
	s_waitcnt vmcnt(2)
	v_fma_mix_f32 v56, v65, v58, v56 op_sel_hi:[1,0,0]
	v_dot4_i32_i8 v58, v45, v64, 0
	v_cvt_f32_i32_e32 v58, v58
	v_fma_mix_f32 v57, v65, v58, v57 op_sel_hi:[1,0,0]
	s_waitcnt vmcnt(1)
	v_dot4_i32_i8 v58, v46, v66, 0
	v_mul_lo_u32 v58, v47, v58
	v_cvt_f32_i32_e32 v58, v58
	s_waitcnt vmcnt(0)
	v_fma_mix_f32 v56, v67, v58, v56 op_sel_hi:[1,0,0]
	v_dot4_i32_i8 v58, v48, v66, 0
	v_cvt_f32_i32_e32 v58, v58
	v_fma_mix_f32 v57, v67, v58, v57 op_sel_hi:[1,0,0]
	v_mul_f32_e32 v57, v57, v49
	v_fma_mix_f32 v56, v56, v36, -v57 op_sel_hi:[0,1,0]
	v_add_f32_e32 v13, v13, v56
	v_dot4_i32_i8 v56, v53, v60, 0
	v_mul_lo_u32 v56, v54, v56
	v_dot4_i32_i8 v58, v51, v62, 0
	v_mul_lo_u32 v58, v52, v58
	v_dot4_i32_i8 v57, v55, v60, 0
	v_cvt_f32_i32_e32 v56, v56
	v_cvt_f32_i32_e32 v57, v57
	;; [unrolled: 1-line block ×3, first 2 shown]
	v_fma_mix_f32 v56, v61, v56, 0 op_sel_hi:[1,0,0]
	v_fma_mix_f32 v57, v61, v57, 0 op_sel_hi:[1,0,0]
	;; [unrolled: 1-line block ×3, first 2 shown]
	v_dot4_i32_i8 v58, v50, v62, 0
	v_cvt_f32_i32_e32 v58, v58
	v_fma_mix_f32 v57, v63, v58, v57 op_sel_hi:[1,0,0]
	v_dot4_i32_i8 v58, v34, v64, 0
	v_mul_lo_u32 v58, v35, v58
	v_cvt_f32_i32_e32 v58, v58
	v_fma_mix_f32 v56, v65, v58, v56 op_sel_hi:[1,0,0]
	v_dot4_i32_i8 v58, v33, v64, 0
	v_cvt_f32_i32_e32 v58, v58
	v_fma_mix_f32 v57, v65, v58, v57 op_sel_hi:[1,0,0]
	v_dot4_i32_i8 v58, v32, v66, 0
	v_mul_lo_u32 v58, v31, v58
	v_cvt_f32_i32_e32 v58, v58
	v_fma_mix_f32 v56, v67, v58, v56 op_sel_hi:[1,0,0]
	v_dot4_i32_i8 v58, v29, v66, 0
	v_cvt_f32_i32_e32 v58, v58
	v_fma_mix_f32 v57, v67, v58, v57 op_sel_hi:[1,0,0]
	v_mul_f32_e32 v57, v57, v30
	v_fma_mix_f32 v56, v56, v28, -v57 op_sel_hi:[0,1,0]
	v_add_f32_e32 v12, v12, v56
	v_add_u32_e32 v56, s22, v25
	v_mad_u64_u32 v[56:57], s[26:27], v56, 36, v[2:3]
	v_add_co_u32_e32 v58, vcc, v56, v27
	v_addc_co_u32_e32 v59, vcc, 0, v57, vcc
	global_load_dword v60, v[58:59], off offset:4
	global_load_dword v61, v[56:57], off
	global_load_dword v62, v[58:59], off offset:40
	global_load_dword v63, v[56:57], off offset:36
	;; [unrolled: 1-line block ×6, first 2 shown]
	s_waitcnt vmcnt(7)
	v_dot4_i32_i8 v56, v37, v60, 0
	v_mul_lo_u32 v56, v38, v56
	s_waitcnt vmcnt(5)
	v_dot4_i32_i8 v58, v40, v62, 0
	v_mul_lo_u32 v58, v41, v58
	v_dot4_i32_i8 v57, v39, v60, 0
	v_cvt_f32_i32_e32 v56, v56
	v_cvt_f32_i32_e32 v57, v57
	;; [unrolled: 1-line block ×3, first 2 shown]
	v_fma_mix_f32 v56, v61, v56, 0 op_sel_hi:[1,0,0]
	v_fma_mix_f32 v57, v61, v57, 0 op_sel_hi:[1,0,0]
	s_waitcnt vmcnt(4)
	v_fma_mix_f32 v56, v63, v58, v56 op_sel_hi:[1,0,0]
	v_dot4_i32_i8 v58, v42, v62, 0
	v_cvt_f32_i32_e32 v58, v58
	v_fma_mix_f32 v57, v63, v58, v57 op_sel_hi:[1,0,0]
	s_waitcnt vmcnt(3)
	v_dot4_i32_i8 v58, v43, v64, 0
	v_mul_lo_u32 v58, v44, v58
	v_cvt_f32_i32_e32 v58, v58
	s_waitcnt vmcnt(2)
	v_fma_mix_f32 v56, v65, v58, v56 op_sel_hi:[1,0,0]
	v_dot4_i32_i8 v58, v45, v64, 0
	v_cvt_f32_i32_e32 v58, v58
	v_fma_mix_f32 v57, v65, v58, v57 op_sel_hi:[1,0,0]
	s_waitcnt vmcnt(1)
	v_dot4_i32_i8 v58, v46, v66, 0
	v_mul_lo_u32 v58, v47, v58
	v_cvt_f32_i32_e32 v58, v58
	s_waitcnt vmcnt(0)
	v_fma_mix_f32 v56, v67, v58, v56 op_sel_hi:[1,0,0]
	v_dot4_i32_i8 v58, v48, v66, 0
	v_cvt_f32_i32_e32 v58, v58
	v_fma_mix_f32 v57, v67, v58, v57 op_sel_hi:[1,0,0]
	v_mul_f32_e32 v57, v57, v49
	v_fma_mix_f32 v56, v56, v36, -v57 op_sel_hi:[0,1,0]
	v_add_f32_e32 v11, v11, v56
	v_dot4_i32_i8 v56, v53, v60, 0
	v_mul_lo_u32 v56, v54, v56
	v_dot4_i32_i8 v58, v51, v62, 0
	v_mul_lo_u32 v58, v52, v58
	v_dot4_i32_i8 v57, v55, v60, 0
	v_cvt_f32_i32_e32 v56, v56
	v_cvt_f32_i32_e32 v57, v57
	;; [unrolled: 1-line block ×3, first 2 shown]
	v_fma_mix_f32 v56, v61, v56, 0 op_sel_hi:[1,0,0]
	v_fma_mix_f32 v57, v61, v57, 0 op_sel_hi:[1,0,0]
	;; [unrolled: 1-line block ×3, first 2 shown]
	v_dot4_i32_i8 v58, v50, v62, 0
	v_cvt_f32_i32_e32 v58, v58
	v_fma_mix_f32 v57, v63, v58, v57 op_sel_hi:[1,0,0]
	v_dot4_i32_i8 v58, v34, v64, 0
	v_mul_lo_u32 v58, v35, v58
	v_cvt_f32_i32_e32 v58, v58
	v_fma_mix_f32 v56, v65, v58, v56 op_sel_hi:[1,0,0]
	v_dot4_i32_i8 v58, v33, v64, 0
	v_cvt_f32_i32_e32 v58, v58
	v_fma_mix_f32 v57, v65, v58, v57 op_sel_hi:[1,0,0]
	v_dot4_i32_i8 v58, v32, v66, 0
	v_mul_lo_u32 v58, v31, v58
	v_cvt_f32_i32_e32 v58, v58
	v_fma_mix_f32 v56, v67, v58, v56 op_sel_hi:[1,0,0]
	v_dot4_i32_i8 v58, v29, v66, 0
	v_cvt_f32_i32_e32 v58, v58
	v_fma_mix_f32 v57, v67, v58, v57 op_sel_hi:[1,0,0]
	v_mul_f32_e32 v57, v57, v30
	v_fma_mix_f32 v56, v56, v28, -v57 op_sel_hi:[0,1,0]
	v_add_f32_e32 v10, v10, v56
	v_add_u32_e32 v56, s23, v25
	v_mad_u64_u32 v[56:57], s[26:27], v56, 36, v[2:3]
	v_add_co_u32_e32 v58, vcc, v56, v27
	v_addc_co_u32_e32 v59, vcc, 0, v57, vcc
	global_load_dword v60, v[58:59], off offset:4
	global_load_dword v61, v[56:57], off
	global_load_dword v62, v[58:59], off offset:40
	global_load_dword v63, v[56:57], off offset:36
	;; [unrolled: 1-line block ×6, first 2 shown]
	s_waitcnt vmcnt(7)
	v_dot4_i32_i8 v56, v37, v60, 0
	v_mul_lo_u32 v56, v38, v56
	s_waitcnt vmcnt(5)
	v_dot4_i32_i8 v58, v40, v62, 0
	v_mul_lo_u32 v58, v41, v58
	v_dot4_i32_i8 v57, v39, v60, 0
	v_cvt_f32_i32_e32 v56, v56
	v_cvt_f32_i32_e32 v57, v57
	;; [unrolled: 1-line block ×3, first 2 shown]
	v_fma_mix_f32 v56, v61, v56, 0 op_sel_hi:[1,0,0]
	v_fma_mix_f32 v57, v61, v57, 0 op_sel_hi:[1,0,0]
	s_waitcnt vmcnt(4)
	v_fma_mix_f32 v56, v63, v58, v56 op_sel_hi:[1,0,0]
	v_dot4_i32_i8 v58, v42, v62, 0
	v_cvt_f32_i32_e32 v58, v58
	v_fma_mix_f32 v57, v63, v58, v57 op_sel_hi:[1,0,0]
	s_waitcnt vmcnt(3)
	v_dot4_i32_i8 v58, v43, v64, 0
	v_mul_lo_u32 v58, v44, v58
	v_cvt_f32_i32_e32 v58, v58
	s_waitcnt vmcnt(2)
	v_fma_mix_f32 v56, v65, v58, v56 op_sel_hi:[1,0,0]
	v_dot4_i32_i8 v58, v45, v64, 0
	v_cvt_f32_i32_e32 v58, v58
	v_fma_mix_f32 v57, v65, v58, v57 op_sel_hi:[1,0,0]
	s_waitcnt vmcnt(1)
	v_dot4_i32_i8 v58, v46, v66, 0
	v_mul_lo_u32 v58, v47, v58
	v_cvt_f32_i32_e32 v58, v58
	s_waitcnt vmcnt(0)
	v_fma_mix_f32 v56, v67, v58, v56 op_sel_hi:[1,0,0]
	v_dot4_i32_i8 v58, v48, v66, 0
	v_cvt_f32_i32_e32 v58, v58
	v_fma_mix_f32 v57, v67, v58, v57 op_sel_hi:[1,0,0]
	v_mul_f32_e32 v57, v57, v49
	v_fma_mix_f32 v56, v56, v36, -v57 op_sel_hi:[0,1,0]
	v_add_f32_e32 v9, v9, v56
	v_dot4_i32_i8 v56, v53, v60, 0
	v_mul_lo_u32 v56, v54, v56
	v_dot4_i32_i8 v58, v51, v62, 0
	v_mul_lo_u32 v58, v52, v58
	v_dot4_i32_i8 v57, v55, v60, 0
	v_cvt_f32_i32_e32 v56, v56
	v_cvt_f32_i32_e32 v57, v57
	v_cvt_f32_i32_e32 v58, v58
	v_fma_mix_f32 v56, v61, v56, 0 op_sel_hi:[1,0,0]
	v_fma_mix_f32 v57, v61, v57, 0 op_sel_hi:[1,0,0]
	;; [unrolled: 1-line block ×3, first 2 shown]
	v_dot4_i32_i8 v58, v50, v62, 0
	v_cvt_f32_i32_e32 v58, v58
	v_fma_mix_f32 v57, v63, v58, v57 op_sel_hi:[1,0,0]
	v_dot4_i32_i8 v58, v34, v64, 0
	v_mul_lo_u32 v58, v35, v58
	v_cvt_f32_i32_e32 v58, v58
	v_fma_mix_f32 v56, v65, v58, v56 op_sel_hi:[1,0,0]
	v_dot4_i32_i8 v58, v33, v64, 0
	v_cvt_f32_i32_e32 v58, v58
	v_fma_mix_f32 v57, v65, v58, v57 op_sel_hi:[1,0,0]
	v_dot4_i32_i8 v58, v32, v66, 0
	v_mul_lo_u32 v58, v31, v58
	v_cvt_f32_i32_e32 v58, v58
	v_fma_mix_f32 v56, v67, v58, v56 op_sel_hi:[1,0,0]
	v_dot4_i32_i8 v58, v29, v66, 0
	v_cvt_f32_i32_e32 v58, v58
	v_fma_mix_f32 v57, v67, v58, v57 op_sel_hi:[1,0,0]
	v_mul_f32_e32 v57, v57, v30
	v_fma_mix_f32 v56, v56, v28, -v57 op_sel_hi:[0,1,0]
	v_add_f32_e32 v8, v8, v56
	v_add_u32_e32 v56, s15, v25
	v_mad_u64_u32 v[60:61], s[26:27], v56, 36, v[2:3]
	v_add_u32_e32 v25, 32, v25
	v_add_co_u32_e32 v62, vcc, v60, v27
	v_addc_co_u32_e32 v63, vcc, 0, v61, vcc
	global_load_dword v64, v[62:63], off offset:4
	global_load_dword v65, v[60:61], off
	global_load_dword v66, v[62:63], off offset:40
	global_load_dword v67, v[60:61], off offset:36
	;; [unrolled: 1-line block ×6, first 2 shown]
	v_add_co_u32_e32 v4, vcc, 0x480, v4
	v_addc_co_u32_e32 v5, vcc, 0, v5, vcc
	v_cmp_le_u32_e32 vcc, s9, v22
	s_or_b64 s[12:13], vcc, s[12:13]
	s_waitcnt vmcnt(7)
	v_dot4_i32_i8 v37, v37, v64, 0
	v_mul_lo_u32 v37, v38, v37
	v_dot4_i32_i8 v38, v39, v64, 0
	s_waitcnt vmcnt(5)
	v_dot4_i32_i8 v39, v40, v66, 0
	v_mul_lo_u32 v39, v41, v39
	v_cvt_f32_i32_e32 v37, v37
	v_cvt_f32_i32_e32 v38, v38
	s_waitcnt vmcnt(3)
	v_dot4_i32_i8 v34, v34, v59, 0
	v_cvt_f32_i32_e32 v39, v39
	v_fma_mix_f32 v37, v65, v37, 0 op_sel_hi:[1,0,0]
	v_fma_mix_f32 v38, v65, v38, 0 op_sel_hi:[1,0,0]
	v_mul_lo_u32 v34, v35, v34
	v_fma_mix_f32 v37, v67, v39, v37 op_sel_hi:[1,0,0]
	v_dot4_i32_i8 v39, v42, v66, 0
	v_cvt_f32_i32_e32 v39, v39
	s_waitcnt vmcnt(1)
	v_dot4_i32_i8 v32, v32, v56, 0
	v_mul_lo_u32 v31, v31, v32
	v_dot4_i32_i8 v33, v33, v59, 0
	v_fma_mix_f32 v38, v67, v39, v38 op_sel_hi:[1,0,0]
	v_dot4_i32_i8 v39, v43, v59, 0
	v_mul_lo_u32 v39, v44, v39
	v_cvt_f32_i32_e32 v33, v33
	v_dot4_i32_i8 v29, v29, v56, 0
	v_cvt_f32_i32_e32 v34, v34
	v_cvt_f32_i32_e32 v39, v39
	;; [unrolled: 1-line block ×4, first 2 shown]
	v_fma_mix_f32 v37, v58, v39, v37 op_sel_hi:[1,0,0]
	v_dot4_i32_i8 v39, v45, v59, 0
	v_cvt_f32_i32_e32 v39, v39
	v_fma_mix_f32 v38, v58, v39, v38 op_sel_hi:[1,0,0]
	v_dot4_i32_i8 v39, v46, v56, 0
	v_mul_lo_u32 v39, v47, v39
	v_cvt_f32_i32_e32 v39, v39
	s_waitcnt vmcnt(0)
	v_fma_mix_f32 v37, v57, v39, v37 op_sel_hi:[1,0,0]
	v_dot4_i32_i8 v39, v48, v56, 0
	v_cvt_f32_i32_e32 v39, v39
	v_fma_mix_f32 v38, v57, v39, v38 op_sel_hi:[1,0,0]
	v_mul_f32_e32 v38, v38, v49
	v_fma_mix_f32 v36, v37, v36, -v38 op_sel_hi:[0,1,0]
	v_add_f32_e32 v7, v7, v36
	v_dot4_i32_i8 v36, v53, v64, 0
	v_mul_lo_u32 v36, v54, v36
	v_dot4_i32_i8 v38, v51, v66, 0
	v_mul_lo_u32 v38, v52, v38
	v_dot4_i32_i8 v37, v55, v64, 0
	v_cvt_f32_i32_e32 v36, v36
	v_cvt_f32_i32_e32 v37, v37
	;; [unrolled: 1-line block ×3, first 2 shown]
	v_fma_mix_f32 v36, v65, v36, 0 op_sel_hi:[1,0,0]
	v_fma_mix_f32 v37, v65, v37, 0 op_sel_hi:[1,0,0]
	;; [unrolled: 1-line block ×3, first 2 shown]
	v_dot4_i32_i8 v38, v50, v66, 0
	v_cvt_f32_i32_e32 v38, v38
	v_fma_mix_f32 v34, v58, v34, v36 op_sel_hi:[1,0,0]
	v_fma_mix_f32 v31, v57, v31, v34 op_sel_hi:[1,0,0]
	;; [unrolled: 1-line block ×5, first 2 shown]
	v_mul_f32_e32 v29, v29, v30
	v_fma_mix_f32 v28, v31, v28, -v29 op_sel_hi:[0,1,0]
	v_add_f32_e32 v6, v6, v28
	s_andn2_b64 exec, exec, s[12:13]
	s_cbranch_execnz .LBB107_2
; %bb.3:
	s_or_b64 exec, exec, s[12:13]
.LBB107_4:
	s_or_b64 exec, exec, s[10:11]
	s_mov_b32 s1, 0
	v_cmp_eq_u32_e32 vcc, 0, v1
	; wave barrier
	s_and_saveexec_b64 s[10:11], vcc
	s_cbranch_execz .LBB107_21
; %bb.5:
	v_mbcnt_lo_u32_b32 v1, -1, 0
	v_mbcnt_hi_u32_b32 v22, -1, v1
	v_and_b32_e32 v1, 64, v22
	v_add_u32_e32 v23, 64, v1
	v_xor_b32_e32 v1, 32, v22
	v_cmp_lt_i32_e32 vcc, v1, v23
	v_cndmask_b32_e32 v1, v22, v1, vcc
	v_lshlrev_b32_e32 v1, 2, v1
	ds_bpermute_b32 v5, v1, v21
	ds_bpermute_b32 v24, v1, v20
	v_xor_b32_e32 v2, 16, v22
	v_cmp_lt_i32_e32 vcc, v2, v23
	v_cndmask_b32_e32 v2, v22, v2, vcc
	v_lshlrev_b32_e32 v2, 2, v2
	s_waitcnt lgkmcnt(1)
	v_add_f32_e32 v5, v21, v5
	s_waitcnt lgkmcnt(0)
	v_add_f32_e32 v20, v20, v24
	ds_bpermute_b32 v21, v2, v5
	ds_bpermute_b32 v24, v2, v20
	v_xor_b32_e32 v3, 8, v22
	v_cmp_lt_i32_e32 vcc, v3, v23
	v_cndmask_b32_e32 v3, v22, v3, vcc
	v_lshlrev_b32_e32 v3, 2, v3
	s_waitcnt lgkmcnt(1)
	v_add_f32_e32 v21, v5, v21
	s_waitcnt lgkmcnt(0)
	v_add_f32_e32 v20, v20, v24
	;; [unrolled: 10-line block ×3, first 2 shown]
	ds_bpermute_b32 v26, v4, v21
	ds_bpermute_b32 v24, v4, v20
	v_xor_b32_e32 v25, 2, v22
	v_cmp_lt_i32_e32 vcc, v25, v23
	v_cndmask_b32_e32 v25, v22, v25, vcc
	v_lshlrev_b32_e32 v5, 2, v25
	v_xor_b32_e32 v25, 1, v22
	s_waitcnt lgkmcnt(1)
	v_add_f32_e32 v21, v21, v26
	s_waitcnt lgkmcnt(0)
	v_add_f32_e32 v20, v20, v24
	v_cmp_lt_i32_e32 vcc, v25, v23
	ds_bpermute_b32 v23, v5, v21
	ds_bpermute_b32 v24, v5, v20
	s_load_dwordx2 s[4:5], s[4:5], 0x38
	v_cndmask_b32_e32 v22, v22, v25, vcc
	s_mul_i32 s3, s14, s7
	v_lshlrev_b32_e32 v22, 2, v22
	s_waitcnt lgkmcnt(0)
	v_add_f32_e32 v21, v21, v23
	v_add_f32_e32 v24, v20, v24
	s_mul_i32 s0, s18, s8
	s_add_i32 s3, s3, s6
	ds_bpermute_b32 v23, v22, v21
	ds_bpermute_b32 v25, v22, v24
	s_add_i32 s0, s3, s0
	s_lshl_b64 s[0:1], s[0:1], 2
	s_add_u32 s4, s4, s0
	v_add_u32_e32 v20, s6, v0
	s_addc_u32 s5, s5, s1
	v_cmp_gt_u32_e32 vcc, 2, v0
	v_cmp_gt_u32_e64 s[0:1], s2, v20
	s_and_b64 s[0:1], vcc, s[0:1]
	s_waitcnt lgkmcnt(1)
	v_add_f32_e32 v20, v21, v23
	s_waitcnt lgkmcnt(0)
	v_add_f32_e32 v21, v24, v25
	s_and_saveexec_b64 s[6:7], s[0:1]
	s_cbranch_execz .LBB107_7
; %bb.6:
	v_cmp_eq_u32_e32 vcc, 1, v0
	v_cndmask_b32_e32 v23, v20, v21, vcc
	v_cmp_eq_u32_e32 vcc, 2, v0
	v_cndmask_b32_e32 v23, v23, v19, vcc
	;; [unrolled: 2-line block ×15, first 2 shown]
	v_lshlrev_b32_e32 v24, 2, v0
	global_store_dword v24, v23, s[4:5]
.LBB107_7:
	s_or_b64 exec, exec, s[6:7]
	ds_bpermute_b32 v23, v1, v19
	ds_bpermute_b32 v24, v1, v18
	s_waitcnt lgkmcnt(1)
	v_add_f32_e32 v19, v19, v23
	s_waitcnt lgkmcnt(0)
	v_add_f32_e32 v18, v18, v24
	ds_bpermute_b32 v23, v2, v19
	ds_bpermute_b32 v24, v2, v18
	s_waitcnt lgkmcnt(1)
	v_add_f32_e32 v19, v19, v23
	s_waitcnt lgkmcnt(0)
	v_add_f32_e32 v18, v18, v24
	;; [unrolled: 6-line block ×6, first 2 shown]
	s_and_saveexec_b64 s[6:7], s[0:1]
	s_cbranch_execz .LBB107_9
; %bb.8:
	v_add_u32_e32 v23, 2, v0
	v_cmp_eq_u32_e32 vcc, 1, v23
	v_cndmask_b32_e32 v24, v20, v21, vcc
	v_cmp_eq_u32_e32 vcc, 2, v23
	v_cndmask_b32_e32 v24, v24, v19, vcc
	;; [unrolled: 2-line block ×15, first 2 shown]
	v_add_u32_e32 v23, s2, v0
	v_mov_b32_e32 v24, 0
	v_lshlrev_b64 v[23:24], 2, v[23:24]
	v_mov_b32_e32 v26, s5
	v_add_co_u32_e32 v23, vcc, s4, v23
	v_addc_co_u32_e32 v24, vcc, v26, v24, vcc
	global_store_dword v[23:24], v25, off
.LBB107_9:
	s_or_b64 exec, exec, s[6:7]
	ds_bpermute_b32 v23, v1, v17
	ds_bpermute_b32 v24, v1, v16
	s_waitcnt lgkmcnt(1)
	v_add_f32_e32 v17, v17, v23
	s_waitcnt lgkmcnt(0)
	v_add_f32_e32 v16, v16, v24
	ds_bpermute_b32 v23, v2, v17
	ds_bpermute_b32 v24, v2, v16
	s_waitcnt lgkmcnt(1)
	v_add_f32_e32 v17, v17, v23
	s_waitcnt lgkmcnt(0)
	v_add_f32_e32 v16, v16, v24
	;; [unrolled: 6-line block ×6, first 2 shown]
	s_and_saveexec_b64 s[6:7], s[0:1]
	s_cbranch_execz .LBB107_11
; %bb.10:
	v_add_u32_e32 v23, 4, v0
	v_cmp_eq_u32_e32 vcc, 1, v23
	v_cndmask_b32_e32 v24, v20, v21, vcc
	v_cmp_eq_u32_e32 vcc, 2, v23
	v_cndmask_b32_e32 v24, v24, v19, vcc
	;; [unrolled: 2-line block ×15, first 2 shown]
	v_lshl_or_b32 v23, s2, 1, v0
	v_mov_b32_e32 v24, 0
	v_lshlrev_b64 v[23:24], 2, v[23:24]
	v_mov_b32_e32 v26, s5
	v_add_co_u32_e32 v23, vcc, s4, v23
	v_addc_co_u32_e32 v24, vcc, v26, v24, vcc
	global_store_dword v[23:24], v25, off
.LBB107_11:
	s_or_b64 exec, exec, s[6:7]
	ds_bpermute_b32 v23, v1, v15
	ds_bpermute_b32 v24, v1, v14
	s_waitcnt lgkmcnt(1)
	v_add_f32_e32 v15, v15, v23
	s_waitcnt lgkmcnt(0)
	v_add_f32_e32 v14, v14, v24
	ds_bpermute_b32 v23, v2, v15
	ds_bpermute_b32 v24, v2, v14
	s_waitcnt lgkmcnt(1)
	v_add_f32_e32 v15, v15, v23
	s_waitcnt lgkmcnt(0)
	v_add_f32_e32 v14, v14, v24
	;; [unrolled: 6-line block ×6, first 2 shown]
	s_and_saveexec_b64 s[6:7], s[0:1]
	s_cbranch_execz .LBB107_13
; %bb.12:
	v_add_u32_e32 v25, 6, v0
	v_cmp_eq_u32_e32 vcc, 1, v25
	v_cndmask_b32_e32 v23, v20, v21, vcc
	v_cmp_eq_u32_e32 vcc, 2, v25
	v_cndmask_b32_e32 v23, v23, v19, vcc
	;; [unrolled: 2-line block ×14, first 2 shown]
	v_mad_u64_u32 v[23:24], s[8:9], s2, 3, v[0:1]
	v_mov_b32_e32 v24, 0
	v_cmp_eq_u32_e32 vcc, 15, v25
	v_lshlrev_b64 v[23:24], 2, v[23:24]
	v_cndmask_b32_e32 v25, v26, v6, vcc
	v_mov_b32_e32 v26, s5
	v_add_co_u32_e32 v23, vcc, s4, v23
	v_addc_co_u32_e32 v24, vcc, v26, v24, vcc
	global_store_dword v[23:24], v25, off
.LBB107_13:
	s_or_b64 exec, exec, s[6:7]
	ds_bpermute_b32 v23, v1, v13
	ds_bpermute_b32 v24, v1, v12
	s_waitcnt lgkmcnt(1)
	v_add_f32_e32 v13, v13, v23
	s_waitcnt lgkmcnt(0)
	v_add_f32_e32 v12, v12, v24
	ds_bpermute_b32 v23, v2, v13
	ds_bpermute_b32 v24, v2, v12
	s_waitcnt lgkmcnt(1)
	v_add_f32_e32 v13, v13, v23
	s_waitcnt lgkmcnt(0)
	v_add_f32_e32 v12, v12, v24
	ds_bpermute_b32 v23, v3, v13
	ds_bpermute_b32 v24, v3, v12
	s_waitcnt lgkmcnt(1)
	v_add_f32_e32 v13, v13, v23
	s_waitcnt lgkmcnt(0)
	v_add_f32_e32 v12, v12, v24
	ds_bpermute_b32 v23, v4, v13
	ds_bpermute_b32 v24, v4, v12
	s_waitcnt lgkmcnt(1)
	v_add_f32_e32 v13, v13, v23
	s_waitcnt lgkmcnt(0)
	v_add_f32_e32 v12, v12, v24
	ds_bpermute_b32 v23, v5, v13
	ds_bpermute_b32 v24, v5, v12
	s_waitcnt lgkmcnt(1)
	v_add_f32_e32 v13, v13, v23
	s_waitcnt lgkmcnt(0)
	v_add_f32_e32 v12, v12, v24
	ds_bpermute_b32 v23, v22, v13
	ds_bpermute_b32 v24, v22, v12
	s_waitcnt lgkmcnt(1)
	v_add_f32_e32 v13, v13, v23
	s_waitcnt lgkmcnt(0)
	v_add_f32_e32 v12, v12, v24
	s_and_saveexec_b64 s[6:7], s[0:1]
	s_cbranch_execz .LBB107_15
; %bb.14:
	v_add_u32_e32 v23, 8, v0
	v_cmp_eq_u32_e32 vcc, 1, v23
	v_cndmask_b32_e32 v24, v20, v21, vcc
	v_cmp_eq_u32_e32 vcc, 2, v23
	v_cndmask_b32_e32 v24, v24, v19, vcc
	;; [unrolled: 2-line block ×15, first 2 shown]
	v_lshl_or_b32 v23, s2, 2, v0
	v_mov_b32_e32 v24, 0
	v_lshlrev_b64 v[23:24], 2, v[23:24]
	v_mov_b32_e32 v26, s5
	v_add_co_u32_e32 v23, vcc, s4, v23
	v_addc_co_u32_e32 v24, vcc, v26, v24, vcc
	global_store_dword v[23:24], v25, off
.LBB107_15:
	s_or_b64 exec, exec, s[6:7]
	ds_bpermute_b32 v23, v1, v11
	ds_bpermute_b32 v24, v1, v10
	s_waitcnt lgkmcnt(1)
	v_add_f32_e32 v11, v11, v23
	s_waitcnt lgkmcnt(0)
	v_add_f32_e32 v10, v10, v24
	ds_bpermute_b32 v23, v2, v11
	ds_bpermute_b32 v24, v2, v10
	s_waitcnt lgkmcnt(1)
	v_add_f32_e32 v11, v11, v23
	s_waitcnt lgkmcnt(0)
	v_add_f32_e32 v10, v10, v24
	;; [unrolled: 6-line block ×6, first 2 shown]
	s_and_saveexec_b64 s[6:7], s[0:1]
	s_cbranch_execz .LBB107_17
; %bb.16:
	v_add_u32_e32 v25, 10, v0
	v_cmp_eq_u32_e32 vcc, 1, v25
	v_cndmask_b32_e32 v23, v20, v21, vcc
	v_cmp_eq_u32_e32 vcc, 2, v25
	v_cndmask_b32_e32 v23, v23, v19, vcc
	;; [unrolled: 2-line block ×14, first 2 shown]
	v_mad_u64_u32 v[23:24], s[8:9], s2, 5, v[0:1]
	v_mov_b32_e32 v24, 0
	v_cmp_eq_u32_e32 vcc, 15, v25
	v_lshlrev_b64 v[23:24], 2, v[23:24]
	v_cndmask_b32_e32 v25, v26, v6, vcc
	v_mov_b32_e32 v26, s5
	v_add_co_u32_e32 v23, vcc, s4, v23
	v_addc_co_u32_e32 v24, vcc, v26, v24, vcc
	global_store_dword v[23:24], v25, off
.LBB107_17:
	s_or_b64 exec, exec, s[6:7]
	ds_bpermute_b32 v23, v1, v9
	ds_bpermute_b32 v24, v1, v8
	s_waitcnt lgkmcnt(1)
	v_add_f32_e32 v9, v9, v23
	s_waitcnt lgkmcnt(0)
	v_add_f32_e32 v8, v8, v24
	ds_bpermute_b32 v23, v2, v9
	ds_bpermute_b32 v24, v2, v8
	s_waitcnt lgkmcnt(1)
	v_add_f32_e32 v9, v9, v23
	s_waitcnt lgkmcnt(0)
	v_add_f32_e32 v8, v8, v24
	;; [unrolled: 6-line block ×6, first 2 shown]
	s_and_saveexec_b64 s[6:7], s[0:1]
	s_cbranch_execz .LBB107_19
; %bb.18:
	v_add_u32_e32 v23, 12, v0
	v_cmp_eq_u32_e32 vcc, 1, v23
	v_cndmask_b32_e32 v24, v20, v21, vcc
	v_cmp_eq_u32_e32 vcc, 2, v23
	v_cndmask_b32_e32 v24, v24, v19, vcc
	;; [unrolled: 2-line block ×14, first 2 shown]
	v_cmp_eq_u32_e32 vcc, 15, v23
	s_mul_i32 s3, s2, 6
	v_cndmask_b32_e32 v25, v24, v6, vcc
	v_or_b32_e32 v23, s3, v0
	v_mov_b32_e32 v24, 0
	v_lshlrev_b64 v[23:24], 2, v[23:24]
	v_mov_b32_e32 v26, s5
	v_add_co_u32_e32 v23, vcc, s4, v23
	v_addc_co_u32_e32 v24, vcc, v26, v24, vcc
	global_store_dword v[23:24], v25, off
.LBB107_19:
	s_or_b64 exec, exec, s[6:7]
	ds_bpermute_b32 v23, v1, v7
	ds_bpermute_b32 v1, v1, v6
	s_waitcnt lgkmcnt(1)
	v_add_f32_e32 v7, v7, v23
	s_waitcnt lgkmcnt(0)
	v_add_f32_e32 v1, v6, v1
	ds_bpermute_b32 v6, v2, v7
	ds_bpermute_b32 v2, v2, v1
	s_waitcnt lgkmcnt(1)
	v_add_f32_e32 v6, v7, v6
	s_waitcnt lgkmcnt(0)
	v_add_f32_e32 v1, v1, v2
	;; [unrolled: 6-line block ×5, first 2 shown]
	ds_bpermute_b32 v3, v22, v1
	ds_bpermute_b32 v4, v22, v2
	s_and_b64 exec, exec, s[0:1]
	s_cbranch_execz .LBB107_21
; %bb.20:
	s_waitcnt lgkmcnt(1)
	v_add_f32_e32 v1, v1, v3
	v_add_u32_e32 v3, 14, v0
	v_cmp_eq_u32_e32 vcc, 1, v3
	s_waitcnt lgkmcnt(0)
	v_add_f32_e32 v2, v2, v4
	v_cndmask_b32_e32 v4, v20, v21, vcc
	v_cmp_eq_u32_e32 vcc, 2, v3
	v_cndmask_b32_e32 v4, v4, v19, vcc
	v_cmp_eq_u32_e32 vcc, 3, v3
	;; [unrolled: 2-line block ×13, first 2 shown]
	v_cndmask_b32_e32 v4, v4, v1, vcc
	v_mad_u64_u32 v[0:1], s[0:1], s2, 7, v[0:1]
	v_mov_b32_e32 v1, 0
	v_cmp_eq_u32_e32 vcc, 15, v3
	v_lshlrev_b64 v[0:1], 2, v[0:1]
	v_cndmask_b32_e32 v2, v4, v2, vcc
	v_mov_b32_e32 v3, s5
	v_add_co_u32_e32 v0, vcc, s4, v0
	v_addc_co_u32_e32 v1, vcc, v3, v1, vcc
	global_store_dword v[0:1], v2, off
.LBB107_21:
	s_endpgm
	.section	.rodata,"a",@progbits
	.p2align	6, 0x0
	.amdhsa_kernel _ZL13mul_mat_vec_qIL9ggml_type10ELi8ELb0ELb0EEvPKvS2_PKi31ggml_cuda_mm_fusion_args_devicePfj15HIP_vector_typeIjLj3EEjjjS8_jjjS8_jjjj
		.amdhsa_group_segment_fixed_size 0
		.amdhsa_private_segment_fixed_size 0
		.amdhsa_kernarg_size 144
		.amdhsa_user_sgpr_count 6
		.amdhsa_user_sgpr_private_segment_buffer 1
		.amdhsa_user_sgpr_dispatch_ptr 0
		.amdhsa_user_sgpr_queue_ptr 0
		.amdhsa_user_sgpr_kernarg_segment_ptr 1
		.amdhsa_user_sgpr_dispatch_id 0
		.amdhsa_user_sgpr_flat_scratch_init 0
		.amdhsa_user_sgpr_private_segment_size 0
		.amdhsa_uses_dynamic_stack 0
		.amdhsa_system_sgpr_private_segment_wavefront_offset 0
		.amdhsa_system_sgpr_workgroup_id_x 1
		.amdhsa_system_sgpr_workgroup_id_y 1
		.amdhsa_system_sgpr_workgroup_id_z 1
		.amdhsa_system_sgpr_workgroup_info 0
		.amdhsa_system_vgpr_workitem_id 1
		.amdhsa_next_free_vgpr 68
		.amdhsa_next_free_sgpr 28
		.amdhsa_reserve_vcc 1
		.amdhsa_reserve_flat_scratch 0
		.amdhsa_float_round_mode_32 0
		.amdhsa_float_round_mode_16_64 0
		.amdhsa_float_denorm_mode_32 3
		.amdhsa_float_denorm_mode_16_64 3
		.amdhsa_dx10_clamp 1
		.amdhsa_ieee_mode 1
		.amdhsa_fp16_overflow 0
		.amdhsa_exception_fp_ieee_invalid_op 0
		.amdhsa_exception_fp_denorm_src 0
		.amdhsa_exception_fp_ieee_div_zero 0
		.amdhsa_exception_fp_ieee_overflow 0
		.amdhsa_exception_fp_ieee_underflow 0
		.amdhsa_exception_fp_ieee_inexact 0
		.amdhsa_exception_int_div_zero 0
	.end_amdhsa_kernel
	.section	.text._ZL13mul_mat_vec_qIL9ggml_type10ELi8ELb0ELb0EEvPKvS2_PKi31ggml_cuda_mm_fusion_args_devicePfj15HIP_vector_typeIjLj3EEjjjS8_jjjS8_jjjj,"axG",@progbits,_ZL13mul_mat_vec_qIL9ggml_type10ELi8ELb0ELb0EEvPKvS2_PKi31ggml_cuda_mm_fusion_args_devicePfj15HIP_vector_typeIjLj3EEjjjS8_jjjS8_jjjj,comdat
.Lfunc_end107:
	.size	_ZL13mul_mat_vec_qIL9ggml_type10ELi8ELb0ELb0EEvPKvS2_PKi31ggml_cuda_mm_fusion_args_devicePfj15HIP_vector_typeIjLj3EEjjjS8_jjjS8_jjjj, .Lfunc_end107-_ZL13mul_mat_vec_qIL9ggml_type10ELi8ELb0ELb0EEvPKvS2_PKi31ggml_cuda_mm_fusion_args_devicePfj15HIP_vector_typeIjLj3EEjjjS8_jjjS8_jjjj
                                        ; -- End function
	.set _ZL13mul_mat_vec_qIL9ggml_type10ELi8ELb0ELb0EEvPKvS2_PKi31ggml_cuda_mm_fusion_args_devicePfj15HIP_vector_typeIjLj3EEjjjS8_jjjS8_jjjj.num_vgpr, 68
	.set _ZL13mul_mat_vec_qIL9ggml_type10ELi8ELb0ELb0EEvPKvS2_PKi31ggml_cuda_mm_fusion_args_devicePfj15HIP_vector_typeIjLj3EEjjjS8_jjjS8_jjjj.num_agpr, 0
	.set _ZL13mul_mat_vec_qIL9ggml_type10ELi8ELb0ELb0EEvPKvS2_PKi31ggml_cuda_mm_fusion_args_devicePfj15HIP_vector_typeIjLj3EEjjjS8_jjjS8_jjjj.numbered_sgpr, 28
	.set _ZL13mul_mat_vec_qIL9ggml_type10ELi8ELb0ELb0EEvPKvS2_PKi31ggml_cuda_mm_fusion_args_devicePfj15HIP_vector_typeIjLj3EEjjjS8_jjjS8_jjjj.num_named_barrier, 0
	.set _ZL13mul_mat_vec_qIL9ggml_type10ELi8ELb0ELb0EEvPKvS2_PKi31ggml_cuda_mm_fusion_args_devicePfj15HIP_vector_typeIjLj3EEjjjS8_jjjS8_jjjj.private_seg_size, 0
	.set _ZL13mul_mat_vec_qIL9ggml_type10ELi8ELb0ELb0EEvPKvS2_PKi31ggml_cuda_mm_fusion_args_devicePfj15HIP_vector_typeIjLj3EEjjjS8_jjjS8_jjjj.uses_vcc, 1
	.set _ZL13mul_mat_vec_qIL9ggml_type10ELi8ELb0ELb0EEvPKvS2_PKi31ggml_cuda_mm_fusion_args_devicePfj15HIP_vector_typeIjLj3EEjjjS8_jjjS8_jjjj.uses_flat_scratch, 0
	.set _ZL13mul_mat_vec_qIL9ggml_type10ELi8ELb0ELb0EEvPKvS2_PKi31ggml_cuda_mm_fusion_args_devicePfj15HIP_vector_typeIjLj3EEjjjS8_jjjS8_jjjj.has_dyn_sized_stack, 0
	.set _ZL13mul_mat_vec_qIL9ggml_type10ELi8ELb0ELb0EEvPKvS2_PKi31ggml_cuda_mm_fusion_args_devicePfj15HIP_vector_typeIjLj3EEjjjS8_jjjS8_jjjj.has_recursion, 0
	.set _ZL13mul_mat_vec_qIL9ggml_type10ELi8ELb0ELb0EEvPKvS2_PKi31ggml_cuda_mm_fusion_args_devicePfj15HIP_vector_typeIjLj3EEjjjS8_jjjS8_jjjj.has_indirect_call, 0
	.section	.AMDGPU.csdata,"",@progbits
; Kernel info:
; codeLenInByte = 8212
; TotalNumSgprs: 32
; NumVgprs: 68
; ScratchSize: 0
; MemoryBound: 0
; FloatMode: 240
; IeeeMode: 1
; LDSByteSize: 0 bytes/workgroup (compile time only)
; SGPRBlocks: 3
; VGPRBlocks: 16
; NumSGPRsForWavesPerEU: 32
; NumVGPRsForWavesPerEU: 68
; Occupancy: 3
; WaveLimiterHint : 0
; COMPUTE_PGM_RSRC2:SCRATCH_EN: 0
; COMPUTE_PGM_RSRC2:USER_SGPR: 6
; COMPUTE_PGM_RSRC2:TRAP_HANDLER: 0
; COMPUTE_PGM_RSRC2:TGID_X_EN: 1
; COMPUTE_PGM_RSRC2:TGID_Y_EN: 1
; COMPUTE_PGM_RSRC2:TGID_Z_EN: 1
; COMPUTE_PGM_RSRC2:TIDIG_COMP_CNT: 1
	.section	.text._ZL17mul_mat_vec_q_moeIL9ggml_type11ELi2EEvPKvS2_PKiPfj15HIP_vector_typeIjLj3EEjjjjjjjjj,"axG",@progbits,_ZL17mul_mat_vec_q_moeIL9ggml_type11ELi2EEvPKvS2_PKiPfj15HIP_vector_typeIjLj3EEjjjjjjjjj,comdat
	.globl	_ZL17mul_mat_vec_q_moeIL9ggml_type11ELi2EEvPKvS2_PKiPfj15HIP_vector_typeIjLj3EEjjjjjjjjj ; -- Begin function _ZL17mul_mat_vec_q_moeIL9ggml_type11ELi2EEvPKvS2_PKiPfj15HIP_vector_typeIjLj3EEjjjjjjjjj
	.p2align	8
	.type	_ZL17mul_mat_vec_q_moeIL9ggml_type11ELi2EEvPKvS2_PKiPfj15HIP_vector_typeIjLj3EEjjjjjjjjj,@function
_ZL17mul_mat_vec_q_moeIL9ggml_type11ELi2EEvPKvS2_PKiPfj15HIP_vector_typeIjLj3EEjjjjjjjjj: ; @_ZL17mul_mat_vec_q_moeIL9ggml_type11ELi2EEvPKvS2_PKiPfj15HIP_vector_typeIjLj3EEjjjjjjjjj
; %bb.0:
	s_load_dwordx8 s[8:15], s[4:5], 0x30
	s_waitcnt lgkmcnt(0)
	v_cmp_gt_u32_e32 vcc, s15, v1
	s_and_saveexec_b64 s[0:1], vcc
	s_cbranch_execz .LBB108_7
; %bb.1:
	s_load_dword s1, s[4:5], 0x20
	s_load_dword s0, s[4:5], 0x50
	s_load_dwordx8 s[16:23], s[4:5], 0x0
	v_lshrrev_b32_e32 v6, 4, v0
	s_lshl_b32 s6, s6, 1
	s_waitcnt lgkmcnt(0)
	s_lshr_b32 s15, s1, 8
	v_cmp_gt_u32_e32 vcc, s15, v6
	v_mov_b32_e32 v7, 0
	v_mov_b32_e32 v3, 0
	s_and_saveexec_b64 s[24:25], vcc
	s_cbranch_execz .LBB108_5
; %bb.2:
	v_mul_lo_u32 v2, s0, v1
	v_mov_b32_e32 v3, 0
	v_mov_b32_e32 v7, s21
	s_load_dwordx4 s[0:3], s[4:5], 0x24
	v_add_u32_e32 v2, s7, v2
	v_lshlrev_b64 v[4:5], 2, v[2:3]
	v_lshlrev_b32_e32 v9, 1, v0
	v_add_co_u32_e32 v4, vcc, s20, v4
	v_addc_co_u32_e32 v5, vcc, v7, v5, vcc
	global_load_dword v7, v[4:5], off
	v_lshrrev_b32_e32 v4, 1, v0
	v_and_b32_e32 v5, 7, v0
	v_and_b32_e32 v10, 8, v0
	v_bfe_u32 v2, v0, 2, 1
	v_bfe_u32 v12, v0, 3, 1
	s_add_i32 s20, s6, 1
	v_lshrrev_b32_e32 v11, 4, v0
	s_movk_i32 s21, 0x120
	v_and_b32_e32 v8, 4, v4
	v_and_b32_e32 v13, 30, v9
	v_lshlrev_b32_e32 v14, 1, v5
	v_or_b32_e32 v15, v2, v10
	v_lshrrev_b32_e32 v9, 1, v10
	v_lshlrev_b32_e32 v10, 2, v5
	v_mul_hi_u32_u24_e32 v5, 0x90, v12
	v_mul_u32_u24_e32 v4, 0x90, v12
	s_waitcnt lgkmcnt(0)
	s_mul_hi_u32 s0, s0, s7
	v_mul_lo_u32 v18, s10, v1
	s_mul_i32 s10, s6, s9
	s_mul_i32 s9, s9, s20
	v_mad_u64_u32 v[4:5], s[20:21], v11, s21, v[4:5]
	s_add_i32 s0, s7, s0
	s_lshr_b32 s0, s0, s1
	s_mul_i32 s0, s0, s2
	s_sub_i32 s0, s7, s0
	v_mad_u64_u32 v[4:5], s[20:21], v18, 36, v[4:5]
	s_mul_i32 s0, s0, s13
	s_mul_hi_u32 s1, s0, 36
	s_mul_i32 s0, s0, 36
	s_add_u32 s0, s18, s0
	v_or_b32_e32 v16, 4, v15
	v_or_b32_e32 v17, 6, v15
	s_addc_u32 s1, s19, s1
	v_lshlrev_b32_e32 v11, 1, v13
	v_lshlrev_b32_e32 v12, 1, v14
	v_and_b32_e32 v13, 5, v16
	v_lshrrev_b32_e32 v14, 1, v16
	v_and_b32_e32 v15, 7, v17
	v_and_b32_e32 v16, 3, v17
	v_lshrrev_b32_e32 v17, 1, v17
	v_mov_b32_e32 v18, s1
	v_add_co_u32_e32 v4, vcc, s0, v4
	s_mov_b64 s[4:5], 0
	s_movk_i32 s3, 0x6e
	v_and_b32_e32 v17, 6, v17
	v_addc_co_u32_e32 v5, vcc, v18, v5, vcc
	s_waitcnt vmcnt(0)
	v_mul_lo_u32 v7, v7, s12
	v_add_u32_e32 v18, s10, v7
	v_add_u32_e32 v19, s9, v7
	v_mov_b32_e32 v7, v3
.LBB108_3:                              ; =>This Inner Loop Header: Depth=1
	v_mov_b32_e32 v21, s17
	v_add_u32_e32 v23, v19, v6
	v_mov_b32_e32 v20, s16
	v_mad_i64_i32 v[28:29], s[0:1], v23, s3, v[20:21]
	v_add_co_u32_e32 v24, vcc, v4, v10
	v_add_u32_e32 v22, v18, v6
	v_addc_co_u32_e32 v25, vcc, 0, v5, vcc
	v_mad_i64_i32 v[26:27], s[0:1], v22, s3, v[20:21]
	global_load_dword v22, v[24:25], off offset:4
	global_load_dword v21, v[24:25], off offset:40
	;; [unrolled: 1-line block ×4, first 2 shown]
	v_add_co_u32_e32 v24, vcc, v28, v2
	v_addc_co_u32_e32 v25, vcc, 0, v29, vcc
	v_add_co_u32_e32 v30, vcc, v28, v12
	v_addc_co_u32_e32 v31, vcc, 0, v29, vcc
	v_add_co_u32_e32 v32, vcc, v28, v11
	v_addc_co_u32_e32 v33, vcc, 0, v29, vcc
	v_add_co_u32_e32 v34, vcc, v28, v13
	v_addc_co_u32_e32 v35, vcc, 0, v29, vcc
	v_add_co_u32_e32 v36, vcc, v28, v15
	v_addc_co_u32_e32 v37, vcc, 0, v29, vcc
	v_add_co_u32_e32 v38, vcc, v28, v16
	v_addc_co_u32_e32 v39, vcc, 0, v29, vcc
	global_load_ushort v50, v[28:29], off offset:108
	v_add_co_u32_e32 v28, vcc, v26, v13
	v_addc_co_u32_e32 v29, vcc, 0, v27, vcc
	v_add_co_u32_e32 v40, vcc, v26, v2
	v_addc_co_u32_e32 v41, vcc, 0, v27, vcc
	;; [unrolled: 2-line block ×6, first 2 shown]
	global_load_ushort v51, v[26:27], off offset:108
	global_load_ubyte v52, v[40:41], off offset:96
	global_load_ubyte v53, v[40:41], off offset:104
	;; [unrolled: 1-line block ×11, first 2 shown]
	global_load_dword v63, v[32:33], off offset:32
                                        ; kill: killed $vgpr34 killed $vgpr35
                                        ; kill: killed $vgpr46 killed $vgpr47
                                        ; kill: killed $vgpr26 killed $vgpr27
                                        ; kill: killed $vgpr24 killed $vgpr25
                                        ; kill: killed $vgpr28 killed $vgpr29
                                        ; kill: killed $vgpr32 killed $vgpr33
                                        ; kill: killed $vgpr40 killed $vgpr41
	s_nop 0
	global_load_ubyte v24, v[48:49], off offset:104
	global_load_ubyte v25, v[36:37], off offset:96
	;; [unrolled: 1-line block ×3, first 2 shown]
	global_load_dword v27, v[42:43], off
	global_load_dword v28, v[44:45], off offset:32
	global_load_dword v29, v[30:31], off
	v_add_u32_e32 v6, 4, v6
	v_cmp_le_u32_e64 s[0:1], s15, v6
	s_or_b64 s[4:5], s[0:1], s[4:5]
	s_waitcnt vmcnt(17)
	v_bfe_u32 v30, v52, v9, 4
	s_waitcnt vmcnt(16)
	v_lshrrev_b32_e32 v31, v9, v53
	s_waitcnt vmcnt(15)
	v_lshrrev_b32_e32 v33, v9, v54
	v_lshrrev_b32_e32 v39, v14, v53
	s_waitcnt vmcnt(13)
	v_bfe_u32 v32, v56, v9, 4
	s_waitcnt vmcnt(12)
	v_bfe_u32 v34, v57, v9, 4
	s_waitcnt vmcnt(11)
	v_lshrrev_b32_e32 v35, v9, v58
	v_lshrrev_b32_e32 v41, v14, v58
	s_waitcnt vmcnt(9)
	v_lshrrev_b32_e32 v37, v9, v60
	s_waitcnt vmcnt(8)
	v_bfe_u32 v40, v61, v9, 4
	s_waitcnt vmcnt(7)
	v_bfe_u32 v42, v62, v9, 4
	v_lshlrev_b32_e32 v31, 4, v31
	v_lshlrev_b32_e32 v33, 4, v33
	;; [unrolled: 1-line block ×4, first 2 shown]
	v_bfe_u32 v36, v59, v9, 4
	v_bfe_u32 v38, v55, v9, 4
	s_waitcnt vmcnt(6)
	v_lshrrev_b32_e32 v44, 4, v63
	v_lshlrev_b32_e32 v37, 4, v37
	s_waitcnt vmcnt(5)
	v_lshrrev_b32_e32 v24, v17, v24
	s_waitcnt vmcnt(4)
	v_bfe_u32 v25, v25, v9, 4
	s_waitcnt vmcnt(3)
	v_lshrrev_b32_e32 v26, v17, v26
	s_waitcnt vmcnt(2)
	v_ashrrev_i32_e32 v27, v8, v27
	s_waitcnt vmcnt(1)
	v_lshrrev_b32_e32 v43, 4, v28
	v_lshlrev_b32_e32 v26, 4, v26
	v_not_b32_e32 v27, v27
	s_waitcnt vmcnt(0)
	v_ashrrev_i32_e32 v29, v8, v29
	v_lshlrev_b32_e32 v24, 4, v24
	v_and_b32_e32 v53, 0x3030303, v43
	v_bfe_u32 v43, v43, 24, 2
	v_and_or_b32 v25, v26, 48, v25
	v_and_b32_e32 v26, 0x4040404, v27
	v_lshlrev_b32_e32 v39, 4, v39
	v_not_b32_e32 v29, v29
	v_and_or_b32 v30, v31, 48, v30
	v_and_or_b32 v31, v33, 48, v32
	v_and_or_b32 v32, v35, 48, v34
	v_and_or_b32 v35, v41, 48, v40
	v_and_or_b32 v24, v24, 48, v42
	v_sub_u16_sdwa v40, v43, v26 dst_sel:BYTE_1 dst_unused:UNUSED_PAD src0_sel:DWORD src1_sel:BYTE_3
	v_sub_u16_e32 v41, v53, v26
	v_sub_u16_sdwa v42, v53, v26 dst_sel:BYTE_1 dst_unused:UNUSED_PAD src0_sel:BYTE_1 src1_sel:BYTE_1
	v_sub_u16_sdwa v26, v53, v26 dst_sel:DWORD dst_unused:UNUSED_PAD src0_sel:WORD_1 src1_sel:WORD_1
	v_lshrrev_b32_e32 v47, 2, v28
	v_and_b32_e32 v54, 0x3030303, v44
	v_bfe_u32 v44, v44, 24, 2
	v_and_or_b32 v33, v37, 48, v36
	v_and_or_b32 v34, v39, 48, v38
	v_and_b32_e32 v36, 0x4040404, v29
	v_lshlrev_b32_e32 v37, 2, v27
	v_lshlrev_b32_e32 v38, 1, v27
	v_lshlrev_b32_e32 v39, 2, v29
	v_or_b32_sdwa v26, v26, v40 dst_sel:WORD_1 dst_unused:UNUSED_PAD src0_sel:BYTE_0 src1_sel:DWORD
	v_lshrrev_b32_e32 v40, 6, v28
	v_lshrrev_b32_e32 v27, 1, v27
	v_bfe_u32 v45, v28, 24, 2
	v_and_b32_e32 v46, 0x3030303, v28
	v_bfe_u32 v48, v63, 24, 2
	v_and_b32_e32 v49, 0x3030303, v63
	v_and_b32_e32 v55, 0x3030303, v47
	v_bfe_u32 v47, v47, 24, 2
	v_sub_u16_sdwa v43, v44, v36 dst_sel:BYTE_1 dst_unused:UNUSED_PAD src0_sel:DWORD src1_sel:BYTE_3
	v_sub_u16_e32 v44, v54, v36
	v_sub_u16_sdwa v53, v54, v36 dst_sel:BYTE_1 dst_unused:UNUSED_PAD src0_sel:BYTE_1 src1_sel:BYTE_1
	v_sub_u16_sdwa v36, v54, v36 dst_sel:DWORD dst_unused:UNUSED_PAD src0_sel:WORD_1 src1_sel:WORD_1
	v_and_b32_e32 v37, 0x4040404, v37
	v_and_b32_e32 v38, 0x4040404, v38
	;; [unrolled: 1-line block ×3, first 2 shown]
	v_lshrrev_b32_e32 v28, 30, v28
	v_and_b32_e32 v40, 0x3030303, v40
	v_and_b32_e32 v27, 0x4040404, v27
	v_lshrrev_b32_e32 v52, 2, v63
	v_sub_u16_sdwa v45, v45, v37 dst_sel:BYTE_1 dst_unused:UNUSED_PAD src0_sel:DWORD src1_sel:BYTE_3
	v_sub_u16_e32 v54, v46, v37
	v_sub_u16_sdwa v57, v46, v37 dst_sel:BYTE_1 dst_unused:UNUSED_PAD src0_sel:BYTE_1 src1_sel:BYTE_1
	v_sub_u16_sdwa v37, v46, v37 dst_sel:DWORD dst_unused:UNUSED_PAD src0_sel:WORD_1 src1_sel:WORD_1
	v_sub_u16_sdwa v46, v47, v38 dst_sel:BYTE_1 dst_unused:UNUSED_PAD src0_sel:DWORD src1_sel:BYTE_3
	v_sub_u16_e32 v47, v55, v38
	v_sub_u16_sdwa v58, v55, v38 dst_sel:BYTE_1 dst_unused:UNUSED_PAD src0_sel:BYTE_1 src1_sel:BYTE_1
	v_sub_u16_sdwa v38, v55, v38 dst_sel:DWORD dst_unused:UNUSED_PAD src0_sel:WORD_1 src1_sel:WORD_1
	;; [unrolled: 4-line block ×3, first 2 shown]
	v_lshlrev_b32_e32 v49, 1, v29
	v_or_b32_sdwa v41, v41, v42 dst_sel:DWORD dst_unused:UNUSED_PAD src0_sel:BYTE_0 src1_sel:DWORD
	v_or_b32_sdwa v42, v44, v53 dst_sel:DWORD dst_unused:UNUSED_PAD src0_sel:BYTE_0 src1_sel:DWORD
	v_or_b32_sdwa v36, v36, v43 dst_sel:WORD_1 dst_unused:UNUSED_PAD src0_sel:BYTE_0 src1_sel:DWORD
	v_sub_u16_sdwa v28, v28, v27 dst_sel:BYTE_1 dst_unused:UNUSED_PAD src0_sel:DWORD src1_sel:BYTE_3
	v_sub_u16_e32 v43, v40, v27
	v_sub_u16_sdwa v44, v40, v27 dst_sel:BYTE_1 dst_unused:UNUSED_PAD src0_sel:BYTE_1 src1_sel:BYTE_1
	v_sub_u16_sdwa v27, v40, v27 dst_sel:DWORD dst_unused:UNUSED_PAD src0_sel:WORD_1 src1_sel:WORD_1
	v_lshrrev_b32_e32 v40, 6, v63
	v_lshrrev_b32_e32 v29, 1, v29
	v_and_b32_e32 v56, 0x3030303, v52
	v_bfe_u32 v52, v52, 24, 2
	v_and_b32_e32 v49, 0x4040404, v49
	v_lshrrev_b32_e32 v53, 30, v63
	v_and_b32_e32 v40, 0x3030303, v40
	v_and_b32_e32 v29, 0x4040404, v29
	v_or_b32_sdwa v37, v37, v45 dst_sel:WORD_1 dst_unused:UNUSED_PAD src0_sel:BYTE_0 src1_sel:DWORD
	global_load_dword v45, v[4:5], off
	v_sub_u16_sdwa v52, v52, v49 dst_sel:BYTE_1 dst_unused:UNUSED_PAD src0_sel:DWORD src1_sel:BYTE_3
	v_sub_u16_e32 v60, v56, v49
	v_sub_u16_sdwa v61, v56, v49 dst_sel:BYTE_1 dst_unused:UNUSED_PAD src0_sel:BYTE_1 src1_sel:BYTE_1
	v_sub_u16_sdwa v49, v56, v49 dst_sel:DWORD dst_unused:UNUSED_PAD src0_sel:WORD_1 src1_sel:WORD_1
	v_sub_u16_sdwa v53, v53, v29 dst_sel:BYTE_1 dst_unused:UNUSED_PAD src0_sel:DWORD src1_sel:BYTE_3
	v_sub_u16_e32 v56, v40, v29
	v_sub_u16_sdwa v62, v40, v29 dst_sel:BYTE_1 dst_unused:UNUSED_PAD src0_sel:BYTE_1 src1_sel:BYTE_1
	v_sub_u16_sdwa v29, v40, v29 dst_sel:DWORD dst_unused:UNUSED_PAD src0_sel:WORD_1 src1_sel:WORD_1
	v_or_b32_sdwa v40, v54, v57 dst_sel:DWORD dst_unused:UNUSED_PAD src0_sel:BYTE_0 src1_sel:DWORD
	global_load_dword v54, v[4:5], off offset:36
	global_load_dword v57, v[4:5], off offset:108
	v_or_b32_sdwa v38, v38, v46 dst_sel:WORD_1 dst_unused:UNUSED_PAD src0_sel:BYTE_0 src1_sel:DWORD
	global_load_dword v46, v[4:5], off offset:72
	v_or_b32_sdwa v55, v55, v59 dst_sel:DWORD dst_unused:UNUSED_PAD src0_sel:BYTE_0 src1_sel:DWORD
	v_or_b32_sdwa v39, v39, v48 dst_sel:WORD_1 dst_unused:UNUSED_PAD src0_sel:BYTE_0 src1_sel:DWORD
	v_or_b32_sdwa v47, v47, v58 dst_sel:DWORD dst_unused:UNUSED_PAD src0_sel:BYTE_0 src1_sel:DWORD
	v_or_b32_sdwa v48, v60, v61 dst_sel:DWORD dst_unused:UNUSED_PAD src0_sel:BYTE_0 src1_sel:DWORD
	v_or_b32_sdwa v49, v49, v52 dst_sel:WORD_1 dst_unused:UNUSED_PAD src0_sel:BYTE_0 src1_sel:DWORD
	v_or_b32_sdwa v26, v41, v26 dst_sel:DWORD dst_unused:UNUSED_PAD src0_sel:WORD_0 src1_sel:DWORD
	v_or_b32_sdwa v41, v43, v44 dst_sel:DWORD dst_unused:UNUSED_PAD src0_sel:BYTE_0 src1_sel:DWORD
	v_or_b32_sdwa v27, v27, v28 dst_sel:WORD_1 dst_unused:UNUSED_PAD src0_sel:BYTE_0 src1_sel:DWORD
	v_or_b32_sdwa v28, v56, v62 dst_sel:DWORD dst_unused:UNUSED_PAD src0_sel:BYTE_0 src1_sel:DWORD
	v_or_b32_sdwa v29, v29, v53 dst_sel:WORD_1 dst_unused:UNUSED_PAD src0_sel:BYTE_0 src1_sel:DWORD
	v_or_b32_sdwa v37, v40, v37 dst_sel:DWORD dst_unused:UNUSED_PAD src0_sel:WORD_0 src1_sel:DWORD
	v_or_b32_sdwa v39, v55, v39 dst_sel:DWORD dst_unused:UNUSED_PAD src0_sel:WORD_0 src1_sel:DWORD
	v_subrev_u32_e32 v34, 32, v34
	v_subrev_u32_e32 v30, 32, v30
	;; [unrolled: 1-line block ×3, first 2 shown]
	v_or_b32_sdwa v36, v42, v36 dst_sel:DWORD dst_unused:UNUSED_PAD src0_sel:WORD_0 src1_sel:DWORD
	v_or_b32_sdwa v38, v47, v38 dst_sel:DWORD dst_unused:UNUSED_PAD src0_sel:WORD_0 src1_sel:DWORD
	v_or_b32_sdwa v40, v48, v49 dst_sel:DWORD dst_unused:UNUSED_PAD src0_sel:WORD_0 src1_sel:DWORD
	v_dot4_i32_i8 v26, v26, v23, 0
	v_or_b32_sdwa v27, v41, v27 dst_sel:DWORD dst_unused:UNUSED_PAD src0_sel:WORD_0 src1_sel:DWORD
	v_or_b32_sdwa v28, v28, v29 dst_sel:DWORD dst_unused:UNUSED_PAD src0_sel:WORD_0 src1_sel:DWORD
	v_dot4_i32_i8 v29, v37, v22, 0
	v_dot4_i32_i8 v22, v39, v22, 0
	v_subrev_u32_e32 v31, 32, v31
	v_subrev_u32_e32 v33, 32, v33
	v_dot4_i32_i8 v23, v36, v23, 0
	v_dot4_i32_i8 v36, v38, v21, 0
	;; [unrolled: 1-line block ×3, first 2 shown]
	v_mul_lo_u32 v26, v34, v26
	v_dot4_i32_i8 v27, v27, v20, 0
	v_dot4_i32_i8 v20, v28, v20, 0
	v_mul_lo_u32 v28, v30, v29
	v_mul_lo_u32 v22, v32, v22
	v_subrev_u32_e32 v35, 32, v35
	v_mul_lo_u32 v29, v31, v36
	v_mul_lo_u32 v21, v33, v21
	v_subrev_u32_e32 v24, 32, v24
	v_subrev_u32_e32 v25, 32, v25
	v_mul_lo_u32 v23, v35, v23
	v_mul_lo_u32 v24, v24, v27
	;; [unrolled: 1-line block ×3, first 2 shown]
	v_cvt_f32_i32_e32 v25, v26
	v_cvt_f32_i32_e32 v26, v28
	;; [unrolled: 1-line block ×8, first 2 shown]
	v_add_co_u32_e32 v4, vcc, 0x480, v4
	v_addc_co_u32_e32 v5, vcc, 0, v5, vcc
	s_waitcnt vmcnt(3)
	v_fma_mix_f32 v26, v45, v26, 0 op_sel_hi:[1,0,0]
	v_fma_mix_f32 v22, v45, v22, 0 op_sel_hi:[1,0,0]
	s_waitcnt vmcnt(2)
	v_fma_mix_f32 v26, v54, v27, v26 op_sel_hi:[1,0,0]
	v_fma_mix_f32 v21, v54, v21, v22 op_sel_hi:[1,0,0]
	;; [unrolled: 3-line block ×3, first 2 shown]
	v_fma_mix_f32 v22, v57, v24, v22 op_sel_hi:[1,0,0]
	v_fma_mix_f32 v20, v57, v20, v21 op_sel_hi:[1,0,0]
	;; [unrolled: 1-line block ×4, first 2 shown]
	s_andn2_b64 exec, exec, s[4:5]
	s_cbranch_execnz .LBB108_3
; %bb.4:
	s_or_b64 exec, exec, s[4:5]
.LBB108_5:
	s_or_b64 exec, exec, s[24:25]
	v_mbcnt_lo_u32_b32 v2, -1, 0
	v_mbcnt_hi_u32_b32 v2, -1, v2
	v_and_b32_e32 v4, 64, v2
	v_add_u32_e32 v4, 64, v4
	v_xor_b32_e32 v5, 32, v2
	v_cmp_lt_i32_e32 vcc, v5, v4
	v_cndmask_b32_e32 v5, v2, v5, vcc
	v_lshlrev_b32_e32 v5, 2, v5
	ds_bpermute_b32 v9, v5, v3
	ds_bpermute_b32 v5, v5, v7
	v_xor_b32_e32 v6, 16, v2
	v_cmp_lt_i32_e32 vcc, v6, v4
	v_cndmask_b32_e32 v6, v2, v6, vcc
	v_lshlrev_b32_e32 v6, 2, v6
	s_waitcnt lgkmcnt(1)
	v_add_f32_e32 v3, v3, v9
	s_waitcnt lgkmcnt(0)
	v_add_f32_e32 v5, v7, v5
	ds_bpermute_b32 v9, v6, v3
	ds_bpermute_b32 v6, v6, v5
	v_xor_b32_e32 v8, 8, v2
	v_cmp_lt_i32_e32 vcc, v8, v4
	v_cndmask_b32_e32 v8, v2, v8, vcc
	v_lshlrev_b32_e32 v8, 2, v8
	s_waitcnt lgkmcnt(1)
	v_add_f32_e32 v3, v3, v9
	s_waitcnt lgkmcnt(0)
	v_add_f32_e32 v5, v5, v6
	ds_bpermute_b32 v9, v8, v3
	ds_bpermute_b32 v6, v8, v5
	v_xor_b32_e32 v10, 4, v2
	v_cmp_lt_i32_e32 vcc, v10, v4
	v_cndmask_b32_e32 v10, v2, v10, vcc
	v_lshlrev_b32_e32 v7, 2, v10
	s_waitcnt lgkmcnt(1)
	v_add_f32_e32 v3, v3, v9
	s_waitcnt lgkmcnt(0)
	v_add_f32_e32 v5, v5, v6
	ds_bpermute_b32 v9, v7, v3
	ds_bpermute_b32 v6, v7, v5
	v_xor_b32_e32 v10, 2, v2
	v_cmp_lt_i32_e32 vcc, v10, v4
	v_cndmask_b32_e32 v8, v2, v10, vcc
	v_lshlrev_b32_e32 v7, 2, v8
	s_waitcnt lgkmcnt(1)
	v_add_f32_e32 v3, v3, v9
	s_waitcnt lgkmcnt(0)
	v_add_f32_e32 v5, v5, v6
	ds_bpermute_b32 v9, v7, v3
	ds_bpermute_b32 v6, v7, v5
	v_xor_b32_e32 v8, 1, v2
	v_cmp_lt_i32_e32 vcc, v8, v4
	v_cndmask_b32_e32 v2, v2, v8, vcc
	v_lshlrev_b32_e32 v7, 2, v2
	s_waitcnt lgkmcnt(1)
	v_add_f32_e32 v2, v3, v9
	s_waitcnt lgkmcnt(0)
	v_add_f32_e32 v4, v5, v6
	ds_bpermute_b32 v3, v7, v2
	ds_bpermute_b32 v5, v7, v4
	v_add_u32_e32 v6, s6, v0
	v_cmp_gt_u32_e32 vcc, 2, v0
	v_cmp_gt_u32_e64 s[0:1], s8, v6
	s_and_b64 s[0:1], vcc, s[0:1]
	s_and_b64 exec, exec, s[0:1]
	s_cbranch_execz .LBB108_7
; %bb.6:
	v_mul_lo_u32 v1, s11, v1
	v_cmp_eq_u32_e32 vcc, 1, v0
	s_mul_i32 s0, s14, s7
	v_or_b32_e32 v0, s6, v0
	v_add3_u32 v0, v0, v1, s0
	v_mov_b32_e32 v1, 0
	v_lshlrev_b64 v[0:1], 2, v[0:1]
	s_waitcnt lgkmcnt(1)
	v_add_f32_e32 v2, v2, v3
	s_waitcnt lgkmcnt(0)
	v_add_f32_e32 v3, v4, v5
	v_cndmask_b32_e32 v2, v2, v3, vcc
	v_mov_b32_e32 v3, s23
	v_add_co_u32_e32 v0, vcc, s22, v0
	v_addc_co_u32_e32 v1, vcc, v3, v1, vcc
	global_store_dword v[0:1], v2, off
.LBB108_7:
	s_endpgm
	.section	.rodata,"a",@progbits
	.p2align	6, 0x0
	.amdhsa_kernel _ZL17mul_mat_vec_q_moeIL9ggml_type11ELi2EEvPKvS2_PKiPfj15HIP_vector_typeIjLj3EEjjjjjjjjj
		.amdhsa_group_segment_fixed_size 0
		.amdhsa_private_segment_fixed_size 0
		.amdhsa_kernarg_size 84
		.amdhsa_user_sgpr_count 6
		.amdhsa_user_sgpr_private_segment_buffer 1
		.amdhsa_user_sgpr_dispatch_ptr 0
		.amdhsa_user_sgpr_queue_ptr 0
		.amdhsa_user_sgpr_kernarg_segment_ptr 1
		.amdhsa_user_sgpr_dispatch_id 0
		.amdhsa_user_sgpr_flat_scratch_init 0
		.amdhsa_user_sgpr_private_segment_size 0
		.amdhsa_uses_dynamic_stack 0
		.amdhsa_system_sgpr_private_segment_wavefront_offset 0
		.amdhsa_system_sgpr_workgroup_id_x 1
		.amdhsa_system_sgpr_workgroup_id_y 1
		.amdhsa_system_sgpr_workgroup_id_z 0
		.amdhsa_system_sgpr_workgroup_info 0
		.amdhsa_system_vgpr_workitem_id 1
		.amdhsa_next_free_vgpr 64
		.amdhsa_next_free_sgpr 26
		.amdhsa_reserve_vcc 1
		.amdhsa_reserve_flat_scratch 0
		.amdhsa_float_round_mode_32 0
		.amdhsa_float_round_mode_16_64 0
		.amdhsa_float_denorm_mode_32 3
		.amdhsa_float_denorm_mode_16_64 3
		.amdhsa_dx10_clamp 1
		.amdhsa_ieee_mode 1
		.amdhsa_fp16_overflow 0
		.amdhsa_exception_fp_ieee_invalid_op 0
		.amdhsa_exception_fp_denorm_src 0
		.amdhsa_exception_fp_ieee_div_zero 0
		.amdhsa_exception_fp_ieee_overflow 0
		.amdhsa_exception_fp_ieee_underflow 0
		.amdhsa_exception_fp_ieee_inexact 0
		.amdhsa_exception_int_div_zero 0
	.end_amdhsa_kernel
	.section	.text._ZL17mul_mat_vec_q_moeIL9ggml_type11ELi2EEvPKvS2_PKiPfj15HIP_vector_typeIjLj3EEjjjjjjjjj,"axG",@progbits,_ZL17mul_mat_vec_q_moeIL9ggml_type11ELi2EEvPKvS2_PKiPfj15HIP_vector_typeIjLj3EEjjjjjjjjj,comdat
.Lfunc_end108:
	.size	_ZL17mul_mat_vec_q_moeIL9ggml_type11ELi2EEvPKvS2_PKiPfj15HIP_vector_typeIjLj3EEjjjjjjjjj, .Lfunc_end108-_ZL17mul_mat_vec_q_moeIL9ggml_type11ELi2EEvPKvS2_PKiPfj15HIP_vector_typeIjLj3EEjjjjjjjjj
                                        ; -- End function
	.set _ZL17mul_mat_vec_q_moeIL9ggml_type11ELi2EEvPKvS2_PKiPfj15HIP_vector_typeIjLj3EEjjjjjjjjj.num_vgpr, 64
	.set _ZL17mul_mat_vec_q_moeIL9ggml_type11ELi2EEvPKvS2_PKiPfj15HIP_vector_typeIjLj3EEjjjjjjjjj.num_agpr, 0
	.set _ZL17mul_mat_vec_q_moeIL9ggml_type11ELi2EEvPKvS2_PKiPfj15HIP_vector_typeIjLj3EEjjjjjjjjj.numbered_sgpr, 26
	.set _ZL17mul_mat_vec_q_moeIL9ggml_type11ELi2EEvPKvS2_PKiPfj15HIP_vector_typeIjLj3EEjjjjjjjjj.num_named_barrier, 0
	.set _ZL17mul_mat_vec_q_moeIL9ggml_type11ELi2EEvPKvS2_PKiPfj15HIP_vector_typeIjLj3EEjjjjjjjjj.private_seg_size, 0
	.set _ZL17mul_mat_vec_q_moeIL9ggml_type11ELi2EEvPKvS2_PKiPfj15HIP_vector_typeIjLj3EEjjjjjjjjj.uses_vcc, 1
	.set _ZL17mul_mat_vec_q_moeIL9ggml_type11ELi2EEvPKvS2_PKiPfj15HIP_vector_typeIjLj3EEjjjjjjjjj.uses_flat_scratch, 0
	.set _ZL17mul_mat_vec_q_moeIL9ggml_type11ELi2EEvPKvS2_PKiPfj15HIP_vector_typeIjLj3EEjjjjjjjjj.has_dyn_sized_stack, 0
	.set _ZL17mul_mat_vec_q_moeIL9ggml_type11ELi2EEvPKvS2_PKiPfj15HIP_vector_typeIjLj3EEjjjjjjjjj.has_recursion, 0
	.set _ZL17mul_mat_vec_q_moeIL9ggml_type11ELi2EEvPKvS2_PKiPfj15HIP_vector_typeIjLj3EEjjjjjjjjj.has_indirect_call, 0
	.section	.AMDGPU.csdata,"",@progbits
; Kernel info:
; codeLenInByte = 2400
; TotalNumSgprs: 30
; NumVgprs: 64
; ScratchSize: 0
; MemoryBound: 0
; FloatMode: 240
; IeeeMode: 1
; LDSByteSize: 0 bytes/workgroup (compile time only)
; SGPRBlocks: 3
; VGPRBlocks: 15
; NumSGPRsForWavesPerEU: 30
; NumVGPRsForWavesPerEU: 64
; Occupancy: 4
; WaveLimiterHint : 1
; COMPUTE_PGM_RSRC2:SCRATCH_EN: 0
; COMPUTE_PGM_RSRC2:USER_SGPR: 6
; COMPUTE_PGM_RSRC2:TRAP_HANDLER: 0
; COMPUTE_PGM_RSRC2:TGID_X_EN: 1
; COMPUTE_PGM_RSRC2:TGID_Y_EN: 1
; COMPUTE_PGM_RSRC2:TGID_Z_EN: 0
; COMPUTE_PGM_RSRC2:TIDIG_COMP_CNT: 1
	.section	.text._ZL13mul_mat_vec_qIL9ggml_type11ELi1ELb1ELb1EEvPKvS2_PKi31ggml_cuda_mm_fusion_args_devicePfj15HIP_vector_typeIjLj3EEjjjS8_jjjS8_jjjj,"axG",@progbits,_ZL13mul_mat_vec_qIL9ggml_type11ELi1ELb1ELb1EEvPKvS2_PKi31ggml_cuda_mm_fusion_args_devicePfj15HIP_vector_typeIjLj3EEjjjS8_jjjS8_jjjj,comdat
	.globl	_ZL13mul_mat_vec_qIL9ggml_type11ELi1ELb1ELb1EEvPKvS2_PKi31ggml_cuda_mm_fusion_args_devicePfj15HIP_vector_typeIjLj3EEjjjS8_jjjS8_jjjj ; -- Begin function _ZL13mul_mat_vec_qIL9ggml_type11ELi1ELb1ELb1EEvPKvS2_PKi31ggml_cuda_mm_fusion_args_devicePfj15HIP_vector_typeIjLj3EEjjjS8_jjjS8_jjjj
	.p2align	8
	.type	_ZL13mul_mat_vec_qIL9ggml_type11ELi1ELb1ELb1EEvPKvS2_PKi31ggml_cuda_mm_fusion_args_devicePfj15HIP_vector_typeIjLj3EEjjjS8_jjjS8_jjjj,@function
_ZL13mul_mat_vec_qIL9ggml_type11ELi1ELb1ELb1EEvPKvS2_PKi31ggml_cuda_mm_fusion_args_devicePfj15HIP_vector_typeIjLj3EEjjjS8_jjjS8_jjjj: ; @_ZL13mul_mat_vec_qIL9ggml_type11ELi1ELb1ELb1EEvPKvS2_PKi31ggml_cuda_mm_fusion_args_devicePfj15HIP_vector_typeIjLj3EEjjjS8_jjjS8_jjjj
; %bb.0:
	s_load_dwordx8 s[12:19], s[4:5], 0x0
	s_load_dwordx4 s[28:31], s[4:5], 0x20
	s_load_dwordx4 s[36:39], s[4:5], 0x40
	;; [unrolled: 1-line block ×3, first 2 shown]
	s_mov_b32 s34, s7
	s_waitcnt lgkmcnt(0)
	s_cmp_lg_u64 s[16:17], 0
	s_cselect_b64 s[0:1], -1, 0
	s_cmp_eq_u64 s[16:17], 0
	s_mov_b64 s[2:3], 0
	s_cbranch_scc1 .LBB109_5
; %bb.1:
	s_mov_b32 s35, 0
	s_lshl_b64 s[10:11], s[34:35], 2
	s_add_u32 s10, s16, s10
	s_addc_u32 s11, s17, s11
	s_load_dword s35, s[10:11], 0x0
	s_load_dword s33, s[4:5], 0x50
	;; [unrolled: 1-line block ×3, first 2 shown]
	s_andn2_b64 vcc, exec, s[2:3]
	s_cbranch_vccnz .LBB109_3
.LBB109_2:
	s_load_dwordx2 s[2:3], s[4:5], 0x5c
	s_waitcnt lgkmcnt(0)
	s_mul_hi_u32 s2, s2, s34
	s_add_i32 s2, s34, s2
	s_lshr_b32 s35, s2, s3
.LBB109_3:
	s_andn2_b64 vcc, exec, s[0:1]
	s_cbranch_vccnz .LBB109_6
; %bb.4:
	s_mul_hi_u32 s0, s37, s34
	s_add_i32 s0, s34, s0
	s_lshr_b32 s0, s0, s38
	s_mul_i32 s0, s0, s39
	s_sub_i32 s37, s34, s0
	s_waitcnt lgkmcnt(0)
	s_mov_b32 s43, s35
	s_branch .LBB109_7
.LBB109_5:
                                        ; implicit-def: $sgpr35
	s_load_dword s33, s[4:5], 0x50
	s_load_dword s42, s[4:5], 0x78
	s_branch .LBB109_2
.LBB109_6:
	s_mov_b32 s43, s34
	s_mov_b32 s37, s34
.LBB109_7:
	s_load_dword s9, s[4:5], 0x58
	s_load_dwordx4 s[24:27], s[4:5], 0x80
	s_lshl_b32 s16, s6, 1
	s_cmp_eq_u64 s[18:19], 0
	s_cselect_b64 s[0:1], -1, 0
	v_mov_b32_e32 v8, 0
	s_and_b64 vcc, exec, s[0:1]
	v_cmp_gt_u32_e64 s[2:3], 2, v0
	v_cmp_eq_u32_e64 s[6:7], 0, v1
	v_add_u32_e32 v7, s16, v0
	v_mov_b32_e32 v9, 0
	s_cbranch_vccnz .LBB109_11
; %bb.8:
	s_waitcnt lgkmcnt(0)
	v_cmp_gt_u32_e32 vcc, s9, v7
	s_and_b64 s[2:3], s[2:3], vcc
	s_mov_b32 s11, 0
	s_and_b64 s[6:7], s[2:3], s[6:7]
	v_mov_b32_e32 v9, 0
	s_and_saveexec_b64 s[2:3], s[6:7]
	s_cbranch_execz .LBB109_10
; %bb.9:
	s_mul_i32 s10, s26, s8
	s_lshl_b64 s[6:7], s[10:11], 2
	s_add_u32 s17, s18, s6
	s_mul_i32 s10, s43, s22
	s_addc_u32 s18, s19, s7
	s_lshl_b64 s[6:7], s[10:11], 2
	s_add_u32 s10, s17, s6
	s_addc_u32 s11, s18, s7
	s_ashr_i32 s17, s16, 31
	s_lshl_b64 s[6:7], s[16:17], 2
	s_add_u32 s6, s10, s6
	s_addc_u32 s7, s11, s7
	v_lshlrev_b32_e32 v2, 2, v0
	global_load_dword v9, v2, s[6:7]
.LBB109_10:
	s_or_b64 exec, exec, s[2:3]
.LBB109_11:
	s_cmp_lg_u64 s[28:29], 0
	s_cselect_b64 s[18:19], -1, 0
	s_cmp_eq_u64 s[28:29], 0
	s_cselect_b64 s[38:39], -1, 0
	s_cmp_lg_u64 s[30:31], 0
	s_cselect_b64 s[2:3], -1, 0
	s_and_b64 s[6:7], s[2:3], s[18:19]
	s_andn2_b64 vcc, exec, s[6:7]
	s_waitcnt lgkmcnt(0)
	v_cmp_gt_u32_e64 s[6:7], s9, v7
	s_cbranch_vccnz .LBB109_15
; %bb.12:
	v_cmp_gt_u32_e32 vcc, 2, v0
	v_cmp_eq_u32_e64 s[10:11], 0, v1
	s_and_b64 s[6:7], vcc, s[6:7]
	s_mov_b32 s41, 0
	s_and_b64 s[10:11], s[6:7], s[10:11]
	v_mov_b32_e32 v8, 0
	s_and_saveexec_b64 s[6:7], s[10:11]
	s_cbranch_execz .LBB109_14
; %bb.13:
	s_mul_i32 s40, s26, s8
	s_lshl_b64 s[10:11], s[40:41], 2
	s_add_u32 s17, s30, s10
	s_mul_i32 s40, s43, s22
	s_addc_u32 s27, s31, s11
	s_lshl_b64 s[10:11], s[40:41], 2
	s_add_u32 s30, s17, s10
	s_addc_u32 s27, s27, s11
	s_ashr_i32 s17, s16, 31
	s_lshl_b64 s[10:11], s[16:17], 2
	s_add_u32 s10, s30, s10
	s_addc_u32 s11, s27, s11
	v_lshlrev_b32_e32 v2, 2, v0
	global_load_dword v8, v2, s[10:11]
.LBB109_14:
	s_or_b64 exec, exec, s[6:7]
.LBB109_15:
	v_lshl_add_u32 v6, v1, 6, v0
	v_mov_b32_e32 v4, 0
	s_lshr_b32 s17, s36, 8
	v_lshrrev_b32_e32 v11, 4, v6
	v_mov_b32_e32 v5, v4
	v_mov_b32_e32 v2, v4
	v_cmp_gt_u32_e32 vcc, s17, v11
	v_mov_b32_e32 v10, v4
	v_mov_b32_e32 v3, v5
	s_and_saveexec_b64 s[10:11], vcc
	s_cbranch_execz .LBB109_23
; %bb.16:
	s_mul_hi_u32 s6, s23, s8
	s_add_i32 s6, s8, s6
	v_and_b32_e32 v4, 8, v0
	v_bfe_u32 v13, v0, 2, 1
	s_lshr_b32 s6, s6, s42
	v_or_b32_e32 v5, v13, v4
	s_mul_i32 s7, s35, s20
	s_mul_i32 s6, s6, s24
	v_lshrrev_b32_e32 v14, 1, v4
	v_or_b32_e32 v4, 4, v5
	s_mul_i32 s24, s37, s21
	s_add_i32 s21, s7, s6
	v_and_b32_e32 v3, 7, v0
	v_and_b32_e32 v15, 5, v4
	v_lshrrev_b32_e32 v16, 1, v4
	v_or_b32_e32 v4, 6, v5
	s_mul_i32 s6, s16, s33
	v_lshlrev_b32_e32 v21, 1, v3
	v_and_b32_e32 v17, 7, v4
	v_and_b32_e32 v18, 3, v4
	v_lshrrev_b32_e32 v4, 1, v4
	s_add_i32 s20, s21, s6
	s_add_i32 s6, s16, 1
	v_lshlrev_b32_e32 v20, 2, v3
	v_bfe_u32 v3, v0, 3, 1
	v_and_b32_e32 v19, 6, v4
	s_mul_i32 s33, s33, s6
	v_lshrrev_b32_e32 v5, 4, v6
	v_mul_hi_u32_u24_e32 v4, 0x90, v3
	v_mul_u32_u24_e32 v3, 0x90, v3
	s_movk_i32 s6, 0x120
	s_mul_i32 s23, s25, s8
	v_mad_u64_u32 v[3:4], s[6:7], v5, s6, v[3:4]
	s_add_i32 s21, s21, s33
	s_mul_hi_u32 s7, s23, 36
	s_mul_i32 s23, s23, 36
	s_add_u32 s14, s14, s23
	s_mul_hi_u32 s6, s24, 36
	s_mul_i32 s24, s24, 36
	s_addc_u32 s7, s15, s7
	v_lshrrev_b32_e32 v2, 1, v0
	s_add_u32 s14, s14, s24
	v_and_b32_e32 v12, 4, v2
	v_lshlrev_b32_e32 v2, 1, v0
	s_addc_u32 s6, s7, s6
	v_and_b32_e32 v10, 30, v2
	v_mov_b32_e32 v2, 0
	v_mov_b32_e32 v6, s6
	v_add_co_u32_e32 v5, vcc, s14, v3
	v_addc_co_u32_e32 v6, vcc, v6, v4, vcc
	v_mov_b32_e32 v3, v2
	s_mov_b64 s[14:15], 0
	s_movk_i32 s23, 0x6e
	v_lshlrev_b32_e32 v21, 1, v21
	v_lshlrev_b32_e32 v22, 1, v10
	v_mov_b32_e32 v10, v2
	v_mov_b32_e32 v4, v2
	s_branch .LBB109_18
.LBB109_17:                             ;   in Loop: Header=BB109_18 Depth=1
	s_waitcnt vmcnt(17)
	v_ashrrev_i32_e32 v39, v12, v39
	v_not_b32_e32 v39, v39
	s_waitcnt vmcnt(13)
	v_and_b32_e32 v40, 0xff, v40
	v_lshrrev_b32_sdwa v51, v14, v35 dst_sel:DWORD dst_unused:UNUSED_PAD src0_sel:DWORD src1_sel:BYTE_0
	v_bfe_u32 v40, v40, v14, 4
	v_lshlrev_b32_e32 v51, 4, v51
	v_lshlrev_b32_e32 v53, 2, v39
	v_and_or_b32 v40, v51, 48, v40
	v_and_b32_e32 v51, 0x3030303, v32
	v_bfe_u32 v52, v32, 24, 2
	v_and_b32_e32 v53, 0x4040404, v53
	v_sub_u16_e32 v54, v51, v53
	v_sub_u16_sdwa v55, v51, v53 dst_sel:BYTE_1 dst_unused:UNUSED_PAD src0_sel:BYTE_1 src1_sel:BYTE_1
	v_sub_u16_sdwa v51, v51, v53 dst_sel:DWORD dst_unused:UNUSED_PAD src0_sel:WORD_1 src1_sel:WORD_1
	v_sub_u16_sdwa v52, v52, v53 dst_sel:BYTE_1 dst_unused:UNUSED_PAD src0_sel:DWORD src1_sel:BYTE_3
	v_or_b32_sdwa v54, v54, v55 dst_sel:DWORD dst_unused:UNUSED_PAD src0_sel:BYTE_0 src1_sel:DWORD
	v_or_b32_sdwa v51, v51, v52 dst_sel:WORD_1 dst_unused:UNUSED_PAD src0_sel:BYTE_0 src1_sel:DWORD
	s_waitcnt vmcnt(12)
	v_and_b32_e32 v38, 0xff, v38
	v_lshrrev_b32_sdwa v37, v14, v37 dst_sel:DWORD dst_unused:UNUSED_PAD src0_sel:DWORD src1_sel:BYTE_0
	v_or_b32_sdwa v51, v54, v51 dst_sel:DWORD dst_unused:UNUSED_PAD src0_sel:WORD_0 src1_sel:DWORD
	v_bfe_u32 v38, v38, v14, 4
	v_lshlrev_b32_e32 v37, 4, v37
	v_subrev_u32_e32 v40, 32, v40
	v_dot4_i32_i8 v51, v51, v26, 0
	v_and_or_b32 v37, v37, 48, v38
	v_lshrrev_b32_e32 v38, 2, v32
	v_lshlrev_b32_e32 v52, 1, v39
	v_mul_lo_u32 v40, v40, v51
	v_and_b32_e32 v51, 0x3030303, v38
	v_bfe_u32 v38, v38, 24, 2
	v_and_b32_e32 v52, 0x4040404, v52
	v_sub_u16_e32 v53, v51, v52
	v_sub_u16_sdwa v54, v51, v52 dst_sel:BYTE_1 dst_unused:UNUSED_PAD src0_sel:BYTE_1 src1_sel:BYTE_1
	v_sub_u16_sdwa v38, v38, v52 dst_sel:BYTE_1 dst_unused:UNUSED_PAD src0_sel:DWORD src1_sel:BYTE_3
	v_sub_u16_sdwa v51, v51, v52 dst_sel:DWORD dst_unused:UNUSED_PAD src0_sel:WORD_1 src1_sel:WORD_1
	v_or_b32_sdwa v53, v53, v54 dst_sel:DWORD dst_unused:UNUSED_PAD src0_sel:BYTE_0 src1_sel:DWORD
	v_or_b32_sdwa v38, v51, v38 dst_sel:WORD_1 dst_unused:UNUSED_PAD src0_sel:BYTE_0 src1_sel:DWORD
	v_and_b32_e32 v36, 0xff, v36
	v_lshrrev_b32_sdwa v35, v16, v35 dst_sel:DWORD dst_unused:UNUSED_PAD src0_sel:DWORD src1_sel:BYTE_0
	v_or_b32_sdwa v38, v53, v38 dst_sel:DWORD dst_unused:UNUSED_PAD src0_sel:WORD_0 src1_sel:DWORD
	v_bfe_u32 v36, v36, v14, 4
	v_lshlrev_b32_e32 v35, 4, v35
	v_subrev_u32_e32 v37, 32, v37
	v_dot4_i32_i8 v38, v38, v25, 0
	v_and_or_b32 v35, v35, 48, v36
	v_lshrrev_b32_e32 v36, 4, v32
	v_mul_lo_u32 v37, v37, v38
	v_and_b32_e32 v38, 0x3030303, v36
	v_bfe_u32 v36, v36, 24, 2
	v_and_b32_e32 v51, 0x4040404, v39
	v_sub_u16_e32 v52, v38, v51
	v_sub_u16_sdwa v53, v38, v51 dst_sel:BYTE_1 dst_unused:UNUSED_PAD src0_sel:BYTE_1 src1_sel:BYTE_1
	v_sub_u16_sdwa v36, v36, v51 dst_sel:BYTE_1 dst_unused:UNUSED_PAD src0_sel:DWORD src1_sel:BYTE_3
	v_sub_u16_sdwa v38, v38, v51 dst_sel:DWORD dst_unused:UNUSED_PAD src0_sel:WORD_1 src1_sel:WORD_1
	v_or_b32_sdwa v52, v52, v53 dst_sel:DWORD dst_unused:UNUSED_PAD src0_sel:BYTE_0 src1_sel:DWORD
	v_or_b32_sdwa v36, v38, v36 dst_sel:WORD_1 dst_unused:UNUSED_PAD src0_sel:BYTE_0 src1_sel:DWORD
	v_or_b32_sdwa v36, v52, v36 dst_sel:DWORD dst_unused:UNUSED_PAD src0_sel:WORD_0 src1_sel:DWORD
	s_waitcnt vmcnt(11)
	v_and_b32_e32 v34, 0xff, v34
	s_waitcnt vmcnt(10)
	v_lshrrev_b32_sdwa v33, v19, v33 dst_sel:DWORD dst_unused:UNUSED_PAD src0_sel:DWORD src1_sel:BYTE_0
	v_subrev_u32_e32 v35, 32, v35
	v_dot4_i32_i8 v36, v36, v24, 0
	v_bfe_u32 v34, v34, v14, 4
	v_lshlrev_b32_e32 v33, 4, v33
	v_mul_lo_u32 v35, v35, v36
	v_and_or_b32 v33, v33, 48, v34
	v_lshrrev_b32_e32 v34, 6, v32
	v_lshrrev_b32_e32 v36, 1, v39
	v_and_b32_e32 v34, 0x3030303, v34
	v_lshrrev_b32_e32 v32, 30, v32
	v_and_b32_e32 v36, 0x4040404, v36
	v_sub_u16_e32 v38, v34, v36
	v_sub_u16_sdwa v39, v34, v36 dst_sel:BYTE_1 dst_unused:UNUSED_PAD src0_sel:BYTE_1 src1_sel:BYTE_1
	v_sub_u16_sdwa v32, v32, v36 dst_sel:BYTE_1 dst_unused:UNUSED_PAD src0_sel:DWORD src1_sel:BYTE_3
	v_sub_u16_sdwa v34, v34, v36 dst_sel:DWORD dst_unused:UNUSED_PAD src0_sel:WORD_1 src1_sel:WORD_1
	v_or_b32_sdwa v38, v38, v39 dst_sel:DWORD dst_unused:UNUSED_PAD src0_sel:BYTE_0 src1_sel:DWORD
	v_or_b32_sdwa v32, v34, v32 dst_sel:WORD_1 dst_unused:UNUSED_PAD src0_sel:BYTE_0 src1_sel:DWORD
	v_or_b32_sdwa v32, v38, v32 dst_sel:DWORD dst_unused:UNUSED_PAD src0_sel:WORD_0 src1_sel:DWORD
	v_subrev_u32_e32 v33, 32, v33
	v_dot4_i32_i8 v32, v32, v23, 0
	v_mul_lo_u32 v32, v33, v32
	v_cvt_f32_i32_e32 v33, v40
	v_cvt_f32_i32_e32 v34, v37
	;; [unrolled: 1-line block ×4, first 2 shown]
	v_fma_f32 v33, v28, v33, 0
	v_fmac_f32_e32 v33, v29, v34
	v_fmac_f32_e32 v33, v30, v35
	;; [unrolled: 1-line block ×3, first 2 shown]
	v_fma_mix_f32 v10, v33, v31, v10 op_sel_hi:[0,1,0]
	s_waitcnt vmcnt(7)
	v_ashrrev_i32_e32 v31, v12, v50
	v_not_b32_e32 v31, v31
	s_waitcnt vmcnt(5)
	v_lshrrev_b32_e32 v33, v14, v45
	v_bfe_u32 v32, v49, v14, 4
	v_lshlrev_b32_e32 v33, 4, v33
	v_lshlrev_b32_e32 v35, 2, v31
	v_and_or_b32 v32, v33, 48, v32
	v_and_b32_e32 v33, 0x3030303, v42
	v_bfe_u32 v34, v42, 24, 2
	v_and_b32_e32 v35, 0x4040404, v35
	v_sub_u16_e32 v36, v33, v35
	v_sub_u16_sdwa v37, v33, v35 dst_sel:BYTE_1 dst_unused:UNUSED_PAD src0_sel:BYTE_1 src1_sel:BYTE_1
	v_sub_u16_sdwa v34, v34, v35 dst_sel:BYTE_1 dst_unused:UNUSED_PAD src0_sel:DWORD src1_sel:BYTE_3
	v_sub_u16_sdwa v33, v33, v35 dst_sel:DWORD dst_unused:UNUSED_PAD src0_sel:WORD_1 src1_sel:WORD_1
	v_or_b32_sdwa v36, v36, v37 dst_sel:DWORD dst_unused:UNUSED_PAD src0_sel:BYTE_0 src1_sel:DWORD
	v_or_b32_sdwa v33, v33, v34 dst_sel:WORD_1 dst_unused:UNUSED_PAD src0_sel:BYTE_0 src1_sel:DWORD
	v_or_b32_sdwa v33, v36, v33 dst_sel:DWORD dst_unused:UNUSED_PAD src0_sel:WORD_0 src1_sel:DWORD
	v_subrev_u32_e32 v32, 32, v32
	v_dot4_i32_i8 v26, v33, v26, 0
	s_waitcnt vmcnt(4)
	v_lshrrev_b32_e32 v33, v14, v47
	v_mul_lo_u32 v26, v32, v26
	s_waitcnt vmcnt(2)
	v_bfe_u32 v32, v48, v14, 4
	v_lshlrev_b32_e32 v33, 4, v33
	v_and_or_b32 v32, v33, 48, v32
	v_lshrrev_b32_e32 v33, 2, v42
	v_lshlrev_b32_e32 v35, 1, v31
	v_and_b32_e32 v34, 0x3030303, v33
	v_bfe_u32 v33, v33, 24, 2
	v_and_b32_e32 v35, 0x4040404, v35
	v_sub_u16_e32 v36, v34, v35
	v_sub_u16_sdwa v37, v34, v35 dst_sel:BYTE_1 dst_unused:UNUSED_PAD src0_sel:BYTE_1 src1_sel:BYTE_1
	v_sub_u16_sdwa v33, v33, v35 dst_sel:BYTE_1 dst_unused:UNUSED_PAD src0_sel:DWORD src1_sel:BYTE_3
	v_sub_u16_sdwa v34, v34, v35 dst_sel:DWORD dst_unused:UNUSED_PAD src0_sel:WORD_1 src1_sel:WORD_1
	v_or_b32_sdwa v36, v36, v37 dst_sel:DWORD dst_unused:UNUSED_PAD src0_sel:BYTE_0 src1_sel:DWORD
	v_or_b32_sdwa v33, v34, v33 dst_sel:WORD_1 dst_unused:UNUSED_PAD src0_sel:BYTE_0 src1_sel:DWORD
	v_or_b32_sdwa v33, v36, v33 dst_sel:DWORD dst_unused:UNUSED_PAD src0_sel:WORD_0 src1_sel:DWORD
	v_subrev_u32_e32 v32, 32, v32
	v_dot4_i32_i8 v25, v33, v25, 0
	v_lshrrev_b32_e32 v33, v16, v45
	v_mul_lo_u32 v25, v32, v25
	v_bfe_u32 v32, v46, v14, 4
	v_lshlrev_b32_e32 v33, 4, v33
	v_and_or_b32 v32, v33, 48, v32
	v_lshrrev_b32_e32 v33, 4, v42
	v_and_b32_e32 v34, 0x3030303, v33
	v_bfe_u32 v33, v33, 24, 2
	v_and_b32_e32 v35, 0x4040404, v31
	v_sub_u16_e32 v36, v34, v35
	v_sub_u16_sdwa v37, v34, v35 dst_sel:BYTE_1 dst_unused:UNUSED_PAD src0_sel:BYTE_1 src1_sel:BYTE_1
	v_sub_u16_sdwa v33, v33, v35 dst_sel:BYTE_1 dst_unused:UNUSED_PAD src0_sel:DWORD src1_sel:BYTE_3
	v_sub_u16_sdwa v34, v34, v35 dst_sel:DWORD dst_unused:UNUSED_PAD src0_sel:WORD_1 src1_sel:WORD_1
	v_or_b32_sdwa v36, v36, v37 dst_sel:DWORD dst_unused:UNUSED_PAD src0_sel:BYTE_0 src1_sel:DWORD
	v_or_b32_sdwa v33, v34, v33 dst_sel:WORD_1 dst_unused:UNUSED_PAD src0_sel:BYTE_0 src1_sel:DWORD
	v_or_b32_sdwa v33, v36, v33 dst_sel:DWORD dst_unused:UNUSED_PAD src0_sel:WORD_0 src1_sel:DWORD
	v_subrev_u32_e32 v32, 32, v32
	v_dot4_i32_i8 v24, v33, v24, 0
	s_waitcnt vmcnt(0)
	v_lshrrev_b32_e32 v33, v19, v44
	v_mul_lo_u32 v24, v32, v24
	v_bfe_u32 v32, v43, v14, 4
	v_lshlrev_b32_e32 v33, 4, v33
	v_and_or_b32 v32, v33, 48, v32
	v_lshrrev_b32_e32 v33, 6, v42
	v_lshrrev_b32_e32 v31, 1, v31
	v_and_b32_e32 v33, 0x3030303, v33
	v_lshrrev_b32_e32 v34, 30, v42
	v_and_b32_e32 v31, 0x4040404, v31
	v_sub_u16_e32 v35, v33, v31
	v_sub_u16_sdwa v36, v33, v31 dst_sel:BYTE_1 dst_unused:UNUSED_PAD src0_sel:BYTE_1 src1_sel:BYTE_1
	v_sub_u16_sdwa v34, v34, v31 dst_sel:BYTE_1 dst_unused:UNUSED_PAD src0_sel:DWORD src1_sel:BYTE_3
	v_sub_u16_sdwa v31, v33, v31 dst_sel:DWORD dst_unused:UNUSED_PAD src0_sel:WORD_1 src1_sel:WORD_1
	v_or_b32_sdwa v35, v35, v36 dst_sel:DWORD dst_unused:UNUSED_PAD src0_sel:BYTE_0 src1_sel:DWORD
	v_or_b32_sdwa v31, v31, v34 dst_sel:WORD_1 dst_unused:UNUSED_PAD src0_sel:BYTE_0 src1_sel:DWORD
	v_or_b32_sdwa v31, v35, v31 dst_sel:DWORD dst_unused:UNUSED_PAD src0_sel:WORD_0 src1_sel:DWORD
	v_subrev_u32_e32 v32, 32, v32
	v_dot4_i32_i8 v23, v31, v23, 0
	v_mul_lo_u32 v23, v32, v23
	v_cvt_f32_i32_e32 v26, v26
	v_cvt_f32_i32_e32 v25, v25
	;; [unrolled: 1-line block ×4, first 2 shown]
	v_fma_f32 v26, v28, v26, 0
	v_fmac_f32_e32 v26, v29, v25
	v_fmac_f32_e32 v26, v30, v24
	v_add_u32_e32 v11, 8, v11
	v_fmac_f32_e32 v26, v27, v23
	v_add_co_u32_e32 v5, vcc, 0x900, v5
	v_cmp_le_u32_e64 s[6:7], s17, v11
	v_fma_mix_f32 v4, v26, v41, v4 op_sel_hi:[0,1,0]
	s_or_b64 s[14:15], s[6:7], s[14:15]
	v_addc_co_u32_e32 v6, vcc, 0, v6, vcc
	s_andn2_b64 exec, exec, s[14:15]
	s_cbranch_execz .LBB109_22
.LBB109_18:                             ; =>This Inner Loop Header: Depth=1
	v_mov_b32_e32 v24, s13
	v_add_u32_e32 v41, s20, v11
	v_mov_b32_e32 v23, s12
	v_mad_i64_i32 v[29:30], s[6:7], v41, s23, v[23:24]
	v_add_co_u32_e32 v27, vcc, v5, v20
	v_addc_co_u32_e32 v28, vcc, 0, v6, vcc
	global_load_dword v26, v[27:28], off offset:4
	global_load_dword v25, v[27:28], off offset:40
	;; [unrolled: 1-line block ×4, first 2 shown]
	v_add_co_u32_e32 v27, vcc, v29, v22
	v_addc_co_u32_e32 v28, vcc, 0, v30, vcc
	v_add_co_u32_e32 v42, vcc, v29, v21
	v_addc_co_u32_e32 v43, vcc, 0, v30, vcc
	;; [unrolled: 2-line block ×6, first 2 shown]
	global_load_dword v52, v[5:6], off
	global_load_dword v53, v[5:6], off offset:36
	global_load_dword v54, v[5:6], off offset:72
	;; [unrolled: 1-line block ×3, first 2 shown]
	global_load_ushort v31, v[29:30], off offset:108
	global_load_dword v32, v[27:28], off offset:32
	global_load_dword v39, v[42:43], off
	global_load_ubyte v36, v[46:47], off offset:96
	global_load_ubyte v35, v[44:45], off offset:104
	;; [unrolled: 1-line block ×7, first 2 shown]
	v_cndmask_b32_e64 v42, 0, 1, s[18:19]
	v_cmp_ne_u32_e64 s[6:7], 1, v42
	s_andn2_b64 vcc, exec, s[18:19]
	s_waitcnt vmcnt(13)
	v_cvt_f32_f16_e32 v28, v52
	s_waitcnt vmcnt(12)
	v_cvt_f32_f16_e32 v29, v53
	;; [unrolled: 2-line block ×4, first 2 shown]
	s_cbranch_vccnz .LBB109_20
; %bb.19:                               ;   in Loop: Header=BB109_18 Depth=1
	v_mov_b32_e32 v43, s29
	v_mov_b32_e32 v42, s28
	v_mad_i64_i32 v[41:42], s[24:25], v41, s23, v[42:43]
	v_add_co_u32_e32 v43, vcc, v41, v22
	v_addc_co_u32_e32 v44, vcc, 0, v42, vcc
	v_add_co_u32_e32 v45, vcc, v41, v21
	v_addc_co_u32_e32 v46, vcc, 0, v42, vcc
	;; [unrolled: 2-line block ×4, first 2 shown]
	global_load_dword v51, v[43:44], off offset:32
	global_load_dword v52, v[45:46], off
	global_load_ubyte v53, v[47:48], off offset:96
	global_load_ubyte v54, v[47:48], off offset:104
	;; [unrolled: 1-line block ×5, first 2 shown]
	v_add_co_u32_e32 v43, vcc, v41, v17
	v_addc_co_u32_e32 v44, vcc, 0, v42, vcc
	global_load_ubyte v45, v[43:44], off offset:96
	v_add_co_u32_e32 v43, vcc, v41, v18
	v_addc_co_u32_e32 v44, vcc, 0, v42, vcc
	global_load_ubyte v46, v[43:44], off offset:104
	global_load_ushort v47, v[41:42], off offset:108
	s_waitcnt vmcnt(9)
	v_and_b32_e32 v44, 0x3030303, v51
	s_waitcnt vmcnt(8)
	v_ashrrev_i32_e32 v41, v12, v52
	s_waitcnt vmcnt(7)
	v_bfe_u32 v42, v53, v14, 4
	s_waitcnt vmcnt(6)
	v_lshrrev_b32_e32 v43, v14, v54
	s_waitcnt vmcnt(5)
	v_lshrrev_b32_e32 v50, v14, v55
	v_lshrrev_b32_e32 v54, v16, v54
	s_waitcnt vmcnt(3)
	v_bfe_u32 v49, v57, v14, 4
	v_not_b32_e32 v41, v41
	v_lshlrev_b32_e32 v43, 4, v43
	v_lshlrev_b32_e32 v50, 4, v50
	v_lshrrev_b32_e32 v52, 2, v51
	v_bfe_u32 v53, v56, v14, 4
	v_lshrrev_b32_e32 v55, 4, v51
	v_lshlrev_b32_e32 v54, 4, v54
	v_and_or_b32 v42, v43, 48, v42
	v_lshlrev_b32_e32 v43, 2, v41
	v_and_or_b32 v49, v50, 48, v49
	v_lshlrev_b32_e32 v50, 1, v41
	v_bfe_u32 v48, v51, 24, 2
	v_and_b32_e32 v56, 0x3030303, v52
	v_bfe_u32 v52, v52, 24, 2
	v_and_b32_e32 v57, 0x3030303, v55
	v_bfe_u32 v55, v55, 24, 2
	v_and_or_b32 v53, v54, 48, v53
	v_and_b32_e32 v54, 0x4040404, v41
	v_and_b32_e32 v43, 0x4040404, v43
	;; [unrolled: 1-line block ×3, first 2 shown]
	v_sub_u16_e32 v58, v57, v54
	v_sub_u16_sdwa v59, v57, v54 dst_sel:BYTE_1 dst_unused:UNUSED_PAD src0_sel:BYTE_1 src1_sel:BYTE_1
	v_sub_u16_sdwa v55, v55, v54 dst_sel:BYTE_1 dst_unused:UNUSED_PAD src0_sel:DWORD src1_sel:BYTE_3
	v_sub_u16_sdwa v54, v57, v54 dst_sel:DWORD dst_unused:UNUSED_PAD src0_sel:WORD_1 src1_sel:WORD_1
	v_sub_u16_e32 v57, v44, v43
	v_sub_u16_sdwa v60, v44, v43 dst_sel:BYTE_1 dst_unused:UNUSED_PAD src0_sel:BYTE_1 src1_sel:BYTE_1
	v_sub_u16_sdwa v48, v48, v43 dst_sel:BYTE_1 dst_unused:UNUSED_PAD src0_sel:DWORD src1_sel:BYTE_3
	v_sub_u16_sdwa v43, v44, v43 dst_sel:DWORD dst_unused:UNUSED_PAD src0_sel:WORD_1 src1_sel:WORD_1
	;; [unrolled: 4-line block ×3, first 2 shown]
	v_or_b32_sdwa v54, v54, v55 dst_sel:WORD_1 dst_unused:UNUSED_PAD src0_sel:BYTE_0 src1_sel:DWORD
	v_or_b32_sdwa v55, v57, v60 dst_sel:DWORD dst_unused:UNUSED_PAD src0_sel:BYTE_0 src1_sel:DWORD
	v_or_b32_sdwa v43, v43, v48 dst_sel:WORD_1 dst_unused:UNUSED_PAD src0_sel:BYTE_0 src1_sel:DWORD
	v_or_b32_sdwa v44, v44, v61 dst_sel:DWORD dst_unused:UNUSED_PAD src0_sel:BYTE_0 src1_sel:DWORD
	v_or_b32_sdwa v48, v50, v52 dst_sel:WORD_1 dst_unused:UNUSED_PAD src0_sel:BYTE_0 src1_sel:DWORD
	v_or_b32_sdwa v43, v55, v43 dst_sel:DWORD dst_unused:UNUSED_PAD src0_sel:WORD_0 src1_sel:DWORD
	v_or_b32_sdwa v44, v44, v48 dst_sel:DWORD dst_unused:UNUSED_PAD src0_sel:WORD_0 src1_sel:DWORD
	v_subrev_u32_e32 v42, 32, v42
	v_subrev_u32_e32 v49, 32, v49
	v_dot4_i32_i8 v43, v43, v26, 0
	v_dot4_i32_i8 v44, v44, v25, 0
	v_mul_lo_u32 v42, v42, v43
	v_mul_lo_u32 v43, v49, v44
	s_waitcnt vmcnt(1)
	v_lshrrev_b32_e32 v44, v19, v46
	v_bfe_u32 v45, v45, v14, 4
	v_lshlrev_b32_e32 v44, 4, v44
	v_or_b32_sdwa v56, v58, v59 dst_sel:DWORD dst_unused:UNUSED_PAD src0_sel:BYTE_0 src1_sel:DWORD
	v_and_or_b32 v44, v44, 48, v45
	v_lshrrev_b32_e32 v45, 6, v51
	v_lshrrev_b32_e32 v41, 1, v41
	v_or_b32_sdwa v50, v56, v54 dst_sel:DWORD dst_unused:UNUSED_PAD src0_sel:WORD_0 src1_sel:DWORD
	v_and_b32_e32 v45, 0x3030303, v45
	v_lshrrev_b32_e32 v46, 30, v51
	v_and_b32_e32 v41, 0x4040404, v41
	v_dot4_i32_i8 v48, v50, v24, 0
	v_sub_u16_e32 v49, v45, v41
	v_sub_u16_sdwa v50, v45, v41 dst_sel:BYTE_1 dst_unused:UNUSED_PAD src0_sel:BYTE_1 src1_sel:BYTE_1
	v_sub_u16_sdwa v46, v46, v41 dst_sel:BYTE_1 dst_unused:UNUSED_PAD src0_sel:DWORD src1_sel:BYTE_3
	v_sub_u16_sdwa v41, v45, v41 dst_sel:DWORD dst_unused:UNUSED_PAD src0_sel:WORD_1 src1_sel:WORD_1
	v_or_b32_sdwa v49, v49, v50 dst_sel:DWORD dst_unused:UNUSED_PAD src0_sel:BYTE_0 src1_sel:DWORD
	v_or_b32_sdwa v41, v41, v46 dst_sel:WORD_1 dst_unused:UNUSED_PAD src0_sel:BYTE_0 src1_sel:DWORD
	v_subrev_u32_e32 v53, 32, v53
	v_or_b32_sdwa v41, v49, v41 dst_sel:DWORD dst_unused:UNUSED_PAD src0_sel:WORD_0 src1_sel:DWORD
	v_mul_lo_u32 v48, v53, v48
	v_subrev_u32_e32 v44, 32, v44
	v_dot4_i32_i8 v41, v41, v23, 0
	v_mul_lo_u32 v41, v44, v41
	v_cvt_f32_i32_e32 v42, v42
	v_cvt_f32_i32_e32 v43, v43
	;; [unrolled: 1-line block ×4, first 2 shown]
	v_fma_f32 v42, v28, v42, 0
	v_fmac_f32_e32 v42, v29, v43
	v_fmac_f32_e32 v42, v30, v44
	;; [unrolled: 1-line block ×3, first 2 shown]
	s_waitcnt vmcnt(0)
	v_fma_mix_f32 v2, v42, v47, v2 op_sel_hi:[0,1,0]
.LBB109_20:                             ;   in Loop: Header=BB109_18 Depth=1
	v_mov_b32_e32 v42, s13
	v_add_u32_e32 v51, s21, v11
	v_mov_b32_e32 v41, s12
	v_mad_i64_i32 v[43:44], s[24:25], v51, s23, v[41:42]
	v_add_co_u32_e32 v52, vcc, v43, v22
	v_addc_co_u32_e32 v53, vcc, 0, v44, vcc
	v_add_co_u32_e32 v54, vcc, v43, v21
	v_addc_co_u32_e32 v55, vcc, 0, v44, vcc
	;; [unrolled: 2-line block ×4, first 2 shown]
	global_load_ushort v41, v[43:44], off offset:108
	global_load_dword v42, v[52:53], off offset:32
	global_load_dword v50, v[54:55], off
	global_load_ubyte v49, v[56:57], off offset:96
	global_load_ubyte v45, v[56:57], off offset:104
	;; [unrolled: 1-line block ×5, first 2 shown]
	v_add_co_u32_e32 v52, vcc, v43, v17
	v_addc_co_u32_e32 v53, vcc, 0, v44, vcc
	v_add_co_u32_e32 v54, vcc, v43, v18
	v_addc_co_u32_e32 v55, vcc, 0, v44, vcc
	global_load_ubyte v43, v[52:53], off offset:96
	global_load_ubyte v44, v[54:55], off offset:104
	s_and_b64 vcc, exec, s[6:7]
	s_cbranch_vccnz .LBB109_17
; %bb.21:                               ;   in Loop: Header=BB109_18 Depth=1
	v_mov_b32_e32 v53, s29
	v_mov_b32_e32 v52, s28
	v_mad_i64_i32 v[51:52], s[6:7], v51, s23, v[52:53]
	v_add_co_u32_e32 v53, vcc, v51, v22
	v_addc_co_u32_e32 v54, vcc, 0, v52, vcc
	v_add_co_u32_e32 v55, vcc, v51, v21
	v_addc_co_u32_e32 v56, vcc, 0, v52, vcc
	;; [unrolled: 2-line block ×4, first 2 shown]
	global_load_dword v61, v[53:54], off offset:32
	global_load_dword v62, v[55:56], off
	global_load_ubyte v63, v[57:58], off offset:96
	global_load_ubyte v64, v[57:58], off offset:104
	;; [unrolled: 1-line block ×5, first 2 shown]
	v_add_co_u32_e32 v53, vcc, v51, v17
	v_addc_co_u32_e32 v54, vcc, 0, v52, vcc
	global_load_ubyte v55, v[53:54], off offset:96
	v_add_co_u32_e32 v53, vcc, v51, v18
	v_addc_co_u32_e32 v54, vcc, 0, v52, vcc
	global_load_ubyte v56, v[53:54], off offset:104
	global_load_ushort v57, v[51:52], off offset:108
	s_waitcnt vmcnt(9)
	v_and_b32_e32 v54, 0x3030303, v61
	s_waitcnt vmcnt(8)
	v_ashrrev_i32_e32 v51, v12, v62
	s_waitcnt vmcnt(7)
	v_bfe_u32 v52, v63, v14, 4
	s_waitcnt vmcnt(6)
	v_lshrrev_b32_e32 v53, v14, v64
	s_waitcnt vmcnt(5)
	v_lshrrev_b32_e32 v60, v14, v65
	v_lshrrev_b32_e32 v64, v16, v64
	s_waitcnt vmcnt(3)
	v_bfe_u32 v59, v67, v14, 4
	v_not_b32_e32 v51, v51
	v_lshlrev_b32_e32 v53, 4, v53
	v_lshlrev_b32_e32 v60, 4, v60
	v_lshrrev_b32_e32 v62, 2, v61
	v_bfe_u32 v63, v66, v14, 4
	v_lshrrev_b32_e32 v65, 4, v61
	v_lshlrev_b32_e32 v64, 4, v64
	v_and_or_b32 v52, v53, 48, v52
	v_lshlrev_b32_e32 v53, 2, v51
	v_and_or_b32 v59, v60, 48, v59
	v_lshlrev_b32_e32 v60, 1, v51
	v_bfe_u32 v58, v61, 24, 2
	v_and_b32_e32 v66, 0x3030303, v62
	v_bfe_u32 v62, v62, 24, 2
	v_and_b32_e32 v67, 0x3030303, v65
	v_bfe_u32 v65, v65, 24, 2
	v_and_or_b32 v63, v64, 48, v63
	v_and_b32_e32 v64, 0x4040404, v51
	v_and_b32_e32 v53, 0x4040404, v53
	;; [unrolled: 1-line block ×3, first 2 shown]
	v_sub_u16_e32 v68, v67, v64
	v_sub_u16_sdwa v69, v67, v64 dst_sel:BYTE_1 dst_unused:UNUSED_PAD src0_sel:BYTE_1 src1_sel:BYTE_1
	v_sub_u16_sdwa v65, v65, v64 dst_sel:BYTE_1 dst_unused:UNUSED_PAD src0_sel:DWORD src1_sel:BYTE_3
	v_sub_u16_sdwa v64, v67, v64 dst_sel:DWORD dst_unused:UNUSED_PAD src0_sel:WORD_1 src1_sel:WORD_1
	v_sub_u16_e32 v67, v54, v53
	v_sub_u16_sdwa v70, v54, v53 dst_sel:BYTE_1 dst_unused:UNUSED_PAD src0_sel:BYTE_1 src1_sel:BYTE_1
	v_sub_u16_sdwa v58, v58, v53 dst_sel:BYTE_1 dst_unused:UNUSED_PAD src0_sel:DWORD src1_sel:BYTE_3
	v_sub_u16_sdwa v53, v54, v53 dst_sel:DWORD dst_unused:UNUSED_PAD src0_sel:WORD_1 src1_sel:WORD_1
	;; [unrolled: 4-line block ×3, first 2 shown]
	v_or_b32_sdwa v64, v64, v65 dst_sel:WORD_1 dst_unused:UNUSED_PAD src0_sel:BYTE_0 src1_sel:DWORD
	v_or_b32_sdwa v65, v67, v70 dst_sel:DWORD dst_unused:UNUSED_PAD src0_sel:BYTE_0 src1_sel:DWORD
	v_or_b32_sdwa v53, v53, v58 dst_sel:WORD_1 dst_unused:UNUSED_PAD src0_sel:BYTE_0 src1_sel:DWORD
	v_or_b32_sdwa v54, v54, v71 dst_sel:DWORD dst_unused:UNUSED_PAD src0_sel:BYTE_0 src1_sel:DWORD
	v_or_b32_sdwa v58, v60, v62 dst_sel:WORD_1 dst_unused:UNUSED_PAD src0_sel:BYTE_0 src1_sel:DWORD
	v_or_b32_sdwa v53, v65, v53 dst_sel:DWORD dst_unused:UNUSED_PAD src0_sel:WORD_0 src1_sel:DWORD
	v_or_b32_sdwa v54, v54, v58 dst_sel:DWORD dst_unused:UNUSED_PAD src0_sel:WORD_0 src1_sel:DWORD
	s_waitcnt vmcnt(1)
	v_lshrrev_b32_e32 v56, v19, v56
	v_subrev_u32_e32 v52, 32, v52
	v_subrev_u32_e32 v59, 32, v59
	v_dot4_i32_i8 v53, v53, v26, 0
	v_dot4_i32_i8 v54, v54, v25, 0
	v_bfe_u32 v55, v55, v14, 4
	v_mul_lo_u32 v52, v52, v53
	v_mul_lo_u32 v53, v59, v54
	v_lshlrev_b32_e32 v54, 4, v56
	v_or_b32_sdwa v66, v68, v69 dst_sel:DWORD dst_unused:UNUSED_PAD src0_sel:BYTE_0 src1_sel:DWORD
	v_and_or_b32 v54, v54, 48, v55
	v_lshrrev_b32_e32 v55, 6, v61
	v_lshrrev_b32_e32 v51, 1, v51
	v_or_b32_sdwa v60, v66, v64 dst_sel:DWORD dst_unused:UNUSED_PAD src0_sel:WORD_0 src1_sel:DWORD
	v_and_b32_e32 v55, 0x3030303, v55
	v_lshrrev_b32_e32 v56, 30, v61
	v_and_b32_e32 v51, 0x4040404, v51
	v_dot4_i32_i8 v58, v60, v24, 0
	v_sub_u16_e32 v59, v55, v51
	v_sub_u16_sdwa v60, v55, v51 dst_sel:BYTE_1 dst_unused:UNUSED_PAD src0_sel:BYTE_1 src1_sel:BYTE_1
	v_sub_u16_sdwa v56, v56, v51 dst_sel:BYTE_1 dst_unused:UNUSED_PAD src0_sel:DWORD src1_sel:BYTE_3
	v_sub_u16_sdwa v51, v55, v51 dst_sel:DWORD dst_unused:UNUSED_PAD src0_sel:WORD_1 src1_sel:WORD_1
	v_or_b32_sdwa v59, v59, v60 dst_sel:DWORD dst_unused:UNUSED_PAD src0_sel:BYTE_0 src1_sel:DWORD
	v_or_b32_sdwa v51, v51, v56 dst_sel:WORD_1 dst_unused:UNUSED_PAD src0_sel:BYTE_0 src1_sel:DWORD
	v_subrev_u32_e32 v63, 32, v63
	v_or_b32_sdwa v51, v59, v51 dst_sel:DWORD dst_unused:UNUSED_PAD src0_sel:WORD_0 src1_sel:DWORD
	v_mul_lo_u32 v58, v63, v58
	v_subrev_u32_e32 v54, 32, v54
	v_dot4_i32_i8 v51, v51, v23, 0
	v_mul_lo_u32 v51, v54, v51
	v_cvt_f32_i32_e32 v52, v52
	v_cvt_f32_i32_e32 v53, v53
	;; [unrolled: 1-line block ×4, first 2 shown]
	v_fma_f32 v52, v28, v52, 0
	v_fmac_f32_e32 v52, v29, v53
	v_fmac_f32_e32 v52, v30, v54
	;; [unrolled: 1-line block ×3, first 2 shown]
	s_waitcnt vmcnt(0)
	v_fma_mix_f32 v3, v52, v57, v3 op_sel_hi:[0,1,0]
	s_branch .LBB109_17
.LBB109_22:
	s_or_b64 exec, exec, s[14:15]
.LBB109_23:
	s_or_b64 exec, exec, s[10:11]
	s_load_dword s14, s[4:5], 0x30
	v_cmp_eq_u32_e64 s[6:7], 0, v1
	v_cmp_ne_u32_e32 vcc, 0, v1
	v_lshlrev_b32_e32 v5, 2, v0
	s_and_saveexec_b64 s[10:11], vcc
	s_cbranch_execz .LBB109_28
; %bb.24:
	v_lshl_or_b32 v1, v1, 9, v5
	v_add_u32_e32 v6, 0xfffffe00, v1
	s_mov_b64 s[12:13], -1
	s_and_b64 vcc, exec, s[38:39]
	ds_write_b32 v6, v10
	s_cbranch_vccz .LBB109_26
; %bb.25:
	ds_write_b32 v6, v4 offset:256
	s_mov_b64 s[12:13], 0
.LBB109_26:
	s_andn2_b64 vcc, exec, s[12:13]
	s_cbranch_vccnz .LBB109_28
; %bb.27:
	ds_write_b32 v6, v4 offset:256
	ds_write2st64_b32 v1, v2, v3 offset1:1
.LBB109_28:
	s_or_b64 exec, exec, s[10:11]
	s_waitcnt vmcnt(0) lgkmcnt(0)
	s_barrier
	s_and_saveexec_b64 s[10:11], s[6:7]
	s_cbranch_execz .LBB109_61
; %bb.29:
	ds_read_b32 v11, v5
	v_cndmask_b32_e64 v1, 0, 1, s[18:19]
	v_cmp_ne_u32_e64 s[6:7], 1, v1
	s_andn2_b64 vcc, exec, s[18:19]
	v_or_b32_e32 v6, 0x200, v5
	s_cbranch_vccnz .LBB109_31
; %bb.30:
	ds_read_b32 v1, v6
	s_waitcnt lgkmcnt(0)
	v_add_f32_e32 v2, v2, v1
.LBB109_31:
	v_mbcnt_lo_u32_b32 v1, -1, 0
	v_mbcnt_hi_u32_b32 v16, -1, v1
	v_and_b32_e32 v1, 64, v16
	v_add_u32_e32 v17, 64, v1
	v_xor_b32_e32 v1, 32, v16
	v_cmp_lt_i32_e32 vcc, v1, v17
	v_cndmask_b32_e32 v1, v16, v1, vcc
	v_lshlrev_b32_e32 v1, 2, v1
	s_waitcnt lgkmcnt(0)
	v_add_f32_e32 v10, v10, v11
	ds_bpermute_b32 v11, v1, v10
	v_xor_b32_e32 v12, 16, v16
	v_cmp_lt_i32_e32 vcc, v12, v17
	v_cndmask_b32_e32 v12, v16, v12, vcc
	v_lshlrev_b32_e32 v12, 2, v12
	s_waitcnt lgkmcnt(0)
	v_add_f32_e32 v10, v10, v11
	ds_bpermute_b32 v11, v12, v10
	;; [unrolled: 7-line block ×6, first 2 shown]
	s_and_b64 vcc, exec, s[6:7]
	s_cbranch_vccnz .LBB109_33
; %bb.32:
	ds_bpermute_b32 v17, v1, v2
	s_waitcnt lgkmcnt(0)
	v_add_f32_e32 v2, v2, v17
	ds_bpermute_b32 v17, v12, v2
	s_waitcnt lgkmcnt(0)
	v_add_f32_e32 v2, v2, v17
	;; [unrolled: 3-line block ×6, first 2 shown]
.LBB109_33:
	ds_read_b32 v17, v5 offset:256
	s_and_b64 vcc, exec, s[6:7]
	s_cbranch_vccnz .LBB109_35
; %bb.34:
	ds_read_b32 v6, v6 offset:256
	s_waitcnt lgkmcnt(0)
	v_add_f32_e32 v3, v3, v6
.LBB109_35:
	s_waitcnt lgkmcnt(0)
	v_add_f32_e32 v4, v4, v17
	ds_bpermute_b32 v6, v1, v4
	s_and_b64 vcc, exec, s[6:7]
	s_waitcnt lgkmcnt(0)
	v_add_f32_e32 v4, v4, v6
	ds_bpermute_b32 v6, v12, v4
	s_waitcnt lgkmcnt(0)
	v_add_f32_e32 v4, v4, v6
	ds_bpermute_b32 v6, v13, v4
	;; [unrolled: 3-line block ×5, first 2 shown]
	s_cbranch_vccnz .LBB109_37
; %bb.36:
	ds_bpermute_b32 v1, v1, v3
	s_waitcnt lgkmcnt(0)
	v_add_f32_e32 v1, v3, v1
	ds_bpermute_b32 v3, v12, v1
	s_waitcnt lgkmcnt(0)
	v_add_f32_e32 v1, v1, v3
	;; [unrolled: 3-line block ×6, first 2 shown]
.LBB109_37:
	v_cmp_gt_u32_e32 vcc, s9, v7
	v_cmp_gt_u32_e64 s[10:11], 2, v0
	s_and_b64 s[10:11], s[10:11], vcc
	s_and_b64 exec, exec, s[10:11]
	s_cbranch_execz .LBB109_61
; %bb.38:
	v_add_f32_e32 v1, v10, v11
	s_waitcnt lgkmcnt(0)
	v_add_f32_e32 v4, v4, v6
	v_cmp_eq_u32_e64 s[10:11], 1, v0
	v_cndmask_b32_e64 v0, v1, v4, s[10:11]
	v_add_f32_e32 v1, v9, v0
	s_and_b64 vcc, exec, s[6:7]
	v_cndmask_b32_e64 v0, v1, v0, s[0:1]
	s_cbranch_vccnz .LBB109_60
; %bb.39:
	v_cndmask_b32_e64 v1, v2, v3, s[10:11]
	v_add_f32_e32 v2, v8, v1
	v_cndmask_b32_e64 v1, v1, v2, s[2:3]
	s_cmp_lt_i32 s14, 2
	s_mov_b64 s[0:1], 0
	s_cbranch_scc1 .LBB109_43
; %bb.40:
	s_cmp_gt_i32 s14, 2
	s_cbranch_scc0 .LBB109_44
; %bb.41:
	s_cmp_eq_u32 s14, 3
	s_cbranch_scc0 .LBB109_45
; %bb.42:
	v_max_f32_e32 v2, v1, v1
	v_min_f32_e32 v2, 0x40e00000, v2
	v_mul_f32_e32 v3, 0xbfd9db23, v2
	s_mov_b32 s2, 0x3fb8aa3b
	v_mul_f32_e32 v4, 0x3fb8aa3b, v3
	v_fma_f32 v6, v3, s2, -v4
	v_rndne_f32_e32 v7, v4
	v_fmac_f32_e32 v6, 0x32a5705f, v3
	v_sub_f32_e32 v4, v4, v7
	v_add_f32_e32 v4, v4, v6
	v_exp_f32_e32 v4, v4
	v_cvt_i32_f32_e32 v6, v7
	s_mov_b32 s2, 0xc2ce8ed0
	v_cmp_ngt_f32_e32 vcc, s2, v3
	s_mov_b32 s2, 0x42b17218
	v_ldexp_f32 v4, v4, v6
	v_cndmask_b32_e32 v4, 0, v4, vcc
	v_mov_b32_e32 v6, 0x7f800000
	v_cmp_nlt_f32_e32 vcc, s2, v3
	v_cndmask_b32_e32 v3, v6, v4, vcc
	v_add_f32_e32 v3, 1.0, v3
	v_div_scale_f32 v4, s[2:3], v3, v3, v2
	v_div_scale_f32 v6, vcc, v2, v3, v2
	s_mov_b64 s[2:3], 0
	v_rcp_f32_e32 v7, v4
	v_fma_f32 v8, -v4, v7, 1.0
	v_fmac_f32_e32 v7, v8, v7
	v_mul_f32_e32 v8, v6, v7
	v_fma_f32 v9, -v4, v8, v6
	v_fmac_f32_e32 v8, v9, v7
	v_fma_f32 v4, -v4, v8, v6
	v_div_fmas_f32 v4, v4, v7, v8
	v_max_f32_e32 v6, v0, v0
	v_min_f32_e32 v6, 0x40e00000, v6
	v_max_f32_e32 v6, 0xc0e00000, v6
	v_add_f32_e32 v6, 1.0, v6
	v_div_fixup_f32 v2, v4, v3, v2
	v_mul_f32_e32 v2, v6, v2
	s_branch .LBB109_46
.LBB109_43:
                                        ; implicit-def: $vgpr2
	s_mov_b64 s[2:3], 0
	s_cbranch_execnz .LBB109_50
	s_branch .LBB109_51
.LBB109_44:
	s_mov_b64 s[6:7], -1
	s_mov_b64 s[2:3], 0
                                        ; implicit-def: $vgpr2
	s_branch .LBB109_47
.LBB109_45:
	s_mov_b64 s[2:3], -1
                                        ; implicit-def: $vgpr2
.LBB109_46:
	s_mov_b64 s[6:7], 0
.LBB109_47:
	s_and_b64 vcc, exec, s[6:7]
	s_cbranch_vccz .LBB109_49
; %bb.48:
	v_mul_f32_e32 v2, 0xbfb8aa3b, v1
	s_mov_b32 s6, 0xbfb8aa3b
	v_rndne_f32_e32 v3, v2
	v_sub_f32_e32 v4, v2, v3
	v_fma_f32 v2, v1, s6, -v2
	v_fmac_f32_e32 v2, 0xb2a5705f, v1
	v_add_f32_e32 v2, v4, v2
	v_exp_f32_e32 v2, v2
	v_cvt_i32_f32_e32 v3, v3
	s_mov_b32 s6, 0x42ce8ed0
	v_cmp_nlt_f32_e32 vcc, s6, v1
	s_mov_b32 s6, 0xc2b17218
	v_ldexp_f32 v2, v2, v3
	v_cndmask_b32_e32 v2, 0, v2, vcc
	v_mov_b32_e32 v3, 0x7f800000
	v_cmp_ngt_f32_e32 vcc, s6, v1
	v_cndmask_b32_e32 v2, v3, v2, vcc
	v_add_f32_e32 v2, 1.0, v2
	v_div_scale_f32 v3, s[6:7], v2, v2, v1
	v_div_scale_f32 v4, vcc, v1, v2, v1
	v_rcp_f32_e32 v6, v3
	v_fma_f32 v7, -v3, v6, 1.0
	v_fmac_f32_e32 v6, v7, v6
	v_mul_f32_e32 v7, v4, v6
	v_fma_f32 v8, -v3, v7, v4
	v_fmac_f32_e32 v7, v8, v6
	v_fma_f32 v3, -v3, v7, v4
	v_div_fmas_f32 v3, v3, v6, v7
	v_div_fixup_f32 v2, v3, v2, v1
	v_mul_f32_e32 v2, v0, v2
.LBB109_49:
	s_branch .LBB109_51
.LBB109_50:
	s_cmp_lg_u32 s14, 1
	s_mov_b64 s[0:1], -1
	s_cselect_b64 s[2:3], -1, 0
.LBB109_51:
	s_andn2_b64 vcc, exec, s[2:3]
	s_cbranch_vccz .LBB109_53
; %bb.52:
	s_andn2_b64 vcc, exec, s[0:1]
	s_cbranch_vccz .LBB109_54
	s_branch .LBB109_59
.LBB109_53:
	v_mul_f32_e32 v2, v1, v0
	s_cbranch_execnz .LBB109_59
.LBB109_54:
	v_mul_f32_e32 v3, 0x3d372713, v1
	v_mul_f32_e32 v2, 0x3f4c422a, v1
	v_fma_f32 v3, v1, v3, 1.0
	v_mul_f32_e32 v2, v2, v3
	s_mov_b32 s0, 0x3f200000
	v_cmp_nlt_f32_e64 s[0:1], |v2|, s0
                                        ; implicit-def: $vgpr3
	s_and_saveexec_b64 s[2:3], s[0:1]
	s_xor_b64 s[0:1], exec, s[2:3]
	s_cbranch_execz .LBB109_56
; %bb.55:
	v_add_f32_e64 v3, |v2|, |v2|
	v_mul_f32_e32 v4, 0x3fb8aa3b, v3
	s_mov_b32 s2, 0x3fb8aa3b
	v_rndne_f32_e32 v6, v4
	v_sub_f32_e32 v7, v4, v6
	v_fma_f32 v4, v3, s2, -v4
	v_fmac_f32_e32 v4, 0x32a5705f, v3
	v_add_f32_e32 v4, v7, v4
	v_exp_f32_e32 v4, v4
	v_cvt_i32_f32_e32 v6, v6
	s_mov_b32 s2, 0xc2ce8ed0
	v_cmp_ngt_f32_e32 vcc, s2, v3
	s_mov_b32 s2, 0x42b17218
	v_ldexp_f32 v4, v4, v6
	v_cndmask_b32_e32 v4, 0, v4, vcc
	v_mov_b32_e32 v6, 0x7f800000
	v_cmp_nlt_f32_e32 vcc, s2, v3
	v_cndmask_b32_e32 v3, v6, v4, vcc
	v_add_f32_e32 v3, 1.0, v3
	v_rcp_f32_e32 v3, v3
	v_fma_f32 v3, v3, -2.0, 1.0
.LBB109_56:
	s_andn2_saveexec_b64 s[0:1], s[0:1]
	s_cbranch_execz .LBB109_58
; %bb.57:
	v_mul_f32_e32 v3, v2, v2
	v_mov_b32_e32 v4, 0x3ca908c9
	v_fmac_f32_e32 v4, 0xbbbac73d, v3
	v_mov_b32_e32 v6, 0xbd5c1c4e
	v_fmac_f32_e32 v6, v3, v4
	;; [unrolled: 2-line block ×4, first 2 shown]
	v_mul_f32_e64 v4, |v2|, v6
	v_fma_f32 v3, v3, v4, |v2|
.LBB109_58:
	s_or_b64 exec, exec, s[0:1]
	s_brev_b32 s0, -2
	v_bfi_b32 v2, s0, v3, v2
	v_mul_f32_e32 v1, 0.5, v1
	v_add_f32_e32 v2, 1.0, v2
	v_mul_f32_e32 v1, v1, v2
	v_mul_f32_e32 v2, v0, v1
.LBB109_59:
	v_mov_b32_e32 v0, v2
.LBB109_60:
	s_load_dwordx2 s[0:1], s[4:5], 0x38
	s_mul_i32 s3, s22, s34
	s_mul_i32 s2, s26, s8
	s_add_i32 s3, s3, s16
	s_add_i32 s2, s3, s2
	s_mov_b32 s3, 0
	s_lshl_b64 s[2:3], s[2:3], 2
	s_waitcnt lgkmcnt(0)
	s_add_u32 s0, s0, s2
	s_addc_u32 s1, s1, s3
	global_store_dword v5, v0, s[0:1]
.LBB109_61:
	s_endpgm
	.section	.rodata,"a",@progbits
	.p2align	6, 0x0
	.amdhsa_kernel _ZL13mul_mat_vec_qIL9ggml_type11ELi1ELb1ELb1EEvPKvS2_PKi31ggml_cuda_mm_fusion_args_devicePfj15HIP_vector_typeIjLj3EEjjjS8_jjjS8_jjjj
		.amdhsa_group_segment_fixed_size 1024
		.amdhsa_private_segment_fixed_size 0
		.amdhsa_kernarg_size 144
		.amdhsa_user_sgpr_count 6
		.amdhsa_user_sgpr_private_segment_buffer 1
		.amdhsa_user_sgpr_dispatch_ptr 0
		.amdhsa_user_sgpr_queue_ptr 0
		.amdhsa_user_sgpr_kernarg_segment_ptr 1
		.amdhsa_user_sgpr_dispatch_id 0
		.amdhsa_user_sgpr_flat_scratch_init 0
		.amdhsa_user_sgpr_private_segment_size 0
		.amdhsa_uses_dynamic_stack 0
		.amdhsa_system_sgpr_private_segment_wavefront_offset 0
		.amdhsa_system_sgpr_workgroup_id_x 1
		.amdhsa_system_sgpr_workgroup_id_y 1
		.amdhsa_system_sgpr_workgroup_id_z 1
		.amdhsa_system_sgpr_workgroup_info 0
		.amdhsa_system_vgpr_workitem_id 1
		.amdhsa_next_free_vgpr 72
		.amdhsa_next_free_sgpr 44
		.amdhsa_reserve_vcc 1
		.amdhsa_reserve_flat_scratch 0
		.amdhsa_float_round_mode_32 0
		.amdhsa_float_round_mode_16_64 0
		.amdhsa_float_denorm_mode_32 3
		.amdhsa_float_denorm_mode_16_64 3
		.amdhsa_dx10_clamp 1
		.amdhsa_ieee_mode 1
		.amdhsa_fp16_overflow 0
		.amdhsa_exception_fp_ieee_invalid_op 0
		.amdhsa_exception_fp_denorm_src 0
		.amdhsa_exception_fp_ieee_div_zero 0
		.amdhsa_exception_fp_ieee_overflow 0
		.amdhsa_exception_fp_ieee_underflow 0
		.amdhsa_exception_fp_ieee_inexact 0
		.amdhsa_exception_int_div_zero 0
	.end_amdhsa_kernel
	.section	.text._ZL13mul_mat_vec_qIL9ggml_type11ELi1ELb1ELb1EEvPKvS2_PKi31ggml_cuda_mm_fusion_args_devicePfj15HIP_vector_typeIjLj3EEjjjS8_jjjS8_jjjj,"axG",@progbits,_ZL13mul_mat_vec_qIL9ggml_type11ELi1ELb1ELb1EEvPKvS2_PKi31ggml_cuda_mm_fusion_args_devicePfj15HIP_vector_typeIjLj3EEjjjS8_jjjS8_jjjj,comdat
.Lfunc_end109:
	.size	_ZL13mul_mat_vec_qIL9ggml_type11ELi1ELb1ELb1EEvPKvS2_PKi31ggml_cuda_mm_fusion_args_devicePfj15HIP_vector_typeIjLj3EEjjjS8_jjjS8_jjjj, .Lfunc_end109-_ZL13mul_mat_vec_qIL9ggml_type11ELi1ELb1ELb1EEvPKvS2_PKi31ggml_cuda_mm_fusion_args_devicePfj15HIP_vector_typeIjLj3EEjjjS8_jjjS8_jjjj
                                        ; -- End function
	.set _ZL13mul_mat_vec_qIL9ggml_type11ELi1ELb1ELb1EEvPKvS2_PKi31ggml_cuda_mm_fusion_args_devicePfj15HIP_vector_typeIjLj3EEjjjS8_jjjS8_jjjj.num_vgpr, 72
	.set _ZL13mul_mat_vec_qIL9ggml_type11ELi1ELb1ELb1EEvPKvS2_PKi31ggml_cuda_mm_fusion_args_devicePfj15HIP_vector_typeIjLj3EEjjjS8_jjjS8_jjjj.num_agpr, 0
	.set _ZL13mul_mat_vec_qIL9ggml_type11ELi1ELb1ELb1EEvPKvS2_PKi31ggml_cuda_mm_fusion_args_devicePfj15HIP_vector_typeIjLj3EEjjjS8_jjjS8_jjjj.numbered_sgpr, 44
	.set _ZL13mul_mat_vec_qIL9ggml_type11ELi1ELb1ELb1EEvPKvS2_PKi31ggml_cuda_mm_fusion_args_devicePfj15HIP_vector_typeIjLj3EEjjjS8_jjjS8_jjjj.num_named_barrier, 0
	.set _ZL13mul_mat_vec_qIL9ggml_type11ELi1ELb1ELb1EEvPKvS2_PKi31ggml_cuda_mm_fusion_args_devicePfj15HIP_vector_typeIjLj3EEjjjS8_jjjS8_jjjj.private_seg_size, 0
	.set _ZL13mul_mat_vec_qIL9ggml_type11ELi1ELb1ELb1EEvPKvS2_PKi31ggml_cuda_mm_fusion_args_devicePfj15HIP_vector_typeIjLj3EEjjjS8_jjjS8_jjjj.uses_vcc, 1
	.set _ZL13mul_mat_vec_qIL9ggml_type11ELi1ELb1ELb1EEvPKvS2_PKi31ggml_cuda_mm_fusion_args_devicePfj15HIP_vector_typeIjLj3EEjjjS8_jjjS8_jjjj.uses_flat_scratch, 0
	.set _ZL13mul_mat_vec_qIL9ggml_type11ELi1ELb1ELb1EEvPKvS2_PKi31ggml_cuda_mm_fusion_args_devicePfj15HIP_vector_typeIjLj3EEjjjS8_jjjS8_jjjj.has_dyn_sized_stack, 0
	.set _ZL13mul_mat_vec_qIL9ggml_type11ELi1ELb1ELb1EEvPKvS2_PKi31ggml_cuda_mm_fusion_args_devicePfj15HIP_vector_typeIjLj3EEjjjS8_jjjS8_jjjj.has_recursion, 0
	.set _ZL13mul_mat_vec_qIL9ggml_type11ELi1ELb1ELb1EEvPKvS2_PKi31ggml_cuda_mm_fusion_args_devicePfj15HIP_vector_typeIjLj3EEjjjS8_jjjS8_jjjj.has_indirect_call, 0
	.section	.AMDGPU.csdata,"",@progbits
; Kernel info:
; codeLenInByte = 5636
; TotalNumSgprs: 48
; NumVgprs: 72
; ScratchSize: 0
; MemoryBound: 0
; FloatMode: 240
; IeeeMode: 1
; LDSByteSize: 1024 bytes/workgroup (compile time only)
; SGPRBlocks: 5
; VGPRBlocks: 17
; NumSGPRsForWavesPerEU: 48
; NumVGPRsForWavesPerEU: 72
; Occupancy: 3
; WaveLimiterHint : 0
; COMPUTE_PGM_RSRC2:SCRATCH_EN: 0
; COMPUTE_PGM_RSRC2:USER_SGPR: 6
; COMPUTE_PGM_RSRC2:TRAP_HANDLER: 0
; COMPUTE_PGM_RSRC2:TGID_X_EN: 1
; COMPUTE_PGM_RSRC2:TGID_Y_EN: 1
; COMPUTE_PGM_RSRC2:TGID_Z_EN: 1
; COMPUTE_PGM_RSRC2:TIDIG_COMP_CNT: 1
	.section	.text._ZL13mul_mat_vec_qIL9ggml_type11ELi1ELb0ELb1EEvPKvS2_PKi31ggml_cuda_mm_fusion_args_devicePfj15HIP_vector_typeIjLj3EEjjjS8_jjjS8_jjjj,"axG",@progbits,_ZL13mul_mat_vec_qIL9ggml_type11ELi1ELb0ELb1EEvPKvS2_PKi31ggml_cuda_mm_fusion_args_devicePfj15HIP_vector_typeIjLj3EEjjjS8_jjjS8_jjjj,comdat
	.globl	_ZL13mul_mat_vec_qIL9ggml_type11ELi1ELb0ELb1EEvPKvS2_PKi31ggml_cuda_mm_fusion_args_devicePfj15HIP_vector_typeIjLj3EEjjjS8_jjjS8_jjjj ; -- Begin function _ZL13mul_mat_vec_qIL9ggml_type11ELi1ELb0ELb1EEvPKvS2_PKi31ggml_cuda_mm_fusion_args_devicePfj15HIP_vector_typeIjLj3EEjjjS8_jjjS8_jjjj
	.p2align	8
	.type	_ZL13mul_mat_vec_qIL9ggml_type11ELi1ELb0ELb1EEvPKvS2_PKi31ggml_cuda_mm_fusion_args_devicePfj15HIP_vector_typeIjLj3EEjjjS8_jjjS8_jjjj,@function
_ZL13mul_mat_vec_qIL9ggml_type11ELi1ELb0ELb1EEvPKvS2_PKi31ggml_cuda_mm_fusion_args_devicePfj15HIP_vector_typeIjLj3EEjjjS8_jjjS8_jjjj: ; @_ZL13mul_mat_vec_qIL9ggml_type11ELi1ELb0ELb1EEvPKvS2_PKi31ggml_cuda_mm_fusion_args_devicePfj15HIP_vector_typeIjLj3EEjjjS8_jjjS8_jjjj
; %bb.0:
	s_load_dwordx2 s[0:1], s[4:5], 0x10
	s_load_dwordx4 s[16:19], s[4:5], 0x40
	s_mov_b32 s10, s7
	s_mov_b64 s[14:15], 0
	s_waitcnt lgkmcnt(0)
	s_cmp_lg_u64 s[0:1], 0
	s_cselect_b64 s[12:13], -1, 0
	s_cmp_eq_u64 s[0:1], 0
	s_cbranch_scc1 .LBB110_5
; %bb.1:
	s_mov_b32 s11, 0
	s_lshl_b64 s[2:3], s[10:11], 2
	s_add_u32 s0, s0, s2
	s_addc_u32 s1, s1, s3
	s_load_dword s21, s[0:1], 0x0
	s_nop 0
	s_load_dwordx4 s[0:3], s[4:5], 0x68
	s_load_dword s20, s[4:5], 0x50
	s_andn2_b64 vcc, exec, s[14:15]
	s_cbranch_vccnz .LBB110_3
.LBB110_2:
	s_load_dwordx2 s[14:15], s[4:5], 0x5c
	s_waitcnt lgkmcnt(0)
	s_mul_hi_u32 s7, s14, s10
	s_add_i32 s7, s10, s7
	s_lshr_b32 s21, s7, s15
.LBB110_3:
	s_load_dword s22, s[4:5], 0x78
	s_andn2_b64 vcc, exec, s[12:13]
	s_cbranch_vccnz .LBB110_6
; %bb.4:
	s_mul_hi_u32 s7, s17, s10
	s_add_i32 s7, s10, s7
	s_lshr_b32 s7, s7, s18
	s_mul_i32 s7, s7, s19
	s_sub_i32 s23, s10, s7
	s_branch .LBB110_7
.LBB110_5:
                                        ; implicit-def: $sgpr21
	s_load_dwordx4 s[0:3], s[4:5], 0x68
	s_load_dword s20, s[4:5], 0x50
	s_branch .LBB110_2
.LBB110_6:
	s_mov_b32 s23, s10
.LBB110_7:
	s_load_dwordx4 s[12:15], s[4:5], 0x80
	v_lshl_add_u32 v2, v1, 6, v0
	s_lshr_b32 s11, s16, 8
	v_lshrrev_b32_e32 v6, 4, v2
	s_lshl_b32 s9, s6, 1
	v_cmp_gt_u32_e32 vcc, s11, v6
	v_mov_b32_e32 v5, 0
	v_mov_b32_e32 v4, 0
	s_and_saveexec_b64 s[6:7], vcc
	s_cbranch_execz .LBB110_11
; %bb.8:
	s_waitcnt lgkmcnt(0)
	s_mul_hi_u32 s3, s3, s8
	s_add_i32 s3, s8, s3
	s_lshr_b32 s3, s3, s22
	s_mul_i32 s0, s21, s0
	s_mul_i32 s3, s3, s12
	s_load_dwordx4 s[16:19], s[4:5], 0x0
	s_add_i32 s12, s0, s3
	v_lshrrev_b32_e32 v3, 1, v0
	s_mul_i32 s0, s9, s20
	v_and_b32_e32 v7, 4, v3
	v_and_b32_e32 v3, 7, v0
	s_add_i32 s3, s12, s0
	s_add_i32 s0, s9, 1
	v_lshrrev_b32_e32 v16, 4, v2
	v_bfe_u32 v2, v0, 3, 1
	v_lshlrev_b32_e32 v17, 1, v3
	s_mul_i32 s20, s20, s0
	v_lshlrev_b32_e32 v15, 2, v3
	v_mul_hi_u32_u24_e32 v3, 0x90, v2
	v_mul_u32_u24_e32 v2, 0x90, v2
	s_movk_i32 s0, 0x120
	s_mul_i32 s13, s13, s8
	s_mul_i32 s15, s23, s1
	v_mad_u64_u32 v[2:3], s[0:1], v16, s0, v[2:3]
	s_add_i32 s12, s12, s20
	s_mul_hi_u32 s1, s13, 36
	s_mul_i32 s13, s13, 36
	s_waitcnt lgkmcnt(0)
	s_add_u32 s13, s18, s13
	v_and_b32_e32 v9, 8, v0
	v_bfe_u32 v8, v0, 2, 1
	s_mul_hi_u32 s0, s15, 36
	s_mul_i32 s15, s15, 36
	s_addc_u32 s1, s19, s1
	v_or_b32_e32 v12, v8, v9
	s_add_u32 s13, s13, s15
	v_lshlrev_b32_e32 v4, 1, v0
	v_or_b32_e32 v14, 6, v12
	s_addc_u32 s0, s1, s0
	v_and_b32_e32 v5, 30, v4
	v_or_b32_e32 v11, 4, v12
	v_and_b32_e32 v12, 7, v14
	v_and_b32_e32 v13, 3, v14
	v_lshrrev_b32_e32 v14, 1, v14
	v_mov_b32_e32 v16, s0
	v_add_co_u32_e32 v2, vcc, s13, v2
	v_mov_b32_e32 v4, 0
	v_lshrrev_b32_e32 v9, 1, v9
	v_and_b32_e32 v10, 5, v11
	v_lshrrev_b32_e32 v11, 1, v11
	v_and_b32_e32 v14, 6, v14
	v_addc_co_u32_e32 v3, vcc, v16, v3, vcc
	s_mov_b64 s[0:1], 0
	s_movk_i32 s13, 0x6e
	v_lshlrev_b32_e32 v16, 1, v5
	v_lshlrev_b32_e32 v17, 1, v17
	v_mov_b32_e32 v5, 0
.LBB110_9:                              ; =>This Inner Loop Header: Depth=1
	v_add_co_u32_e32 v23, vcc, v2, v15
	v_addc_co_u32_e32 v24, vcc, 0, v3, vcc
	global_load_dword v28, v[23:24], off offset:4
	global_load_dword v27, v[2:3], off
	global_load_dword v26, v[23:24], off offset:40
	global_load_dword v25, v[2:3], off offset:36
	;; [unrolled: 1-line block ×6, first 2 shown]
	v_mov_b32_e32 v24, s17
	v_add_u32_e32 v20, s3, v6
	v_mov_b32_e32 v23, s16
	v_mad_i64_i32 v[29:30], s[18:19], v20, s13, v[23:24]
	v_add_co_u32_e32 v31, vcc, v29, v16
	v_addc_co_u32_e32 v32, vcc, 0, v30, vcc
	global_load_dword v33, v[31:32], off offset:32
	v_add_co_u32_e32 v31, vcc, v29, v17
	v_addc_co_u32_e32 v32, vcc, 0, v30, vcc
	global_load_ushort v20, v[29:30], off offset:108
	s_waitcnt vmcnt(1)
	v_bfe_u32 v38, v33, 24, 2
	global_load_dword v31, v[31:32], off
	s_waitcnt vmcnt(0)
	v_ashrrev_i32_e32 v31, v7, v31
	v_not_b32_e32 v34, v31
	v_add_co_u32_e32 v31, vcc, v29, v8
	v_addc_co_u32_e32 v32, vcc, 0, v30, vcc
	global_load_ubyte v35, v[31:32], off offset:96
	global_load_ubyte v36, v[31:32], off offset:104
	v_lshlrev_b32_e32 v39, 2, v34
	v_and_b32_e32 v39, 0x4040404, v39
	v_sub_u16_sdwa v38, v38, v39 dst_sel:BYTE_1 dst_unused:UNUSED_PAD src0_sel:DWORD src1_sel:BYTE_3
	s_waitcnt vmcnt(1)
	v_bfe_u32 v35, v35, v9, 4
	s_waitcnt vmcnt(0)
	v_lshrrev_b32_e32 v37, v9, v36
	v_lshlrev_b32_e32 v37, 4, v37
	v_and_or_b32 v35, v37, 48, v35
	v_and_b32_e32 v37, 0x3030303, v33
	v_sub_u16_e32 v40, v37, v39
	v_sub_u16_sdwa v41, v37, v39 dst_sel:BYTE_1 dst_unused:UNUSED_PAD src0_sel:BYTE_1 src1_sel:BYTE_1
	v_sub_u16_sdwa v37, v37, v39 dst_sel:DWORD dst_unused:UNUSED_PAD src0_sel:WORD_1 src1_sel:WORD_1
	v_or_b32_sdwa v40, v40, v41 dst_sel:DWORD dst_unused:UNUSED_PAD src0_sel:BYTE_0 src1_sel:DWORD
	v_or_b32_sdwa v37, v37, v38 dst_sel:WORD_1 dst_unused:UNUSED_PAD src0_sel:BYTE_0 src1_sel:DWORD
	v_or_b32_sdwa v37, v40, v37 dst_sel:DWORD dst_unused:UNUSED_PAD src0_sel:WORD_0 src1_sel:DWORD
	v_subrev_u32_e32 v35, 32, v35
	v_dot4_i32_i8 v37, v37, v28, 0
	v_mul_lo_u32 v35, v35, v37
	global_load_ubyte v37, v[31:32], off offset:98
	v_lshlrev_b32_e32 v38, 1, v34
	global_load_ubyte v31, v[31:32], off offset:106
	v_lshrrev_b32_e32 v32, 2, v33
	v_and_b32_e32 v38, 0x4040404, v38
	v_cvt_f32_i32_e32 v35, v35
	v_fma_mix_f32 v35, v27, v35, 0 op_sel_hi:[1,0,0]
	s_waitcnt vmcnt(1)
	v_bfe_u32 v37, v37, v9, 4
	s_waitcnt vmcnt(0)
	v_lshrrev_b32_e32 v31, v9, v31
	v_lshlrev_b32_e32 v31, 4, v31
	v_and_or_b32 v31, v31, 48, v37
	v_and_b32_e32 v37, 0x3030303, v32
	v_bfe_u32 v32, v32, 24, 2
	v_sub_u16_e32 v39, v37, v38
	v_sub_u16_sdwa v40, v37, v38 dst_sel:BYTE_1 dst_unused:UNUSED_PAD src0_sel:BYTE_1 src1_sel:BYTE_1
	v_sub_u16_sdwa v32, v32, v38 dst_sel:BYTE_1 dst_unused:UNUSED_PAD src0_sel:DWORD src1_sel:BYTE_3
	v_sub_u16_sdwa v37, v37, v38 dst_sel:DWORD dst_unused:UNUSED_PAD src0_sel:WORD_1 src1_sel:WORD_1
	v_or_b32_sdwa v39, v39, v40 dst_sel:DWORD dst_unused:UNUSED_PAD src0_sel:BYTE_0 src1_sel:DWORD
	v_or_b32_sdwa v32, v37, v32 dst_sel:WORD_1 dst_unused:UNUSED_PAD src0_sel:BYTE_0 src1_sel:DWORD
	v_or_b32_sdwa v32, v39, v32 dst_sel:DWORD dst_unused:UNUSED_PAD src0_sel:WORD_0 src1_sel:DWORD
	v_subrev_u32_e32 v31, 32, v31
	v_dot4_i32_i8 v32, v32, v26, 0
	v_mul_lo_u32 v31, v31, v32
	v_and_b32_e32 v37, 0x4040404, v34
	v_cvt_f32_i32_e32 v31, v31
	v_fma_mix_f32 v35, v25, v31, v35 op_sel_hi:[1,0,0]
	v_add_co_u32_e32 v31, vcc, v29, v10
	v_addc_co_u32_e32 v32, vcc, 0, v30, vcc
	global_load_ubyte v31, v[31:32], off offset:96
	v_lshrrev_b32_e32 v32, v11, v36
	v_lshlrev_b32_e32 v32, 4, v32
	s_waitcnt vmcnt(0)
	v_bfe_u32 v31, v31, v9, 4
	v_and_or_b32 v31, v32, 48, v31
	v_lshrrev_b32_e32 v32, 4, v33
	v_and_b32_e32 v36, 0x3030303, v32
	v_bfe_u32 v32, v32, 24, 2
	v_sub_u16_e32 v38, v36, v37
	v_sub_u16_sdwa v39, v36, v37 dst_sel:BYTE_1 dst_unused:UNUSED_PAD src0_sel:BYTE_1 src1_sel:BYTE_1
	v_sub_u16_sdwa v32, v32, v37 dst_sel:BYTE_1 dst_unused:UNUSED_PAD src0_sel:DWORD src1_sel:BYTE_3
	v_sub_u16_sdwa v36, v36, v37 dst_sel:DWORD dst_unused:UNUSED_PAD src0_sel:WORD_1 src1_sel:WORD_1
	v_or_b32_sdwa v38, v38, v39 dst_sel:DWORD dst_unused:UNUSED_PAD src0_sel:BYTE_0 src1_sel:DWORD
	v_or_b32_sdwa v32, v36, v32 dst_sel:WORD_1 dst_unused:UNUSED_PAD src0_sel:BYTE_0 src1_sel:DWORD
	v_or_b32_sdwa v32, v38, v32 dst_sel:DWORD dst_unused:UNUSED_PAD src0_sel:WORD_0 src1_sel:DWORD
	v_subrev_u32_e32 v31, 32, v31
	v_dot4_i32_i8 v32, v32, v22, 0
	v_mul_lo_u32 v31, v31, v32
	v_cvt_f32_i32_e32 v31, v31
	v_fma_mix_f32 v35, v21, v31, v35 op_sel_hi:[1,0,0]
	v_add_co_u32_e32 v31, vcc, v29, v12
	v_addc_co_u32_e32 v32, vcc, 0, v30, vcc
	v_add_co_u32_e32 v29, vcc, v29, v13
	v_addc_co_u32_e32 v30, vcc, 0, v30, vcc
	global_load_ubyte v31, v[31:32], off offset:96
	s_nop 0
	global_load_ubyte v29, v[29:30], off offset:104
	v_lshrrev_b32_e32 v30, 6, v33
	v_lshrrev_b32_e32 v32, 1, v34
	v_and_b32_e32 v30, 0x3030303, v30
	v_and_b32_e32 v32, 0x4040404, v32
	v_sub_u16_sdwa v34, v30, v32 dst_sel:BYTE_1 dst_unused:UNUSED_PAD src0_sel:BYTE_1 src1_sel:BYTE_1
	s_waitcnt vmcnt(1)
	v_bfe_u32 v31, v31, v9, 4
	s_waitcnt vmcnt(0)
	v_lshrrev_b32_e32 v29, v14, v29
	v_lshlrev_b32_e32 v29, 4, v29
	v_and_or_b32 v29, v29, 48, v31
	v_lshrrev_b32_e32 v31, 30, v33
	v_sub_u16_e32 v33, v30, v32
	v_sub_u16_sdwa v31, v31, v32 dst_sel:BYTE_1 dst_unused:UNUSED_PAD src0_sel:DWORD src1_sel:BYTE_3
	v_sub_u16_sdwa v30, v30, v32 dst_sel:DWORD dst_unused:UNUSED_PAD src0_sel:WORD_1 src1_sel:WORD_1
	v_or_b32_sdwa v33, v33, v34 dst_sel:DWORD dst_unused:UNUSED_PAD src0_sel:BYTE_0 src1_sel:DWORD
	v_or_b32_sdwa v30, v30, v31 dst_sel:WORD_1 dst_unused:UNUSED_PAD src0_sel:BYTE_0 src1_sel:DWORD
	v_or_b32_sdwa v30, v33, v30 dst_sel:DWORD dst_unused:UNUSED_PAD src0_sel:WORD_0 src1_sel:DWORD
	v_subrev_u32_e32 v29, 32, v29
	v_dot4_i32_i8 v30, v30, v19, 0
	v_mul_lo_u32 v29, v29, v30
	v_cvt_f32_i32_e32 v29, v29
	v_fma_mix_f32 v29, v18, v29, v35 op_sel_hi:[1,0,0]
	v_fma_mix_f32 v4, v29, v20, v4 op_sel_hi:[0,1,0]
	v_add_u32_e32 v20, s12, v6
	v_mad_i64_i32 v[29:30], s[18:19], v20, s13, v[23:24]
	v_add_u32_e32 v6, 8, v6
	v_add_co_u32_e32 v23, vcc, v29, v16
	v_addc_co_u32_e32 v24, vcc, 0, v30, vcc
	v_add_co_u32_e32 v31, vcc, v29, v17
	v_addc_co_u32_e32 v32, vcc, 0, v30, vcc
	global_load_ushort v20, v[29:30], off offset:108
	s_nop 0
	global_load_dword v23, v[23:24], off offset:32
	s_waitcnt vmcnt(0)
	v_bfe_u32 v36, v23, 24, 2
	global_load_dword v24, v[31:32], off
	v_add_co_u32_e32 v31, vcc, v29, v8
	v_addc_co_u32_e32 v32, vcc, 0, v30, vcc
	global_load_ubyte v33, v[31:32], off offset:96
	global_load_ubyte v34, v[31:32], off offset:104
	s_waitcnt vmcnt(2)
	v_ashrrev_i32_e32 v24, v7, v24
	v_not_b32_e32 v24, v24
	v_lshlrev_b32_e32 v37, 2, v24
	v_and_b32_e32 v37, 0x4040404, v37
	v_sub_u16_sdwa v36, v36, v37 dst_sel:BYTE_1 dst_unused:UNUSED_PAD src0_sel:DWORD src1_sel:BYTE_3
	s_waitcnt vmcnt(1)
	v_bfe_u32 v33, v33, v9, 4
	s_waitcnt vmcnt(0)
	v_lshrrev_b32_e32 v35, v9, v34
	v_lshlrev_b32_e32 v35, 4, v35
	v_and_or_b32 v33, v35, 48, v33
	v_and_b32_e32 v35, 0x3030303, v23
	v_sub_u16_e32 v38, v35, v37
	v_sub_u16_sdwa v39, v35, v37 dst_sel:BYTE_1 dst_unused:UNUSED_PAD src0_sel:BYTE_1 src1_sel:BYTE_1
	v_sub_u16_sdwa v35, v35, v37 dst_sel:DWORD dst_unused:UNUSED_PAD src0_sel:WORD_1 src1_sel:WORD_1
	v_or_b32_sdwa v38, v38, v39 dst_sel:DWORD dst_unused:UNUSED_PAD src0_sel:BYTE_0 src1_sel:DWORD
	v_or_b32_sdwa v35, v35, v36 dst_sel:WORD_1 dst_unused:UNUSED_PAD src0_sel:BYTE_0 src1_sel:DWORD
	v_or_b32_sdwa v35, v38, v35 dst_sel:DWORD dst_unused:UNUSED_PAD src0_sel:WORD_0 src1_sel:DWORD
	v_subrev_u32_e32 v33, 32, v33
	v_dot4_i32_i8 v28, v35, v28, 0
	v_mul_lo_u32 v28, v33, v28
	v_lshlrev_b32_e32 v33, 1, v24
	v_and_b32_e32 v33, 0x4040404, v33
	v_cvt_f32_i32_e32 v28, v28
	v_fma_mix_f32 v27, v27, v28, 0 op_sel_hi:[1,0,0]
	global_load_ubyte v28, v[31:32], off offset:98
	s_waitcnt vmcnt(0)
	v_bfe_u32 v28, v28, v9, 4
	global_load_ubyte v31, v[31:32], off offset:106
	s_waitcnt vmcnt(0)
	v_lshrrev_b32_e32 v31, v9, v31
	v_lshlrev_b32_e32 v31, 4, v31
	v_and_or_b32 v28, v31, 48, v28
	v_lshrrev_b32_e32 v31, 2, v23
	v_and_b32_e32 v32, 0x3030303, v31
	v_bfe_u32 v31, v31, 24, 2
	v_sub_u16_e32 v35, v32, v33
	v_sub_u16_sdwa v36, v32, v33 dst_sel:BYTE_1 dst_unused:UNUSED_PAD src0_sel:BYTE_1 src1_sel:BYTE_1
	v_sub_u16_sdwa v31, v31, v33 dst_sel:BYTE_1 dst_unused:UNUSED_PAD src0_sel:DWORD src1_sel:BYTE_3
	v_sub_u16_sdwa v32, v32, v33 dst_sel:DWORD dst_unused:UNUSED_PAD src0_sel:WORD_1 src1_sel:WORD_1
	v_or_b32_sdwa v35, v35, v36 dst_sel:DWORD dst_unused:UNUSED_PAD src0_sel:BYTE_0 src1_sel:DWORD
	v_or_b32_sdwa v31, v32, v31 dst_sel:WORD_1 dst_unused:UNUSED_PAD src0_sel:BYTE_0 src1_sel:DWORD
	v_or_b32_sdwa v31, v35, v31 dst_sel:DWORD dst_unused:UNUSED_PAD src0_sel:WORD_0 src1_sel:DWORD
	v_subrev_u32_e32 v28, 32, v28
	v_dot4_i32_i8 v26, v31, v26, 0
	v_mul_lo_u32 v26, v28, v26
	v_and_b32_e32 v31, 0x4040404, v24
	v_lshrrev_b32_e32 v24, 1, v24
	v_and_b32_e32 v24, 0x4040404, v24
	v_cvt_f32_i32_e32 v26, v26
	v_fma_mix_f32 v27, v25, v26, v27 op_sel_hi:[1,0,0]
	v_add_co_u32_e32 v25, vcc, v29, v10
	v_addc_co_u32_e32 v26, vcc, 0, v30, vcc
	global_load_ubyte v25, v[25:26], off offset:96
	v_lshrrev_b32_e32 v26, v11, v34
	v_lshlrev_b32_e32 v26, 4, v26
	s_waitcnt vmcnt(0)
	v_bfe_u32 v25, v25, v9, 4
	v_and_or_b32 v25, v26, 48, v25
	v_lshrrev_b32_e32 v26, 4, v23
	v_and_b32_e32 v28, 0x3030303, v26
	v_bfe_u32 v26, v26, 24, 2
	v_sub_u16_e32 v32, v28, v31
	v_sub_u16_sdwa v33, v28, v31 dst_sel:BYTE_1 dst_unused:UNUSED_PAD src0_sel:BYTE_1 src1_sel:BYTE_1
	v_sub_u16_sdwa v26, v26, v31 dst_sel:BYTE_1 dst_unused:UNUSED_PAD src0_sel:DWORD src1_sel:BYTE_3
	v_sub_u16_sdwa v28, v28, v31 dst_sel:DWORD dst_unused:UNUSED_PAD src0_sel:WORD_1 src1_sel:WORD_1
	v_or_b32_sdwa v32, v32, v33 dst_sel:DWORD dst_unused:UNUSED_PAD src0_sel:BYTE_0 src1_sel:DWORD
	v_or_b32_sdwa v26, v28, v26 dst_sel:WORD_1 dst_unused:UNUSED_PAD src0_sel:BYTE_0 src1_sel:DWORD
	v_or_b32_sdwa v26, v32, v26 dst_sel:DWORD dst_unused:UNUSED_PAD src0_sel:WORD_0 src1_sel:DWORD
	v_subrev_u32_e32 v25, 32, v25
	v_dot4_i32_i8 v22, v26, v22, 0
	v_mul_lo_u32 v22, v25, v22
	v_add_co_u32_e32 v25, vcc, v29, v12
	v_addc_co_u32_e32 v26, vcc, 0, v30, vcc
	v_cvt_f32_i32_e32 v22, v22
	v_fma_mix_f32 v21, v21, v22, v27 op_sel_hi:[1,0,0]
	global_load_ubyte v22, v[25:26], off offset:96
	v_add_co_u32_e32 v25, vcc, v29, v13
	v_addc_co_u32_e32 v26, vcc, 0, v30, vcc
	global_load_ubyte v25, v[25:26], off offset:104
	v_add_co_u32_e32 v2, vcc, 0x900, v2
	v_addc_co_u32_e32 v3, vcc, 0, v3, vcc
	v_cmp_le_u32_e32 vcc, s11, v6
	s_or_b64 s[0:1], vcc, s[0:1]
	s_waitcnt vmcnt(1)
	v_bfe_u32 v22, v22, v9, 4
	s_waitcnt vmcnt(0)
	v_lshrrev_b32_e32 v25, v14, v25
	v_lshlrev_b32_e32 v25, 4, v25
	v_and_or_b32 v22, v25, 48, v22
	v_lshrrev_b32_e32 v25, 6, v23
	v_and_b32_e32 v25, 0x3030303, v25
	v_lshrrev_b32_e32 v23, 30, v23
	v_sub_u16_e32 v26, v25, v24
	v_sub_u16_sdwa v27, v25, v24 dst_sel:BYTE_1 dst_unused:UNUSED_PAD src0_sel:BYTE_1 src1_sel:BYTE_1
	v_sub_u16_sdwa v23, v23, v24 dst_sel:BYTE_1 dst_unused:UNUSED_PAD src0_sel:DWORD src1_sel:BYTE_3
	v_sub_u16_sdwa v24, v25, v24 dst_sel:DWORD dst_unused:UNUSED_PAD src0_sel:WORD_1 src1_sel:WORD_1
	v_or_b32_sdwa v26, v26, v27 dst_sel:DWORD dst_unused:UNUSED_PAD src0_sel:BYTE_0 src1_sel:DWORD
	v_or_b32_sdwa v23, v24, v23 dst_sel:WORD_1 dst_unused:UNUSED_PAD src0_sel:BYTE_0 src1_sel:DWORD
	v_or_b32_sdwa v23, v26, v23 dst_sel:DWORD dst_unused:UNUSED_PAD src0_sel:WORD_0 src1_sel:DWORD
	v_subrev_u32_e32 v22, 32, v22
	v_dot4_i32_i8 v19, v23, v19, 0
	v_mul_lo_u32 v19, v22, v19
	v_cvt_f32_i32_e32 v19, v19
	v_fma_mix_f32 v18, v18, v19, v21 op_sel_hi:[1,0,0]
	v_fma_mix_f32 v5, v18, v20, v5 op_sel_hi:[0,1,0]
	s_andn2_b64 exec, exec, s[0:1]
	s_cbranch_execnz .LBB110_9
; %bb.10:
	s_or_b64 exec, exec, s[0:1]
.LBB110_11:
	s_or_b64 exec, exec, s[6:7]
	v_cmp_eq_u32_e32 vcc, 0, v1
	s_waitcnt lgkmcnt(0)
	v_cmp_ne_u32_e64 s[0:1], 0, v1
	v_lshlrev_b32_e32 v2, 2, v0
	s_and_saveexec_b64 s[6:7], s[0:1]
; %bb.12:
	v_lshl_or_b32 v1, v1, 9, v2
	v_add_u32_e32 v1, 0xfffffe00, v1
	ds_write2st64_b32 v1, v4, v5 offset1:1
; %bb.13:
	s_or_b64 exec, exec, s[6:7]
	s_waitcnt lgkmcnt(0)
	s_barrier
	s_and_saveexec_b64 s[0:1], vcc
	s_cbranch_execz .LBB110_16
; %bb.14:
	v_mbcnt_lo_u32_b32 v1, -1, 0
	v_mbcnt_hi_u32_b32 v1, -1, v1
	v_and_b32_e32 v3, 64, v1
	v_add_u32_e32 v3, 64, v3
	v_xor_b32_e32 v6, 32, v1
	v_cmp_lt_i32_e32 vcc, v6, v3
	v_cndmask_b32_e32 v6, v1, v6, vcc
	v_lshlrev_b32_e32 v8, 2, v6
	v_xor_b32_e32 v6, 16, v1
	v_cmp_lt_i32_e32 vcc, v6, v3
	v_cndmask_b32_e32 v6, v1, v6, vcc
	v_lshlrev_b32_e32 v9, 2, v6
	ds_read2st64_b32 v[6:7], v2 offset1:1
	v_xor_b32_e32 v10, 8, v1
	v_cmp_lt_i32_e32 vcc, v10, v3
	v_cndmask_b32_e32 v10, v1, v10, vcc
	v_lshlrev_b32_e32 v10, 2, v10
	s_waitcnt lgkmcnt(0)
	v_add_f32_e32 v4, v4, v6
	v_add_f32_e32 v5, v5, v7
	ds_bpermute_b32 v6, v8, v4
	ds_bpermute_b32 v7, v8, v5
	v_xor_b32_e32 v11, 4, v1
	v_cmp_lt_i32_e32 vcc, v11, v3
	v_cndmask_b32_e32 v8, v1, v11, vcc
	s_waitcnt lgkmcnt(1)
	v_add_f32_e32 v4, v4, v6
	s_waitcnt lgkmcnt(0)
	v_add_f32_e32 v5, v5, v7
	ds_bpermute_b32 v6, v9, v4
	ds_bpermute_b32 v7, v9, v5
	v_lshlrev_b32_e32 v8, 2, v8
	v_xor_b32_e32 v9, 2, v1
	v_cmp_lt_i32_e32 vcc, v9, v3
	s_waitcnt lgkmcnt(1)
	v_add_f32_e32 v4, v4, v6
	s_waitcnt lgkmcnt(0)
	v_add_f32_e32 v5, v5, v7
	ds_bpermute_b32 v6, v10, v4
	ds_bpermute_b32 v7, v10, v5
	v_cndmask_b32_e32 v9, v1, v9, vcc
	s_load_dword s0, s[4:5], 0x58
	s_mov_b32 s3, 0
	s_waitcnt lgkmcnt(0)
	v_add_f32_e32 v4, v4, v6
	v_add_f32_e32 v5, v5, v7
	ds_bpermute_b32 v6, v8, v4
	ds_bpermute_b32 v7, v8, v5
	v_lshlrev_b32_e32 v8, 2, v9
	v_xor_b32_e32 v9, 1, v1
	v_cmp_lt_i32_e32 vcc, v9, v3
	s_waitcnt lgkmcnt(1)
	v_add_f32_e32 v4, v4, v6
	s_waitcnt lgkmcnt(0)
	v_add_f32_e32 v5, v5, v7
	ds_bpermute_b32 v6, v8, v4
	ds_bpermute_b32 v7, v8, v5
	v_cndmask_b32_e32 v1, v1, v9, vcc
	v_lshlrev_b32_e32 v8, 2, v1
	s_waitcnt lgkmcnt(1)
	v_add_f32_e32 v1, v4, v6
	s_waitcnt lgkmcnt(0)
	v_add_f32_e32 v4, v5, v7
	ds_bpermute_b32 v3, v8, v1
	ds_bpermute_b32 v5, v8, v4
	v_or_b32_e32 v6, s9, v0
	v_cmp_gt_u32_e32 vcc, s0, v6
	v_cmp_gt_u32_e64 s[0:1], 2, v0
	s_and_b64 s[0:1], s[0:1], vcc
	s_and_b64 exec, exec, s[0:1]
	s_cbranch_execz .LBB110_16
; %bb.15:
	s_load_dwordx2 s[0:1], s[4:5], 0x38
	s_mul_i32 s2, s2, s10
	s_add_i32 s2, s2, s9
	s_mul_i32 s4, s14, s8
	s_add_i32 s2, s2, s4
	s_lshl_b64 s[2:3], s[2:3], 2
	s_waitcnt lgkmcnt(0)
	s_add_u32 s0, s0, s2
	v_add_f32_e32 v4, v4, v5
	v_add_f32_e32 v1, v1, v3
	v_cmp_eq_u32_e32 vcc, 1, v0
	s_addc_u32 s1, s1, s3
	v_cndmask_b32_e32 v0, v1, v4, vcc
	global_store_dword v2, v0, s[0:1]
.LBB110_16:
	s_endpgm
	.section	.rodata,"a",@progbits
	.p2align	6, 0x0
	.amdhsa_kernel _ZL13mul_mat_vec_qIL9ggml_type11ELi1ELb0ELb1EEvPKvS2_PKi31ggml_cuda_mm_fusion_args_devicePfj15HIP_vector_typeIjLj3EEjjjS8_jjjS8_jjjj
		.amdhsa_group_segment_fixed_size 512
		.amdhsa_private_segment_fixed_size 0
		.amdhsa_kernarg_size 144
		.amdhsa_user_sgpr_count 6
		.amdhsa_user_sgpr_private_segment_buffer 1
		.amdhsa_user_sgpr_dispatch_ptr 0
		.amdhsa_user_sgpr_queue_ptr 0
		.amdhsa_user_sgpr_kernarg_segment_ptr 1
		.amdhsa_user_sgpr_dispatch_id 0
		.amdhsa_user_sgpr_flat_scratch_init 0
		.amdhsa_user_sgpr_private_segment_size 0
		.amdhsa_uses_dynamic_stack 0
		.amdhsa_system_sgpr_private_segment_wavefront_offset 0
		.amdhsa_system_sgpr_workgroup_id_x 1
		.amdhsa_system_sgpr_workgroup_id_y 1
		.amdhsa_system_sgpr_workgroup_id_z 1
		.amdhsa_system_sgpr_workgroup_info 0
		.amdhsa_system_vgpr_workitem_id 1
		.amdhsa_next_free_vgpr 42
		.amdhsa_next_free_sgpr 24
		.amdhsa_reserve_vcc 1
		.amdhsa_reserve_flat_scratch 0
		.amdhsa_float_round_mode_32 0
		.amdhsa_float_round_mode_16_64 0
		.amdhsa_float_denorm_mode_32 3
		.amdhsa_float_denorm_mode_16_64 3
		.amdhsa_dx10_clamp 1
		.amdhsa_ieee_mode 1
		.amdhsa_fp16_overflow 0
		.amdhsa_exception_fp_ieee_invalid_op 0
		.amdhsa_exception_fp_denorm_src 0
		.amdhsa_exception_fp_ieee_div_zero 0
		.amdhsa_exception_fp_ieee_overflow 0
		.amdhsa_exception_fp_ieee_underflow 0
		.amdhsa_exception_fp_ieee_inexact 0
		.amdhsa_exception_int_div_zero 0
	.end_amdhsa_kernel
	.section	.text._ZL13mul_mat_vec_qIL9ggml_type11ELi1ELb0ELb1EEvPKvS2_PKi31ggml_cuda_mm_fusion_args_devicePfj15HIP_vector_typeIjLj3EEjjjS8_jjjS8_jjjj,"axG",@progbits,_ZL13mul_mat_vec_qIL9ggml_type11ELi1ELb0ELb1EEvPKvS2_PKi31ggml_cuda_mm_fusion_args_devicePfj15HIP_vector_typeIjLj3EEjjjS8_jjjS8_jjjj,comdat
.Lfunc_end110:
	.size	_ZL13mul_mat_vec_qIL9ggml_type11ELi1ELb0ELb1EEvPKvS2_PKi31ggml_cuda_mm_fusion_args_devicePfj15HIP_vector_typeIjLj3EEjjjS8_jjjS8_jjjj, .Lfunc_end110-_ZL13mul_mat_vec_qIL9ggml_type11ELi1ELb0ELb1EEvPKvS2_PKi31ggml_cuda_mm_fusion_args_devicePfj15HIP_vector_typeIjLj3EEjjjS8_jjjS8_jjjj
                                        ; -- End function
	.set _ZL13mul_mat_vec_qIL9ggml_type11ELi1ELb0ELb1EEvPKvS2_PKi31ggml_cuda_mm_fusion_args_devicePfj15HIP_vector_typeIjLj3EEjjjS8_jjjS8_jjjj.num_vgpr, 42
	.set _ZL13mul_mat_vec_qIL9ggml_type11ELi1ELb0ELb1EEvPKvS2_PKi31ggml_cuda_mm_fusion_args_devicePfj15HIP_vector_typeIjLj3EEjjjS8_jjjS8_jjjj.num_agpr, 0
	.set _ZL13mul_mat_vec_qIL9ggml_type11ELi1ELb0ELb1EEvPKvS2_PKi31ggml_cuda_mm_fusion_args_devicePfj15HIP_vector_typeIjLj3EEjjjS8_jjjS8_jjjj.numbered_sgpr, 24
	.set _ZL13mul_mat_vec_qIL9ggml_type11ELi1ELb0ELb1EEvPKvS2_PKi31ggml_cuda_mm_fusion_args_devicePfj15HIP_vector_typeIjLj3EEjjjS8_jjjS8_jjjj.num_named_barrier, 0
	.set _ZL13mul_mat_vec_qIL9ggml_type11ELi1ELb0ELb1EEvPKvS2_PKi31ggml_cuda_mm_fusion_args_devicePfj15HIP_vector_typeIjLj3EEjjjS8_jjjS8_jjjj.private_seg_size, 0
	.set _ZL13mul_mat_vec_qIL9ggml_type11ELi1ELb0ELb1EEvPKvS2_PKi31ggml_cuda_mm_fusion_args_devicePfj15HIP_vector_typeIjLj3EEjjjS8_jjjS8_jjjj.uses_vcc, 1
	.set _ZL13mul_mat_vec_qIL9ggml_type11ELi1ELb0ELb1EEvPKvS2_PKi31ggml_cuda_mm_fusion_args_devicePfj15HIP_vector_typeIjLj3EEjjjS8_jjjS8_jjjj.uses_flat_scratch, 0
	.set _ZL13mul_mat_vec_qIL9ggml_type11ELi1ELb0ELb1EEvPKvS2_PKi31ggml_cuda_mm_fusion_args_devicePfj15HIP_vector_typeIjLj3EEjjjS8_jjjS8_jjjj.has_dyn_sized_stack, 0
	.set _ZL13mul_mat_vec_qIL9ggml_type11ELi1ELb0ELb1EEvPKvS2_PKi31ggml_cuda_mm_fusion_args_devicePfj15HIP_vector_typeIjLj3EEjjjS8_jjjS8_jjjj.has_recursion, 0
	.set _ZL13mul_mat_vec_qIL9ggml_type11ELi1ELb0ELb1EEvPKvS2_PKi31ggml_cuda_mm_fusion_args_devicePfj15HIP_vector_typeIjLj3EEjjjS8_jjjS8_jjjj.has_indirect_call, 0
	.section	.AMDGPU.csdata,"",@progbits
; Kernel info:
; codeLenInByte = 2584
; TotalNumSgprs: 28
; NumVgprs: 42
; ScratchSize: 0
; MemoryBound: 0
; FloatMode: 240
; IeeeMode: 1
; LDSByteSize: 512 bytes/workgroup (compile time only)
; SGPRBlocks: 3
; VGPRBlocks: 10
; NumSGPRsForWavesPerEU: 28
; NumVGPRsForWavesPerEU: 42
; Occupancy: 5
; WaveLimiterHint : 0
; COMPUTE_PGM_RSRC2:SCRATCH_EN: 0
; COMPUTE_PGM_RSRC2:USER_SGPR: 6
; COMPUTE_PGM_RSRC2:TRAP_HANDLER: 0
; COMPUTE_PGM_RSRC2:TGID_X_EN: 1
; COMPUTE_PGM_RSRC2:TGID_Y_EN: 1
; COMPUTE_PGM_RSRC2:TGID_Z_EN: 1
; COMPUTE_PGM_RSRC2:TIDIG_COMP_CNT: 1
	.section	.text._ZL13mul_mat_vec_qIL9ggml_type11ELi1ELb1ELb0EEvPKvS2_PKi31ggml_cuda_mm_fusion_args_devicePfj15HIP_vector_typeIjLj3EEjjjS8_jjjS8_jjjj,"axG",@progbits,_ZL13mul_mat_vec_qIL9ggml_type11ELi1ELb1ELb0EEvPKvS2_PKi31ggml_cuda_mm_fusion_args_devicePfj15HIP_vector_typeIjLj3EEjjjS8_jjjS8_jjjj,comdat
	.globl	_ZL13mul_mat_vec_qIL9ggml_type11ELi1ELb1ELb0EEvPKvS2_PKi31ggml_cuda_mm_fusion_args_devicePfj15HIP_vector_typeIjLj3EEjjjS8_jjjS8_jjjj ; -- Begin function _ZL13mul_mat_vec_qIL9ggml_type11ELi1ELb1ELb0EEvPKvS2_PKi31ggml_cuda_mm_fusion_args_devicePfj15HIP_vector_typeIjLj3EEjjjS8_jjjS8_jjjj
	.p2align	8
	.type	_ZL13mul_mat_vec_qIL9ggml_type11ELi1ELb1ELb0EEvPKvS2_PKi31ggml_cuda_mm_fusion_args_devicePfj15HIP_vector_typeIjLj3EEjjjS8_jjjS8_jjjj,@function
_ZL13mul_mat_vec_qIL9ggml_type11ELi1ELb1ELb0EEvPKvS2_PKi31ggml_cuda_mm_fusion_args_devicePfj15HIP_vector_typeIjLj3EEjjjS8_jjjS8_jjjj: ; @_ZL13mul_mat_vec_qIL9ggml_type11ELi1ELb1ELb0EEvPKvS2_PKi31ggml_cuda_mm_fusion_args_devicePfj15HIP_vector_typeIjLj3EEjjjS8_jjjS8_jjjj
; %bb.0:
	s_load_dwordx8 s[12:19], s[4:5], 0x0
	s_load_dwordx4 s[28:31], s[4:5], 0x20
	s_load_dwordx4 s[36:39], s[4:5], 0x40
	;; [unrolled: 1-line block ×3, first 2 shown]
	s_mov_b32 s34, s7
	s_waitcnt lgkmcnt(0)
	s_cmp_lg_u64 s[16:17], 0
	s_cselect_b64 s[0:1], -1, 0
	s_cmp_eq_u64 s[16:17], 0
	s_mov_b64 s[2:3], 0
	s_cbranch_scc1 .LBB111_5
; %bb.1:
	s_mov_b32 s35, 0
	s_lshl_b64 s[10:11], s[34:35], 2
	s_add_u32 s10, s16, s10
	s_addc_u32 s11, s17, s11
	s_load_dword s9, s[10:11], 0x0
	s_load_dword s33, s[4:5], 0x50
	;; [unrolled: 1-line block ×3, first 2 shown]
	s_andn2_b64 vcc, exec, s[2:3]
	s_cbranch_vccnz .LBB111_3
.LBB111_2:
	s_load_dwordx2 s[2:3], s[4:5], 0x5c
	s_waitcnt lgkmcnt(0)
	s_mul_hi_u32 s2, s2, s34
	s_add_i32 s2, s34, s2
	s_lshr_b32 s9, s2, s3
.LBB111_3:
	s_andn2_b64 vcc, exec, s[0:1]
	s_cbranch_vccnz .LBB111_6
; %bb.4:
	s_mul_hi_u32 s0, s37, s34
	s_add_i32 s0, s34, s0
	s_lshr_b32 s0, s0, s38
	s_mul_i32 s0, s0, s39
	s_sub_i32 s37, s34, s0
	s_waitcnt lgkmcnt(0)
	s_mov_b32 s2, s9
	s_branch .LBB111_7
.LBB111_5:
                                        ; implicit-def: $sgpr9
	s_load_dword s33, s[4:5], 0x50
	s_load_dword s35, s[4:5], 0x78
	s_branch .LBB111_2
.LBB111_6:
	s_mov_b32 s2, s34
	s_mov_b32 s37, s34
.LBB111_7:
	s_load_dwordx4 s[24:27], s[4:5], 0x80
	s_cmp_lg_u64 s[18:19], 0
	v_or_b32_e32 v2, v0, v1
	s_cselect_b64 s[0:1], -1, 0
	v_cmp_eq_u32_e32 vcc, 0, v2
	s_mov_b32 s17, 0
	s_and_b64 s[38:39], s[0:1], vcc
	v_mov_b32_e32 v5, 0
	s_mul_i32 s10, s2, s22
	v_lshlrev_b32_e32 v4, 2, v0
	v_mov_b32_e32 v6, 0
	s_and_saveexec_b64 s[2:3], s[38:39]
	s_cbranch_execz .LBB111_9
; %bb.8:
	s_waitcnt lgkmcnt(0)
	s_mul_i32 s16, s26, s8
	s_lshl_b64 s[38:39], s[16:17], 2
	s_add_u32 s7, s18, s38
	s_mov_b32 s11, s17
	s_addc_u32 s18, s19, s39
	s_lshl_b64 s[16:17], s[10:11], 2
	s_add_u32 s11, s7, s16
	s_addc_u32 s18, s18, s17
	s_ashr_i32 s7, s6, 31
	s_lshl_b64 s[16:17], s[6:7], 2
	s_add_u32 s16, s11, s16
	s_addc_u32 s17, s18, s17
	global_load_dword v6, v4, s[16:17]
.LBB111_9:
	s_or_b64 exec, exec, s[2:3]
	s_cmp_lg_u64 s[28:29], 0
	s_cselect_b64 s[16:17], -1, 0
	s_cmp_lg_u64 s[30:31], 0
	s_cselect_b64 s[2:3], -1, 0
	s_and_b64 s[18:19], s[2:3], s[16:17]
	s_and_b64 s[38:39], s[18:19], vcc
	s_and_saveexec_b64 s[18:19], s[38:39]
	s_cbranch_execz .LBB111_11
; %bb.10:
	s_waitcnt lgkmcnt(0)
	s_mul_i32 s38, s26, s8
	s_mov_b32 s39, 0
	s_lshl_b64 s[40:41], s[38:39], 2
	s_add_u32 s7, s30, s40
	s_mov_b32 s11, s39
	s_addc_u32 s27, s31, s41
	s_lshl_b64 s[10:11], s[10:11], 2
	s_add_u32 s30, s7, s10
	s_addc_u32 s27, s27, s11
	s_ashr_i32 s7, s6, 31
	s_lshl_b64 s[10:11], s[6:7], 2
	s_add_u32 s10, s30, s10
	s_addc_u32 s11, s27, s11
	global_load_dword v5, v4, s[10:11]
.LBB111_11:
	s_or_b64 exec, exec, s[18:19]
	v_lshl_add_u32 v2, v1, 6, v0
	s_lshr_b32 s7, s36, 8
	v_lshrrev_b32_e32 v9, 4, v2
	v_cmp_gt_u32_e32 vcc, s7, v9
	v_mov_b32_e32 v8, 0
	v_mov_b32_e32 v7, 0
	s_and_saveexec_b64 s[18:19], vcc
	s_cbranch_execz .LBB111_17
; %bb.12:
	s_mul_hi_u32 s10, s23, s8
	s_add_i32 s10, s8, s10
	s_waitcnt lgkmcnt(0)
	s_lshr_b32 s10, s10, s35
	s_mul_i32 s33, s33, s6
	s_mul_i32 s10, s10, s24
	v_lshrrev_b32_e32 v3, 1, v0
	s_mul_i32 s9, s9, s20
	s_add_i32 s10, s10, s33
	v_and_b32_e32 v10, 4, v3
	v_and_b32_e32 v3, 7, v0
	v_lshlrev_b32_e32 v7, 1, v0
	v_lshrrev_b32_e32 v20, 4, v2
	v_bfe_u32 v2, v0, 3, 1
	s_add_i32 s9, s9, s10
	v_and_b32_e32 v11, 30, v7
	v_lshlrev_b32_e32 v7, 1, v3
	v_lshlrev_b32_e32 v19, 2, v3
	v_mul_hi_u32_u24_e32 v3, 0x90, v2
	v_mul_u32_u24_e32 v2, 0x90, v2
	s_movk_i32 s10, 0x120
	s_mul_i32 s20, s25, s8
	v_mad_u64_u32 v[2:3], s[10:11], v20, s10, v[2:3]
	s_mul_hi_u32 s11, s20, 36
	s_mul_i32 s20, s20, 36
	s_mul_i32 s21, s37, s21
	s_add_u32 s14, s14, s20
	v_and_b32_e32 v13, 8, v0
	v_bfe_u32 v12, v0, 2, 1
	s_mul_hi_u32 s10, s21, 36
	s_mul_i32 s21, s21, 36
	s_addc_u32 s11, s15, s11
	v_or_b32_e32 v16, v12, v13
	s_add_u32 s14, s14, s21
	v_or_b32_e32 v18, 6, v16
	s_addc_u32 s10, s11, s10
	v_or_b32_e32 v15, 4, v16
	v_and_b32_e32 v16, 7, v18
	v_and_b32_e32 v17, 3, v18
	v_lshrrev_b32_e32 v18, 1, v18
	v_mov_b32_e32 v20, s10
	v_add_co_u32_e32 v2, vcc, s14, v2
	v_mov_b32_e32 v8, 0
	v_lshrrev_b32_e32 v13, 1, v13
	v_and_b32_e32 v14, 5, v15
	v_lshrrev_b32_e32 v15, 1, v15
	v_and_b32_e32 v18, 6, v18
	v_addc_co_u32_e32 v3, vcc, v20, v3, vcc
	s_mov_b64 s[14:15], 0
	s_movk_i32 s20, 0x6e
	v_lshlrev_b32_e32 v20, 1, v7
	v_mov_b32_e32 v7, 0
	s_branch .LBB111_14
.LBB111_13:                             ;   in Loop: Header=BB111_14 Depth=1
	v_ashrrev_i32_e32 v35, v10, v35
	v_not_b32_e32 v35, v35
	s_waitcnt vmcnt(1)
	v_and_b32_e32 v38, 0xff, v38
	v_lshrrev_b32_sdwa v39, v13, v33 dst_sel:DWORD dst_unused:UNUSED_PAD src0_sel:DWORD src1_sel:BYTE_0
	v_bfe_u32 v38, v38, v13, 4
	v_lshlrev_b32_e32 v39, 4, v39
	v_lshlrev_b32_e32 v41, 2, v35
	v_and_or_b32 v38, v39, 48, v38
	v_and_b32_e32 v39, 0x3030303, v22
	v_bfe_u32 v40, v22, 24, 2
	v_and_b32_e32 v41, 0x4040404, v41
	v_sub_u16_e32 v42, v39, v41
	v_sub_u16_sdwa v43, v39, v41 dst_sel:BYTE_1 dst_unused:UNUSED_PAD src0_sel:BYTE_1 src1_sel:BYTE_1
	v_sub_u16_sdwa v39, v39, v41 dst_sel:DWORD dst_unused:UNUSED_PAD src0_sel:WORD_1 src1_sel:WORD_1
	v_sub_u16_sdwa v40, v40, v41 dst_sel:BYTE_1 dst_unused:UNUSED_PAD src0_sel:DWORD src1_sel:BYTE_3
	v_or_b32_sdwa v42, v42, v43 dst_sel:DWORD dst_unused:UNUSED_PAD src0_sel:BYTE_0 src1_sel:DWORD
	v_or_b32_sdwa v39, v39, v40 dst_sel:WORD_1 dst_unused:UNUSED_PAD src0_sel:BYTE_0 src1_sel:DWORD
	s_waitcnt vmcnt(0)
	v_and_b32_e32 v37, 0xff, v37
	v_lshrrev_b32_sdwa v36, v13, v36 dst_sel:DWORD dst_unused:UNUSED_PAD src0_sel:DWORD src1_sel:BYTE_0
	v_or_b32_sdwa v39, v42, v39 dst_sel:DWORD dst_unused:UNUSED_PAD src0_sel:WORD_0 src1_sel:DWORD
	v_bfe_u32 v37, v37, v13, 4
	v_lshlrev_b32_e32 v36, 4, v36
	v_subrev_u32_e32 v38, 32, v38
	v_dot4_i32_i8 v34, v39, v34, 0
	v_and_or_b32 v36, v36, 48, v37
	v_lshrrev_b32_e32 v37, 2, v22
	v_lshlrev_b32_e32 v39, 1, v35
	v_mul_lo_u32 v34, v38, v34
	v_and_b32_e32 v38, 0x3030303, v37
	v_bfe_u32 v37, v37, 24, 2
	v_and_b32_e32 v39, 0x4040404, v39
	v_sub_u16_e32 v40, v38, v39
	v_sub_u16_sdwa v41, v38, v39 dst_sel:BYTE_1 dst_unused:UNUSED_PAD src0_sel:BYTE_1 src1_sel:BYTE_1
	v_sub_u16_sdwa v37, v37, v39 dst_sel:BYTE_1 dst_unused:UNUSED_PAD src0_sel:DWORD src1_sel:BYTE_3
	v_sub_u16_sdwa v38, v38, v39 dst_sel:DWORD dst_unused:UNUSED_PAD src0_sel:WORD_1 src1_sel:WORD_1
	v_or_b32_sdwa v40, v40, v41 dst_sel:DWORD dst_unused:UNUSED_PAD src0_sel:BYTE_0 src1_sel:DWORD
	v_or_b32_sdwa v37, v38, v37 dst_sel:WORD_1 dst_unused:UNUSED_PAD src0_sel:BYTE_0 src1_sel:DWORD
	v_and_b32_e32 v32, 0xff, v32
	v_lshrrev_b32_sdwa v33, v15, v33 dst_sel:DWORD dst_unused:UNUSED_PAD src0_sel:DWORD src1_sel:BYTE_0
	v_or_b32_sdwa v37, v40, v37 dst_sel:DWORD dst_unused:UNUSED_PAD src0_sel:WORD_0 src1_sel:DWORD
	v_bfe_u32 v32, v32, v13, 4
	v_lshlrev_b32_e32 v33, 4, v33
	v_subrev_u32_e32 v36, 32, v36
	v_dot4_i32_i8 v31, v37, v31, 0
	v_and_or_b32 v32, v33, 48, v32
	v_lshrrev_b32_e32 v33, 4, v22
	v_mul_lo_u32 v31, v36, v31
	v_and_b32_e32 v36, 0x3030303, v33
	v_bfe_u32 v33, v33, 24, 2
	v_and_b32_e32 v37, 0x4040404, v35
	v_sub_u16_e32 v38, v36, v37
	v_sub_u16_sdwa v39, v36, v37 dst_sel:BYTE_1 dst_unused:UNUSED_PAD src0_sel:BYTE_1 src1_sel:BYTE_1
	v_sub_u16_sdwa v33, v33, v37 dst_sel:BYTE_1 dst_unused:UNUSED_PAD src0_sel:DWORD src1_sel:BYTE_3
	v_sub_u16_sdwa v36, v36, v37 dst_sel:DWORD dst_unused:UNUSED_PAD src0_sel:WORD_1 src1_sel:WORD_1
	v_or_b32_sdwa v38, v38, v39 dst_sel:DWORD dst_unused:UNUSED_PAD src0_sel:BYTE_0 src1_sel:DWORD
	v_or_b32_sdwa v33, v36, v33 dst_sel:WORD_1 dst_unused:UNUSED_PAD src0_sel:BYTE_0 src1_sel:DWORD
	v_or_b32_sdwa v33, v38, v33 dst_sel:DWORD dst_unused:UNUSED_PAD src0_sel:WORD_0 src1_sel:DWORD
	v_and_b32_e32 v30, 0xff, v30
	v_lshrrev_b32_sdwa v29, v18, v29 dst_sel:DWORD dst_unused:UNUSED_PAD src0_sel:DWORD src1_sel:BYTE_0
	v_subrev_u32_e32 v32, 32, v32
	v_dot4_i32_i8 v24, v33, v24, 0
	v_bfe_u32 v30, v30, v13, 4
	v_lshlrev_b32_e32 v29, 4, v29
	v_mul_lo_u32 v24, v32, v24
	v_and_or_b32 v29, v29, 48, v30
	v_lshrrev_b32_e32 v30, 6, v22
	v_lshrrev_b32_e32 v32, 1, v35
	v_and_b32_e32 v30, 0x3030303, v30
	v_lshrrev_b32_e32 v22, 30, v22
	v_and_b32_e32 v32, 0x4040404, v32
	v_sub_u16_e32 v33, v30, v32
	v_sub_u16_sdwa v35, v30, v32 dst_sel:BYTE_1 dst_unused:UNUSED_PAD src0_sel:BYTE_1 src1_sel:BYTE_1
	v_sub_u16_sdwa v22, v22, v32 dst_sel:BYTE_1 dst_unused:UNUSED_PAD src0_sel:DWORD src1_sel:BYTE_3
	v_sub_u16_sdwa v30, v30, v32 dst_sel:DWORD dst_unused:UNUSED_PAD src0_sel:WORD_1 src1_sel:WORD_1
	v_or_b32_sdwa v33, v33, v35 dst_sel:DWORD dst_unused:UNUSED_PAD src0_sel:BYTE_0 src1_sel:DWORD
	v_or_b32_sdwa v22, v30, v22 dst_sel:WORD_1 dst_unused:UNUSED_PAD src0_sel:BYTE_0 src1_sel:DWORD
	v_or_b32_sdwa v22, v33, v22 dst_sel:DWORD dst_unused:UNUSED_PAD src0_sel:WORD_0 src1_sel:DWORD
	v_subrev_u32_e32 v29, 32, v29
	v_dot4_i32_i8 v22, v22, v23, 0
	v_mul_lo_u32 v22, v29, v22
	v_cvt_f32_i32_e32 v23, v34
	v_cvt_f32_i32_e32 v29, v31
	;; [unrolled: 1-line block ×4, first 2 shown]
	v_fma_f32 v23, v26, v23, 0
	v_fmac_f32_e32 v23, v27, v29
	v_fmac_f32_e32 v23, v28, v24
	v_add_u32_e32 v9, 8, v9
	v_fmac_f32_e32 v23, v25, v22
	v_add_co_u32_e32 v2, vcc, 0x900, v2
	v_cmp_le_u32_e64 s[10:11], s7, v9
	v_fma_mix_f32 v8, v23, v21, v8 op_sel_hi:[0,1,0]
	s_or_b64 s[14:15], s[10:11], s[14:15]
	v_addc_co_u32_e32 v3, vcc, 0, v3, vcc
	s_andn2_b64 exec, exec, s[14:15]
	s_cbranch_execz .LBB111_16
.LBB111_14:                             ; =>This Inner Loop Header: Depth=1
	v_mov_b32_e32 v22, s13
	v_add_u32_e32 v40, s9, v9
	v_mov_b32_e32 v21, s12
	v_mad_i64_i32 v[23:24], s[10:11], v40, s20, v[21:22]
	v_lshlrev_b32_e32 v39, 1, v11
	v_add_co_u32_e32 v25, vcc, v23, v39
	v_addc_co_u32_e32 v26, vcc, 0, v24, vcc
	v_add_co_u32_e32 v27, vcc, v23, v20
	v_addc_co_u32_e32 v28, vcc, 0, v24, vcc
	;; [unrolled: 2-line block ×5, first 2 shown]
	v_add_co_u32_e32 v47, vcc, v23, v17
	global_load_ushort v21, v[23:24], off offset:108
	global_load_dword v22, v[25:26], off offset:32
	global_load_dword v35, v[27:28], off
	v_addc_co_u32_e32 v48, vcc, 0, v24, vcc
	v_add_co_u32_e32 v25, vcc, v2, v19
	v_addc_co_u32_e32 v26, vcc, 0, v3, vcc
	global_load_dword v34, v[25:26], off offset:4
	global_load_dword v31, v[25:26], off offset:40
	;; [unrolled: 1-line block ×4, first 2 shown]
	global_load_dword v27, v[2:3], off
	global_load_dword v28, v[2:3], off offset:36
	global_load_dword v49, v[2:3], off offset:72
	;; [unrolled: 1-line block ×3, first 2 shown]
	global_load_ubyte v32, v[43:44], off offset:96
	global_load_ubyte v30, v[45:46], off offset:96
	;; [unrolled: 1-line block ×7, first 2 shown]
	s_andn2_b64 vcc, exec, s[16:17]
	s_waitcnt vmcnt(10)
	v_cvt_f32_f16_e32 v26, v27
	s_waitcnt vmcnt(9)
	v_cvt_f32_f16_e32 v27, v28
	s_waitcnt vmcnt(8)
	v_cvt_f32_f16_e32 v28, v49
	s_waitcnt vmcnt(7)
	v_cvt_f32_f16_e32 v25, v50
	s_cbranch_vccnz .LBB111_13
; %bb.15:                               ;   in Loop: Header=BB111_14 Depth=1
	v_mov_b32_e32 v42, s29
	v_mov_b32_e32 v41, s28
	v_mad_i64_i32 v[40:41], s[10:11], v40, s20, v[41:42]
	v_add_co_u32_e32 v42, vcc, v40, v12
	v_addc_co_u32_e32 v43, vcc, 0, v41, vcc
	v_add_co_u32_e32 v44, vcc, v40, v20
	v_addc_co_u32_e32 v45, vcc, 0, v41, vcc
	;; [unrolled: 2-line block ×3, first 2 shown]
	global_load_dword v39, v[44:45], off
	global_load_dword v48, v[46:47], off offset:32
	v_add_co_u32_e32 v44, vcc, v40, v14
	v_addc_co_u32_e32 v45, vcc, 0, v41, vcc
	global_load_ubyte v46, v[42:43], off offset:96
	global_load_ubyte v47, v[42:43], off offset:104
	;; [unrolled: 1-line block ×5, first 2 shown]
	v_add_co_u32_e32 v42, vcc, v40, v16
	v_addc_co_u32_e32 v43, vcc, 0, v41, vcc
	v_add_co_u32_e32 v44, vcc, v40, v17
	v_addc_co_u32_e32 v45, vcc, 0, v41, vcc
	global_load_ubyte v52, v[42:43], off offset:96
	global_load_ubyte v53, v[44:45], off offset:104
	global_load_ushort v54, v[40:41], off offset:108
	s_waitcnt vmcnt(9)
	v_ashrrev_i32_e32 v39, v10, v39
	v_not_b32_e32 v39, v39
	s_waitcnt vmcnt(7)
	v_bfe_u32 v40, v46, v13, 4
	s_waitcnt vmcnt(6)
	v_lshrrev_b32_e32 v41, v13, v47
	s_waitcnt vmcnt(5)
	v_lshrrev_b32_e32 v45, v13, v49
	v_lshrrev_b32_e32 v47, v15, v47
	s_waitcnt vmcnt(3)
	v_bfe_u32 v44, v51, v13, 4
	v_bfe_u32 v49, v50, v13, 4
	v_lshlrev_b32_e32 v41, 4, v41
	v_lshlrev_b32_e32 v45, 4, v45
	;; [unrolled: 1-line block ×3, first 2 shown]
	v_lshrrev_b32_e32 v46, 2, v48
	v_lshrrev_b32_e32 v50, 4, v48
	v_and_or_b32 v40, v41, 48, v40
	v_lshlrev_b32_e32 v41, 2, v39
	v_and_or_b32 v44, v45, 48, v44
	v_and_or_b32 v45, v47, 48, v49
	v_lshlrev_b32_e32 v49, 1, v39
	v_and_b32_e32 v42, 0x3030303, v48
	v_bfe_u32 v43, v48, 24, 2
	s_waitcnt vmcnt(2)
	v_bfe_u32 v51, v52, v13, 4
	s_waitcnt vmcnt(1)
	v_lshrrev_b32_e32 v52, v18, v53
	v_and_b32_e32 v53, 0x3030303, v46
	v_bfe_u32 v46, v46, 24, 2
	v_and_b32_e32 v55, 0x3030303, v50
	v_bfe_u32 v50, v50, 24, 2
	v_and_b32_e32 v47, 0x4040404, v39
	v_and_b32_e32 v41, 0x4040404, v41
	;; [unrolled: 1-line block ×3, first 2 shown]
	v_sub_u16_e32 v56, v55, v47
	v_sub_u16_sdwa v57, v55, v47 dst_sel:BYTE_1 dst_unused:UNUSED_PAD src0_sel:BYTE_1 src1_sel:BYTE_1
	v_sub_u16_sdwa v50, v50, v47 dst_sel:BYTE_1 dst_unused:UNUSED_PAD src0_sel:DWORD src1_sel:BYTE_3
	v_sub_u16_sdwa v47, v55, v47 dst_sel:DWORD dst_unused:UNUSED_PAD src0_sel:WORD_1 src1_sel:WORD_1
	v_sub_u16_e32 v55, v42, v41
	v_sub_u16_sdwa v58, v42, v41 dst_sel:BYTE_1 dst_unused:UNUSED_PAD src0_sel:BYTE_1 src1_sel:BYTE_1
	v_sub_u16_sdwa v43, v43, v41 dst_sel:BYTE_1 dst_unused:UNUSED_PAD src0_sel:DWORD src1_sel:BYTE_3
	v_sub_u16_sdwa v41, v42, v41 dst_sel:DWORD dst_unused:UNUSED_PAD src0_sel:WORD_1 src1_sel:WORD_1
	v_sub_u16_sdwa v42, v46, v49 dst_sel:BYTE_1 dst_unused:UNUSED_PAD src0_sel:DWORD src1_sel:BYTE_3
	v_sub_u16_e32 v46, v53, v49
	v_sub_u16_sdwa v59, v53, v49 dst_sel:BYTE_1 dst_unused:UNUSED_PAD src0_sel:BYTE_1 src1_sel:BYTE_1
	v_sub_u16_sdwa v49, v53, v49 dst_sel:DWORD dst_unused:UNUSED_PAD src0_sel:WORD_1 src1_sel:WORD_1
	v_or_b32_sdwa v47, v47, v50 dst_sel:WORD_1 dst_unused:UNUSED_PAD src0_sel:BYTE_0 src1_sel:DWORD
	v_or_b32_sdwa v50, v55, v58 dst_sel:DWORD dst_unused:UNUSED_PAD src0_sel:BYTE_0 src1_sel:DWORD
	v_or_b32_sdwa v41, v41, v43 dst_sel:WORD_1 dst_unused:UNUSED_PAD src0_sel:BYTE_0 src1_sel:DWORD
	v_or_b32_sdwa v43, v46, v59 dst_sel:DWORD dst_unused:UNUSED_PAD src0_sel:BYTE_0 src1_sel:DWORD
	;; [unrolled: 2-line block ×3, first 2 shown]
	v_or_b32_sdwa v41, v50, v41 dst_sel:DWORD dst_unused:UNUSED_PAD src0_sel:WORD_0 src1_sel:DWORD
	v_or_b32_sdwa v42, v43, v42 dst_sel:DWORD dst_unused:UNUSED_PAD src0_sel:WORD_0 src1_sel:DWORD
	v_subrev_u32_e32 v40, 32, v40
	v_subrev_u32_e32 v44, 32, v44
	v_or_b32_sdwa v46, v53, v47 dst_sel:DWORD dst_unused:UNUSED_PAD src0_sel:WORD_0 src1_sel:DWORD
	v_dot4_i32_i8 v41, v41, v34, 0
	v_dot4_i32_i8 v42, v42, v31, 0
	v_subrev_u32_e32 v45, 32, v45
	v_dot4_i32_i8 v43, v46, v24, 0
	v_mul_lo_u32 v40, v40, v41
	v_mul_lo_u32 v41, v44, v42
	v_lshrrev_b32_e32 v44, 6, v48
	v_lshrrev_b32_e32 v39, 1, v39
	v_mul_lo_u32 v43, v45, v43
	v_and_b32_e32 v44, 0x3030303, v44
	v_lshrrev_b32_e32 v45, 30, v48
	v_and_b32_e32 v39, 0x4040404, v39
	v_sub_u16_e32 v46, v44, v39
	v_sub_u16_sdwa v47, v44, v39 dst_sel:BYTE_1 dst_unused:UNUSED_PAD src0_sel:BYTE_1 src1_sel:BYTE_1
	v_sub_u16_sdwa v45, v45, v39 dst_sel:BYTE_1 dst_unused:UNUSED_PAD src0_sel:DWORD src1_sel:BYTE_3
	v_sub_u16_sdwa v39, v44, v39 dst_sel:DWORD dst_unused:UNUSED_PAD src0_sel:WORD_1 src1_sel:WORD_1
	v_lshlrev_b32_e32 v42, 4, v52
	v_or_b32_sdwa v46, v46, v47 dst_sel:DWORD dst_unused:UNUSED_PAD src0_sel:BYTE_0 src1_sel:DWORD
	v_or_b32_sdwa v39, v39, v45 dst_sel:WORD_1 dst_unused:UNUSED_PAD src0_sel:BYTE_0 src1_sel:DWORD
	v_and_or_b32 v42, v42, 48, v51
	v_or_b32_sdwa v39, v46, v39 dst_sel:DWORD dst_unused:UNUSED_PAD src0_sel:WORD_0 src1_sel:DWORD
	v_subrev_u32_e32 v42, 32, v42
	v_dot4_i32_i8 v39, v39, v23, 0
	v_mul_lo_u32 v39, v42, v39
	v_cvt_f32_i32_e32 v40, v40
	v_cvt_f32_i32_e32 v41, v41
	;; [unrolled: 1-line block ×4, first 2 shown]
	v_fma_f32 v40, v26, v40, 0
	v_fmac_f32_e32 v40, v27, v41
	v_fmac_f32_e32 v40, v28, v42
	;; [unrolled: 1-line block ×3, first 2 shown]
	s_waitcnt vmcnt(0)
	v_fma_mix_f32 v7, v40, v54, v7 op_sel_hi:[0,1,0]
	s_branch .LBB111_13
.LBB111_16:
	s_or_b64 exec, exec, s[14:15]
.LBB111_17:
	s_or_b64 exec, exec, s[18:19]
	s_load_dword s7, s[4:5], 0x30
	v_cmp_eq_u32_e64 s[10:11], 0, v1
	v_cmp_ne_u32_e32 vcc, 0, v1
	s_and_saveexec_b64 s[12:13], vcc
	s_cbranch_execz .LBB111_21
; %bb.18:
	s_and_b64 vcc, exec, s[16:17]
	s_cbranch_vccz .LBB111_20
; %bb.19:
	v_lshl_add_u32 v2, v1, 8, v4
	ds_write_b32 v2, v7
.LBB111_20:
	v_lshlrev_b32_e32 v1, 8, v1
	s_waitcnt lgkmcnt(0)
	s_movk_i32 s9, 0xff00
	v_add3_u32 v1, v1, v4, s9
	ds_write_b32 v1, v8
.LBB111_21:
	s_or_b64 exec, exec, s[12:13]
	s_waitcnt vmcnt(0) lgkmcnt(0)
	s_barrier
	s_and_saveexec_b64 s[12:13], s[10:11]
	s_cbranch_execz .LBB111_50
; %bb.22:
	ds_read_b32 v2, v4
	v_cndmask_b32_e64 v1, 0, 1, s[16:17]
	v_cmp_ne_u32_e64 s[10:11], 1, v1
	s_andn2_b64 vcc, exec, s[16:17]
	s_cbranch_vccnz .LBB111_24
; %bb.23:
	ds_read_b32 v1, v4 offset:256
	s_waitcnt lgkmcnt(0)
	v_add_f32_e32 v7, v7, v1
.LBB111_24:
	v_mbcnt_lo_u32_b32 v1, -1, 0
	v_mbcnt_hi_u32_b32 v3, -1, v1
	v_and_b32_e32 v1, 64, v3
	v_add_u32_e32 v12, 64, v1
	v_xor_b32_e32 v1, 32, v3
	v_cmp_lt_i32_e32 vcc, v1, v12
	v_cndmask_b32_e32 v1, v3, v1, vcc
	v_lshlrev_b32_e32 v1, 2, v1
	s_waitcnt lgkmcnt(0)
	v_add_f32_e32 v8, v8, v2
	ds_bpermute_b32 v9, v1, v8
	v_xor_b32_e32 v2, 16, v3
	v_cmp_lt_i32_e32 vcc, v2, v12
	v_cndmask_b32_e32 v2, v3, v2, vcc
	v_lshlrev_b32_e32 v2, 2, v2
	s_waitcnt lgkmcnt(0)
	v_add_f32_e32 v8, v8, v9
	ds_bpermute_b32 v10, v2, v8
	;; [unrolled: 7-line block ×6, first 2 shown]
	s_and_b64 vcc, exec, s[10:11]
	s_cbranch_vccnz .LBB111_26
; %bb.25:
	ds_bpermute_b32 v1, v1, v7
	s_waitcnt lgkmcnt(0)
	v_add_f32_e32 v1, v7, v1
	ds_bpermute_b32 v2, v2, v1
	s_waitcnt lgkmcnt(0)
	v_add_f32_e32 v1, v1, v2
	;; [unrolled: 3-line block ×6, first 2 shown]
.LBB111_26:
	v_cmp_eq_u32_e32 vcc, 0, v0
	s_and_b64 exec, exec, vcc
	s_cbranch_execz .LBB111_50
; %bb.27:
	s_waitcnt lgkmcnt(0)
	v_add_f32_e32 v0, v3, v8
	v_add_f32_e32 v1, v6, v0
	s_and_b64 vcc, exec, s[10:11]
	v_cndmask_b32_e64 v0, v0, v1, s[0:1]
	s_cbranch_vccnz .LBB111_49
; %bb.28:
	v_add_f32_e32 v1, v5, v7
	v_cndmask_b32_e64 v1, v7, v1, s[2:3]
	s_cmp_lt_i32 s7, 2
	s_mov_b64 s[0:1], 0
	s_cbranch_scc1 .LBB111_32
; %bb.29:
	s_cmp_gt_i32 s7, 2
	s_cbranch_scc0 .LBB111_33
; %bb.30:
	s_cmp_eq_u32 s7, 3
	s_cbranch_scc0 .LBB111_34
; %bb.31:
	v_max_f32_e32 v2, v1, v1
	v_min_f32_e32 v2, 0x40e00000, v2
	v_mul_f32_e32 v3, 0xbfd9db23, v2
	s_mov_b32 s2, 0x3fb8aa3b
	v_mul_f32_e32 v5, 0x3fb8aa3b, v3
	v_fma_f32 v6, v3, s2, -v5
	v_rndne_f32_e32 v7, v5
	v_fmac_f32_e32 v6, 0x32a5705f, v3
	v_sub_f32_e32 v5, v5, v7
	v_add_f32_e32 v5, v5, v6
	v_exp_f32_e32 v5, v5
	v_cvt_i32_f32_e32 v6, v7
	s_mov_b32 s2, 0xc2ce8ed0
	v_cmp_ngt_f32_e32 vcc, s2, v3
	s_mov_b32 s2, 0x42b17218
	v_ldexp_f32 v5, v5, v6
	v_cndmask_b32_e32 v5, 0, v5, vcc
	v_mov_b32_e32 v6, 0x7f800000
	v_cmp_nlt_f32_e32 vcc, s2, v3
	v_cndmask_b32_e32 v3, v6, v5, vcc
	v_add_f32_e32 v3, 1.0, v3
	v_div_scale_f32 v5, s[2:3], v3, v3, v2
	v_div_scale_f32 v6, vcc, v2, v3, v2
	s_mov_b64 s[2:3], 0
	v_rcp_f32_e32 v7, v5
	v_fma_f32 v8, -v5, v7, 1.0
	v_fmac_f32_e32 v7, v8, v7
	v_mul_f32_e32 v8, v6, v7
	v_fma_f32 v9, -v5, v8, v6
	v_fmac_f32_e32 v8, v9, v7
	v_fma_f32 v5, -v5, v8, v6
	v_div_fmas_f32 v5, v5, v7, v8
	v_max_f32_e32 v6, v0, v0
	v_min_f32_e32 v6, 0x40e00000, v6
	v_max_f32_e32 v6, 0xc0e00000, v6
	v_add_f32_e32 v6, 1.0, v6
	v_div_fixup_f32 v2, v5, v3, v2
	v_mul_f32_e32 v2, v6, v2
	s_branch .LBB111_35
.LBB111_32:
                                        ; implicit-def: $vgpr2
	s_mov_b64 s[2:3], 0
	s_cbranch_execnz .LBB111_39
	s_branch .LBB111_40
.LBB111_33:
	s_mov_b64 s[10:11], -1
	s_mov_b64 s[2:3], 0
                                        ; implicit-def: $vgpr2
	s_branch .LBB111_36
.LBB111_34:
	s_mov_b64 s[2:3], -1
                                        ; implicit-def: $vgpr2
.LBB111_35:
	s_mov_b64 s[10:11], 0
.LBB111_36:
	s_and_b64 vcc, exec, s[10:11]
	s_cbranch_vccz .LBB111_38
; %bb.37:
	v_mul_f32_e32 v2, 0xbfb8aa3b, v1
	s_mov_b32 s9, 0xbfb8aa3b
	v_rndne_f32_e32 v3, v2
	v_sub_f32_e32 v5, v2, v3
	v_fma_f32 v2, v1, s9, -v2
	v_fmac_f32_e32 v2, 0xb2a5705f, v1
	v_add_f32_e32 v2, v5, v2
	v_exp_f32_e32 v2, v2
	v_cvt_i32_f32_e32 v3, v3
	s_mov_b32 s9, 0x42ce8ed0
	v_cmp_nlt_f32_e32 vcc, s9, v1
	s_mov_b32 s9, 0xc2b17218
	v_ldexp_f32 v2, v2, v3
	v_cndmask_b32_e32 v2, 0, v2, vcc
	v_mov_b32_e32 v3, 0x7f800000
	v_cmp_ngt_f32_e32 vcc, s9, v1
	v_cndmask_b32_e32 v2, v3, v2, vcc
	v_add_f32_e32 v2, 1.0, v2
	v_div_scale_f32 v3, s[10:11], v2, v2, v1
	v_div_scale_f32 v5, vcc, v1, v2, v1
	v_rcp_f32_e32 v6, v3
	v_fma_f32 v7, -v3, v6, 1.0
	v_fmac_f32_e32 v6, v7, v6
	v_mul_f32_e32 v7, v5, v6
	v_fma_f32 v8, -v3, v7, v5
	v_fmac_f32_e32 v7, v8, v6
	v_fma_f32 v3, -v3, v7, v5
	v_div_fmas_f32 v3, v3, v6, v7
	v_div_fixup_f32 v2, v3, v2, v1
	v_mul_f32_e32 v2, v0, v2
.LBB111_38:
	s_branch .LBB111_40
.LBB111_39:
	s_cmp_lg_u32 s7, 1
	s_mov_b64 s[0:1], -1
	s_cselect_b64 s[2:3], -1, 0
.LBB111_40:
	s_andn2_b64 vcc, exec, s[2:3]
	s_cbranch_vccz .LBB111_42
; %bb.41:
	s_andn2_b64 vcc, exec, s[0:1]
	s_cbranch_vccz .LBB111_43
	s_branch .LBB111_48
.LBB111_42:
	v_mul_f32_e32 v2, v1, v0
	s_cbranch_execnz .LBB111_48
.LBB111_43:
	v_mul_f32_e32 v3, 0x3d372713, v1
	v_mul_f32_e32 v2, 0x3f4c422a, v1
	v_fma_f32 v3, v1, v3, 1.0
	v_mul_f32_e32 v2, v2, v3
	s_mov_b32 s0, 0x3f200000
	v_cmp_nlt_f32_e64 s[0:1], |v2|, s0
                                        ; implicit-def: $vgpr3
	s_and_saveexec_b64 s[2:3], s[0:1]
	s_xor_b64 s[0:1], exec, s[2:3]
	s_cbranch_execz .LBB111_45
; %bb.44:
	v_add_f32_e64 v3, |v2|, |v2|
	v_mul_f32_e32 v5, 0x3fb8aa3b, v3
	s_mov_b32 s2, 0x3fb8aa3b
	v_rndne_f32_e32 v6, v5
	v_sub_f32_e32 v7, v5, v6
	v_fma_f32 v5, v3, s2, -v5
	v_fmac_f32_e32 v5, 0x32a5705f, v3
	v_add_f32_e32 v5, v7, v5
	v_exp_f32_e32 v5, v5
	v_cvt_i32_f32_e32 v6, v6
	s_mov_b32 s2, 0xc2ce8ed0
	v_cmp_ngt_f32_e32 vcc, s2, v3
	s_mov_b32 s2, 0x42b17218
	v_ldexp_f32 v5, v5, v6
	v_cndmask_b32_e32 v5, 0, v5, vcc
	v_mov_b32_e32 v6, 0x7f800000
	v_cmp_nlt_f32_e32 vcc, s2, v3
	v_cndmask_b32_e32 v3, v6, v5, vcc
	v_add_f32_e32 v3, 1.0, v3
	v_rcp_f32_e32 v3, v3
	v_fma_f32 v3, v3, -2.0, 1.0
.LBB111_45:
	s_andn2_saveexec_b64 s[0:1], s[0:1]
	s_cbranch_execz .LBB111_47
; %bb.46:
	v_mul_f32_e32 v3, v2, v2
	v_mov_b32_e32 v5, 0x3ca908c9
	v_fmac_f32_e32 v5, 0xbbbac73d, v3
	v_mov_b32_e32 v6, 0xbd5c1c4e
	v_fmac_f32_e32 v6, v3, v5
	;; [unrolled: 2-line block ×4, first 2 shown]
	v_mul_f32_e64 v5, |v2|, v6
	v_fma_f32 v3, v3, v5, |v2|
.LBB111_47:
	s_or_b64 exec, exec, s[0:1]
	s_brev_b32 s0, -2
	v_bfi_b32 v2, s0, v3, v2
	v_mul_f32_e32 v1, 0.5, v1
	v_add_f32_e32 v2, 1.0, v2
	v_mul_f32_e32 v1, v1, v2
	v_mul_f32_e32 v2, v0, v1
.LBB111_48:
	v_mov_b32_e32 v0, v2
.LBB111_49:
	s_load_dwordx2 s[0:1], s[4:5], 0x38
	s_mul_i32 s3, s22, s34
	s_mul_i32 s2, s26, s8
	s_add_i32 s3, s3, s6
	s_add_i32 s2, s3, s2
	s_mov_b32 s3, 0
	s_lshl_b64 s[2:3], s[2:3], 2
	s_waitcnt lgkmcnt(0)
	s_add_u32 s0, s0, s2
	s_addc_u32 s1, s1, s3
	global_store_dword v4, v0, s[0:1]
.LBB111_50:
	s_endpgm
	.section	.rodata,"a",@progbits
	.p2align	6, 0x0
	.amdhsa_kernel _ZL13mul_mat_vec_qIL9ggml_type11ELi1ELb1ELb0EEvPKvS2_PKi31ggml_cuda_mm_fusion_args_devicePfj15HIP_vector_typeIjLj3EEjjjS8_jjjS8_jjjj
		.amdhsa_group_segment_fixed_size 512
		.amdhsa_private_segment_fixed_size 0
		.amdhsa_kernarg_size 144
		.amdhsa_user_sgpr_count 6
		.amdhsa_user_sgpr_private_segment_buffer 1
		.amdhsa_user_sgpr_dispatch_ptr 0
		.amdhsa_user_sgpr_queue_ptr 0
		.amdhsa_user_sgpr_kernarg_segment_ptr 1
		.amdhsa_user_sgpr_dispatch_id 0
		.amdhsa_user_sgpr_flat_scratch_init 0
		.amdhsa_user_sgpr_private_segment_size 0
		.amdhsa_uses_dynamic_stack 0
		.amdhsa_system_sgpr_private_segment_wavefront_offset 0
		.amdhsa_system_sgpr_workgroup_id_x 1
		.amdhsa_system_sgpr_workgroup_id_y 1
		.amdhsa_system_sgpr_workgroup_id_z 1
		.amdhsa_system_sgpr_workgroup_info 0
		.amdhsa_system_vgpr_workitem_id 1
		.amdhsa_next_free_vgpr 60
		.amdhsa_next_free_sgpr 42
		.amdhsa_reserve_vcc 1
		.amdhsa_reserve_flat_scratch 0
		.amdhsa_float_round_mode_32 0
		.amdhsa_float_round_mode_16_64 0
		.amdhsa_float_denorm_mode_32 3
		.amdhsa_float_denorm_mode_16_64 3
		.amdhsa_dx10_clamp 1
		.amdhsa_ieee_mode 1
		.amdhsa_fp16_overflow 0
		.amdhsa_exception_fp_ieee_invalid_op 0
		.amdhsa_exception_fp_denorm_src 0
		.amdhsa_exception_fp_ieee_div_zero 0
		.amdhsa_exception_fp_ieee_overflow 0
		.amdhsa_exception_fp_ieee_underflow 0
		.amdhsa_exception_fp_ieee_inexact 0
		.amdhsa_exception_int_div_zero 0
	.end_amdhsa_kernel
	.section	.text._ZL13mul_mat_vec_qIL9ggml_type11ELi1ELb1ELb0EEvPKvS2_PKi31ggml_cuda_mm_fusion_args_devicePfj15HIP_vector_typeIjLj3EEjjjS8_jjjS8_jjjj,"axG",@progbits,_ZL13mul_mat_vec_qIL9ggml_type11ELi1ELb1ELb0EEvPKvS2_PKi31ggml_cuda_mm_fusion_args_devicePfj15HIP_vector_typeIjLj3EEjjjS8_jjjS8_jjjj,comdat
.Lfunc_end111:
	.size	_ZL13mul_mat_vec_qIL9ggml_type11ELi1ELb1ELb0EEvPKvS2_PKi31ggml_cuda_mm_fusion_args_devicePfj15HIP_vector_typeIjLj3EEjjjS8_jjjS8_jjjj, .Lfunc_end111-_ZL13mul_mat_vec_qIL9ggml_type11ELi1ELb1ELb0EEvPKvS2_PKi31ggml_cuda_mm_fusion_args_devicePfj15HIP_vector_typeIjLj3EEjjjS8_jjjS8_jjjj
                                        ; -- End function
	.set _ZL13mul_mat_vec_qIL9ggml_type11ELi1ELb1ELb0EEvPKvS2_PKi31ggml_cuda_mm_fusion_args_devicePfj15HIP_vector_typeIjLj3EEjjjS8_jjjS8_jjjj.num_vgpr, 60
	.set _ZL13mul_mat_vec_qIL9ggml_type11ELi1ELb1ELb0EEvPKvS2_PKi31ggml_cuda_mm_fusion_args_devicePfj15HIP_vector_typeIjLj3EEjjjS8_jjjS8_jjjj.num_agpr, 0
	.set _ZL13mul_mat_vec_qIL9ggml_type11ELi1ELb1ELb0EEvPKvS2_PKi31ggml_cuda_mm_fusion_args_devicePfj15HIP_vector_typeIjLj3EEjjjS8_jjjS8_jjjj.numbered_sgpr, 42
	.set _ZL13mul_mat_vec_qIL9ggml_type11ELi1ELb1ELb0EEvPKvS2_PKi31ggml_cuda_mm_fusion_args_devicePfj15HIP_vector_typeIjLj3EEjjjS8_jjjS8_jjjj.num_named_barrier, 0
	.set _ZL13mul_mat_vec_qIL9ggml_type11ELi1ELb1ELb0EEvPKvS2_PKi31ggml_cuda_mm_fusion_args_devicePfj15HIP_vector_typeIjLj3EEjjjS8_jjjS8_jjjj.private_seg_size, 0
	.set _ZL13mul_mat_vec_qIL9ggml_type11ELi1ELb1ELb0EEvPKvS2_PKi31ggml_cuda_mm_fusion_args_devicePfj15HIP_vector_typeIjLj3EEjjjS8_jjjS8_jjjj.uses_vcc, 1
	.set _ZL13mul_mat_vec_qIL9ggml_type11ELi1ELb1ELb0EEvPKvS2_PKi31ggml_cuda_mm_fusion_args_devicePfj15HIP_vector_typeIjLj3EEjjjS8_jjjS8_jjjj.uses_flat_scratch, 0
	.set _ZL13mul_mat_vec_qIL9ggml_type11ELi1ELb1ELb0EEvPKvS2_PKi31ggml_cuda_mm_fusion_args_devicePfj15HIP_vector_typeIjLj3EEjjjS8_jjjS8_jjjj.has_dyn_sized_stack, 0
	.set _ZL13mul_mat_vec_qIL9ggml_type11ELi1ELb1ELb0EEvPKvS2_PKi31ggml_cuda_mm_fusion_args_devicePfj15HIP_vector_typeIjLj3EEjjjS8_jjjS8_jjjj.has_recursion, 0
	.set _ZL13mul_mat_vec_qIL9ggml_type11ELi1ELb1ELb0EEvPKvS2_PKi31ggml_cuda_mm_fusion_args_devicePfj15HIP_vector_typeIjLj3EEjjjS8_jjjS8_jjjj.has_indirect_call, 0
	.section	.AMDGPU.csdata,"",@progbits
; Kernel info:
; codeLenInByte = 3732
; TotalNumSgprs: 46
; NumVgprs: 60
; ScratchSize: 0
; MemoryBound: 0
; FloatMode: 240
; IeeeMode: 1
; LDSByteSize: 512 bytes/workgroup (compile time only)
; SGPRBlocks: 5
; VGPRBlocks: 14
; NumSGPRsForWavesPerEU: 46
; NumVGPRsForWavesPerEU: 60
; Occupancy: 4
; WaveLimiterHint : 0
; COMPUTE_PGM_RSRC2:SCRATCH_EN: 0
; COMPUTE_PGM_RSRC2:USER_SGPR: 6
; COMPUTE_PGM_RSRC2:TRAP_HANDLER: 0
; COMPUTE_PGM_RSRC2:TGID_X_EN: 1
; COMPUTE_PGM_RSRC2:TGID_Y_EN: 1
; COMPUTE_PGM_RSRC2:TGID_Z_EN: 1
; COMPUTE_PGM_RSRC2:TIDIG_COMP_CNT: 1
	.section	.text._ZL13mul_mat_vec_qIL9ggml_type11ELi1ELb0ELb0EEvPKvS2_PKi31ggml_cuda_mm_fusion_args_devicePfj15HIP_vector_typeIjLj3EEjjjS8_jjjS8_jjjj,"axG",@progbits,_ZL13mul_mat_vec_qIL9ggml_type11ELi1ELb0ELb0EEvPKvS2_PKi31ggml_cuda_mm_fusion_args_devicePfj15HIP_vector_typeIjLj3EEjjjS8_jjjS8_jjjj,comdat
	.globl	_ZL13mul_mat_vec_qIL9ggml_type11ELi1ELb0ELb0EEvPKvS2_PKi31ggml_cuda_mm_fusion_args_devicePfj15HIP_vector_typeIjLj3EEjjjS8_jjjS8_jjjj ; -- Begin function _ZL13mul_mat_vec_qIL9ggml_type11ELi1ELb0ELb0EEvPKvS2_PKi31ggml_cuda_mm_fusion_args_devicePfj15HIP_vector_typeIjLj3EEjjjS8_jjjS8_jjjj
	.p2align	8
	.type	_ZL13mul_mat_vec_qIL9ggml_type11ELi1ELb0ELb0EEvPKvS2_PKi31ggml_cuda_mm_fusion_args_devicePfj15HIP_vector_typeIjLj3EEjjjS8_jjjS8_jjjj,@function
_ZL13mul_mat_vec_qIL9ggml_type11ELi1ELb0ELb0EEvPKvS2_PKi31ggml_cuda_mm_fusion_args_devicePfj15HIP_vector_typeIjLj3EEjjjS8_jjjS8_jjjj: ; @_ZL13mul_mat_vec_qIL9ggml_type11ELi1ELb0ELb0EEvPKvS2_PKi31ggml_cuda_mm_fusion_args_devicePfj15HIP_vector_typeIjLj3EEjjjS8_jjjS8_jjjj
; %bb.0:
	s_load_dwordx2 s[0:1], s[4:5], 0x10
	s_load_dwordx4 s[16:19], s[4:5], 0x40
	s_mov_b32 s10, s7
	s_mov_b64 s[14:15], 0
	s_waitcnt lgkmcnt(0)
	s_cmp_lg_u64 s[0:1], 0
	s_cselect_b64 s[12:13], -1, 0
	s_cmp_eq_u64 s[0:1], 0
	s_cbranch_scc1 .LBB112_5
; %bb.1:
	s_mov_b32 s11, 0
	s_lshl_b64 s[2:3], s[10:11], 2
	s_add_u32 s0, s0, s2
	s_addc_u32 s1, s1, s3
	s_load_dword s9, s[0:1], 0x0
	s_nop 0
	s_load_dwordx4 s[0:3], s[4:5], 0x68
	s_load_dword s11, s[4:5], 0x50
	s_andn2_b64 vcc, exec, s[14:15]
	s_cbranch_vccnz .LBB112_3
.LBB112_2:
	s_load_dwordx2 s[14:15], s[4:5], 0x5c
	s_waitcnt lgkmcnt(0)
	s_mul_hi_u32 s7, s14, s10
	s_add_i32 s7, s10, s7
	s_lshr_b32 s9, s7, s15
.LBB112_3:
	s_load_dword s22, s[4:5], 0x78
	s_andn2_b64 vcc, exec, s[12:13]
	s_cbranch_vccnz .LBB112_6
; %bb.4:
	s_mul_hi_u32 s7, s17, s10
	s_add_i32 s7, s10, s7
	s_lshr_b32 s7, s7, s18
	s_mul_i32 s7, s7, s19
	s_sub_i32 s23, s10, s7
	s_branch .LBB112_7
.LBB112_5:
                                        ; implicit-def: $sgpr9
	s_load_dwordx4 s[0:3], s[4:5], 0x68
	s_load_dword s11, s[4:5], 0x50
	s_branch .LBB112_2
.LBB112_6:
	s_mov_b32 s23, s10
.LBB112_7:
	s_load_dwordx4 s[12:15], s[4:5], 0x80
	v_lshl_add_u32 v2, v1, 6, v0
	s_lshr_b32 s7, s16, 8
	v_lshrrev_b32_e32 v5, 4, v2
	v_cmp_gt_u32_e32 vcc, s7, v5
	v_mov_b32_e32 v4, 0
	s_and_saveexec_b64 s[20:21], vcc
	s_cbranch_execz .LBB112_11
; %bb.8:
	s_waitcnt lgkmcnt(0)
	s_mul_hi_u32 s3, s3, s8
	s_add_i32 s3, s8, s3
	s_lshr_b32 s3, s3, s22
	s_load_dwordx4 s[16:19], s[4:5], 0x0
	s_mul_i32 s11, s11, s6
	s_mul_i32 s3, s3, s12
	v_lshrrev_b32_e32 v3, 1, v0
	s_mul_i32 s0, s9, s0
	s_add_i32 s3, s3, s11
	v_and_b32_e32 v6, 4, v3
	v_and_b32_e32 v3, 7, v0
	v_lshrrev_b32_e32 v17, 4, v2
	v_bfe_u32 v2, v0, 3, 1
	s_add_i32 s3, s0, s3
	v_lshlrev_b32_e32 v16, 1, v3
	v_lshlrev_b32_e32 v14, 2, v3
	v_mul_hi_u32_u24_e32 v3, 0x90, v2
	v_mul_u32_u24_e32 v2, 0x90, v2
	s_movk_i32 s0, 0x120
	s_mul_i32 s9, s13, s8
	s_mul_i32 s12, s23, s1
	v_mad_u64_u32 v[2:3], s[0:1], v17, s0, v[2:3]
	s_mul_hi_u32 s1, s9, 36
	s_mul_i32 s9, s9, 36
	s_waitcnt lgkmcnt(0)
	s_add_u32 s9, s18, s9
	v_and_b32_e32 v8, 8, v0
	v_bfe_u32 v7, v0, 2, 1
	s_mul_hi_u32 s0, s12, 36
	s_mul_i32 s12, s12, 36
	s_addc_u32 s1, s19, s1
	v_or_b32_e32 v11, v7, v8
	s_add_u32 s9, s9, s12
	v_lshlrev_b32_e32 v4, 1, v0
	v_or_b32_e32 v13, 6, v11
	s_addc_u32 s0, s1, s0
	v_and_b32_e32 v15, 30, v4
	v_or_b32_e32 v10, 4, v11
	v_and_b32_e32 v11, 7, v13
	v_and_b32_e32 v12, 3, v13
	v_lshrrev_b32_e32 v13, 1, v13
	v_mov_b32_e32 v17, s0
	v_add_co_u32_e32 v2, vcc, s9, v2
	v_mov_b32_e32 v4, 0
	v_lshrrev_b32_e32 v8, 1, v8
	v_and_b32_e32 v9, 5, v10
	v_lshrrev_b32_e32 v10, 1, v10
	v_and_b32_e32 v13, 6, v13
	v_addc_co_u32_e32 v3, vcc, v17, v3, vcc
	s_mov_b64 s[0:1], 0
	s_movk_i32 s9, 0x6e
	v_lshlrev_b32_e32 v15, 1, v15
	v_lshlrev_b32_e32 v16, 1, v16
.LBB112_9:                              ; =>This Inner Loop Header: Depth=1
	v_mov_b32_e32 v18, s17
	v_add_u32_e32 v19, s3, v5
	v_mov_b32_e32 v17, s16
	v_mad_i64_i32 v[21:22], s[12:13], v19, s9, v[17:18]
	v_add_u32_e32 v5, 8, v5
	v_add_co_u32_e32 v18, vcc, v21, v15
	v_addc_co_u32_e32 v19, vcc, 0, v22, vcc
	global_load_ushort v17, v[21:22], off offset:108
	s_nop 0
	global_load_dword v18, v[18:19], off offset:32
	v_add_co_u32_e32 v19, vcc, v21, v16
	v_addc_co_u32_e32 v20, vcc, 0, v22, vcc
	global_load_dword v25, v[19:20], off
	v_add_co_u32_e32 v23, vcc, v2, v14
	v_addc_co_u32_e32 v24, vcc, 0, v3, vcc
	global_load_dword v26, v[23:24], off offset:4
	global_load_dword v27, v[2:3], off
	global_load_dword v28, v[23:24], off offset:40
	global_load_dword v29, v[2:3], off offset:36
	global_load_dword v30, v[23:24], off offset:76
	global_load_dword v31, v[2:3], off offset:72
	global_load_dword v20, v[23:24], off offset:112
	global_load_dword v19, v[2:3], off offset:108
	s_waitcnt vmcnt(9)
	v_bfe_u32 v35, v18, 24, 2
	s_waitcnt vmcnt(8)
	v_ashrrev_i32_e32 v23, v6, v25
	v_not_b32_e32 v25, v23
	v_add_co_u32_e32 v23, vcc, v21, v7
	v_addc_co_u32_e32 v24, vcc, 0, v22, vcc
	global_load_ubyte v32, v[23:24], off offset:96
	global_load_ubyte v33, v[23:24], off offset:104
	v_lshlrev_b32_e32 v36, 2, v25
	v_and_b32_e32 v36, 0x4040404, v36
	v_sub_u16_sdwa v35, v35, v36 dst_sel:BYTE_1 dst_unused:UNUSED_PAD src0_sel:DWORD src1_sel:BYTE_3
	s_waitcnt vmcnt(1)
	v_bfe_u32 v32, v32, v8, 4
	s_waitcnt vmcnt(0)
	v_lshrrev_b32_e32 v34, v8, v33
	v_lshlrev_b32_e32 v34, 4, v34
	v_and_or_b32 v32, v34, 48, v32
	v_and_b32_e32 v34, 0x3030303, v18
	v_sub_u16_e32 v37, v34, v36
	v_sub_u16_sdwa v38, v34, v36 dst_sel:BYTE_1 dst_unused:UNUSED_PAD src0_sel:BYTE_1 src1_sel:BYTE_1
	v_sub_u16_sdwa v34, v34, v36 dst_sel:DWORD dst_unused:UNUSED_PAD src0_sel:WORD_1 src1_sel:WORD_1
	v_or_b32_sdwa v37, v37, v38 dst_sel:DWORD dst_unused:UNUSED_PAD src0_sel:BYTE_0 src1_sel:DWORD
	v_or_b32_sdwa v34, v34, v35 dst_sel:WORD_1 dst_unused:UNUSED_PAD src0_sel:BYTE_0 src1_sel:DWORD
	v_or_b32_sdwa v34, v37, v34 dst_sel:DWORD dst_unused:UNUSED_PAD src0_sel:WORD_0 src1_sel:DWORD
	v_subrev_u32_e32 v32, 32, v32
	v_dot4_i32_i8 v26, v34, v26, 0
	v_mul_lo_u32 v26, v32, v26
	v_lshlrev_b32_e32 v32, 1, v25
	v_and_b32_e32 v32, 0x4040404, v32
	v_cvt_f32_i32_e32 v26, v26
	v_fma_mix_f32 v26, v27, v26, 0 op_sel_hi:[1,0,0]
	global_load_ubyte v27, v[23:24], off offset:98
	s_waitcnt vmcnt(0)
	v_bfe_u32 v27, v27, v8, 4
	global_load_ubyte v23, v[23:24], off offset:106
	v_lshrrev_b32_e32 v24, 2, v18
	s_waitcnt vmcnt(0)
	v_lshrrev_b32_e32 v23, v8, v23
	v_lshlrev_b32_e32 v23, 4, v23
	v_and_or_b32 v23, v23, 48, v27
	v_and_b32_e32 v27, 0x3030303, v24
	v_bfe_u32 v24, v24, 24, 2
	v_sub_u16_e32 v34, v27, v32
	v_sub_u16_sdwa v35, v27, v32 dst_sel:BYTE_1 dst_unused:UNUSED_PAD src0_sel:BYTE_1 src1_sel:BYTE_1
	v_sub_u16_sdwa v24, v24, v32 dst_sel:BYTE_1 dst_unused:UNUSED_PAD src0_sel:DWORD src1_sel:BYTE_3
	v_sub_u16_sdwa v27, v27, v32 dst_sel:DWORD dst_unused:UNUSED_PAD src0_sel:WORD_1 src1_sel:WORD_1
	v_or_b32_sdwa v34, v34, v35 dst_sel:DWORD dst_unused:UNUSED_PAD src0_sel:BYTE_0 src1_sel:DWORD
	v_or_b32_sdwa v24, v27, v24 dst_sel:WORD_1 dst_unused:UNUSED_PAD src0_sel:BYTE_0 src1_sel:DWORD
	v_or_b32_sdwa v24, v34, v24 dst_sel:DWORD dst_unused:UNUSED_PAD src0_sel:WORD_0 src1_sel:DWORD
	v_subrev_u32_e32 v23, 32, v23
	v_dot4_i32_i8 v24, v24, v28, 0
	v_mul_lo_u32 v23, v23, v24
	v_and_b32_e32 v28, 0x4040404, v25
	v_cvt_f32_i32_e32 v23, v23
	v_fma_mix_f32 v26, v29, v23, v26 op_sel_hi:[1,0,0]
	v_add_co_u32_e32 v23, vcc, v21, v9
	v_addc_co_u32_e32 v24, vcc, 0, v22, vcc
	global_load_ubyte v23, v[23:24], off offset:96
	v_lshrrev_b32_e32 v24, v10, v33
	v_lshlrev_b32_e32 v24, 4, v24
	s_waitcnt vmcnt(0)
	v_bfe_u32 v23, v23, v8, 4
	v_and_or_b32 v23, v24, 48, v23
	v_lshrrev_b32_e32 v24, 4, v18
	v_and_b32_e32 v27, 0x3030303, v24
	v_bfe_u32 v24, v24, 24, 2
	v_sub_u16_e32 v29, v27, v28
	v_sub_u16_sdwa v32, v27, v28 dst_sel:BYTE_1 dst_unused:UNUSED_PAD src0_sel:BYTE_1 src1_sel:BYTE_1
	v_sub_u16_sdwa v24, v24, v28 dst_sel:BYTE_1 dst_unused:UNUSED_PAD src0_sel:DWORD src1_sel:BYTE_3
	v_sub_u16_sdwa v27, v27, v28 dst_sel:DWORD dst_unused:UNUSED_PAD src0_sel:WORD_1 src1_sel:WORD_1
	v_or_b32_sdwa v29, v29, v32 dst_sel:DWORD dst_unused:UNUSED_PAD src0_sel:BYTE_0 src1_sel:DWORD
	v_or_b32_sdwa v24, v27, v24 dst_sel:WORD_1 dst_unused:UNUSED_PAD src0_sel:BYTE_0 src1_sel:DWORD
	v_or_b32_sdwa v24, v29, v24 dst_sel:DWORD dst_unused:UNUSED_PAD src0_sel:WORD_0 src1_sel:DWORD
	v_subrev_u32_e32 v23, 32, v23
	v_dot4_i32_i8 v24, v24, v30, 0
	v_mul_lo_u32 v23, v23, v24
	v_cvt_f32_i32_e32 v23, v23
	v_fma_mix_f32 v26, v31, v23, v26 op_sel_hi:[1,0,0]
	v_add_co_u32_e32 v23, vcc, v21, v11
	v_addc_co_u32_e32 v24, vcc, 0, v22, vcc
	v_add_co_u32_e32 v21, vcc, v21, v12
	v_addc_co_u32_e32 v22, vcc, 0, v22, vcc
	global_load_ubyte v23, v[23:24], off offset:96
	v_add_co_u32_e32 v2, vcc, 0x900, v2
	global_load_ubyte v21, v[21:22], off offset:104
	v_lshrrev_b32_e32 v22, 6, v18
	v_and_b32_e32 v22, 0x3030303, v22
	v_lshrrev_b32_e32 v18, 30, v18
	v_addc_co_u32_e32 v3, vcc, 0, v3, vcc
	v_cmp_le_u32_e32 vcc, s7, v5
	s_or_b64 s[0:1], vcc, s[0:1]
	s_waitcnt vmcnt(1)
	v_bfe_u32 v23, v23, v8, 4
	s_waitcnt vmcnt(0)
	v_lshrrev_b32_e32 v21, v13, v21
	v_lshlrev_b32_e32 v21, 4, v21
	v_and_or_b32 v21, v21, 48, v23
	v_lshrrev_b32_e32 v23, 1, v25
	v_and_b32_e32 v23, 0x4040404, v23
	v_sub_u16_e32 v24, v22, v23
	v_sub_u16_sdwa v25, v22, v23 dst_sel:BYTE_1 dst_unused:UNUSED_PAD src0_sel:BYTE_1 src1_sel:BYTE_1
	v_sub_u16_sdwa v18, v18, v23 dst_sel:BYTE_1 dst_unused:UNUSED_PAD src0_sel:DWORD src1_sel:BYTE_3
	v_sub_u16_sdwa v22, v22, v23 dst_sel:DWORD dst_unused:UNUSED_PAD src0_sel:WORD_1 src1_sel:WORD_1
	v_or_b32_sdwa v24, v24, v25 dst_sel:DWORD dst_unused:UNUSED_PAD src0_sel:BYTE_0 src1_sel:DWORD
	v_or_b32_sdwa v18, v22, v18 dst_sel:WORD_1 dst_unused:UNUSED_PAD src0_sel:BYTE_0 src1_sel:DWORD
	v_or_b32_sdwa v18, v24, v18 dst_sel:DWORD dst_unused:UNUSED_PAD src0_sel:WORD_0 src1_sel:DWORD
	v_subrev_u32_e32 v21, 32, v21
	v_dot4_i32_i8 v18, v18, v20, 0
	v_mul_lo_u32 v18, v21, v18
	v_cvt_f32_i32_e32 v18, v18
	v_fma_mix_f32 v18, v19, v18, v26 op_sel_hi:[1,0,0]
	v_fma_mix_f32 v4, v18, v17, v4 op_sel_hi:[0,1,0]
	s_andn2_b64 exec, exec, s[0:1]
	s_cbranch_execnz .LBB112_9
; %bb.10:
	s_or_b64 exec, exec, s[0:1]
.LBB112_11:
	s_or_b64 exec, exec, s[20:21]
	v_cmp_eq_u32_e32 vcc, 0, v1
	s_waitcnt lgkmcnt(0)
	v_cmp_ne_u32_e64 s[0:1], 0, v1
	v_lshlrev_b32_e32 v2, 2, v0
	s_and_saveexec_b64 s[12:13], s[0:1]
; %bb.12:
	v_lshlrev_b32_e32 v1, 8, v1
	s_movk_i32 s0, 0xff00
	v_add3_u32 v1, v1, v2, s0
	ds_write_b32 v1, v4
; %bb.13:
	s_or_b64 exec, exec, s[12:13]
	s_waitcnt lgkmcnt(0)
	s_barrier
	s_and_saveexec_b64 s[0:1], vcc
	s_cbranch_execz .LBB112_16
; %bb.14:
	ds_read_b32 v1, v2
	v_mbcnt_lo_u32_b32 v2, -1, 0
	v_mbcnt_hi_u32_b32 v2, -1, v2
	v_and_b32_e32 v3, 64, v2
	v_add_u32_e32 v3, 64, v3
	v_xor_b32_e32 v5, 32, v2
	v_cmp_lt_i32_e32 vcc, v5, v3
	v_cndmask_b32_e32 v5, v2, v5, vcc
	v_lshlrev_b32_e32 v5, 2, v5
	s_waitcnt lgkmcnt(0)
	v_add_f32_e32 v1, v4, v1
	ds_bpermute_b32 v4, v5, v1
	v_xor_b32_e32 v5, 16, v2
	v_cmp_lt_i32_e32 vcc, v5, v3
	v_cndmask_b32_e32 v5, v2, v5, vcc
	v_lshlrev_b32_e32 v5, 2, v5
	s_waitcnt lgkmcnt(0)
	v_add_f32_e32 v1, v1, v4
	ds_bpermute_b32 v4, v5, v1
	;; [unrolled: 7-line block ×6, first 2 shown]
	s_mov_b32 s1, 0
	v_cmp_eq_u32_e32 vcc, 0, v0
	s_and_b64 exec, exec, vcc
	s_cbranch_execz .LBB112_16
; %bb.15:
	s_load_dwordx2 s[4:5], s[4:5], 0x38
	s_mul_i32 s0, s2, s10
	s_add_i32 s0, s0, s6
	s_mul_i32 s2, s14, s8
	s_add_i32 s0, s0, s2
	s_lshl_b64 s[0:1], s[0:1], 2
	s_waitcnt lgkmcnt(0)
	s_add_u32 s0, s4, s0
	v_add_f32_e32 v0, v1, v2
	s_addc_u32 s1, s5, s1
	v_mov_b32_e32 v1, 0
	global_store_dword v1, v0, s[0:1]
.LBB112_16:
	s_endpgm
	.section	.rodata,"a",@progbits
	.p2align	6, 0x0
	.amdhsa_kernel _ZL13mul_mat_vec_qIL9ggml_type11ELi1ELb0ELb0EEvPKvS2_PKi31ggml_cuda_mm_fusion_args_devicePfj15HIP_vector_typeIjLj3EEjjjS8_jjjS8_jjjj
		.amdhsa_group_segment_fixed_size 256
		.amdhsa_private_segment_fixed_size 0
		.amdhsa_kernarg_size 144
		.amdhsa_user_sgpr_count 6
		.amdhsa_user_sgpr_private_segment_buffer 1
		.amdhsa_user_sgpr_dispatch_ptr 0
		.amdhsa_user_sgpr_queue_ptr 0
		.amdhsa_user_sgpr_kernarg_segment_ptr 1
		.amdhsa_user_sgpr_dispatch_id 0
		.amdhsa_user_sgpr_flat_scratch_init 0
		.amdhsa_user_sgpr_private_segment_size 0
		.amdhsa_uses_dynamic_stack 0
		.amdhsa_system_sgpr_private_segment_wavefront_offset 0
		.amdhsa_system_sgpr_workgroup_id_x 1
		.amdhsa_system_sgpr_workgroup_id_y 1
		.amdhsa_system_sgpr_workgroup_id_z 1
		.amdhsa_system_sgpr_workgroup_info 0
		.amdhsa_system_vgpr_workitem_id 1
		.amdhsa_next_free_vgpr 39
		.amdhsa_next_free_sgpr 24
		.amdhsa_reserve_vcc 1
		.amdhsa_reserve_flat_scratch 0
		.amdhsa_float_round_mode_32 0
		.amdhsa_float_round_mode_16_64 0
		.amdhsa_float_denorm_mode_32 3
		.amdhsa_float_denorm_mode_16_64 3
		.amdhsa_dx10_clamp 1
		.amdhsa_ieee_mode 1
		.amdhsa_fp16_overflow 0
		.amdhsa_exception_fp_ieee_invalid_op 0
		.amdhsa_exception_fp_denorm_src 0
		.amdhsa_exception_fp_ieee_div_zero 0
		.amdhsa_exception_fp_ieee_overflow 0
		.amdhsa_exception_fp_ieee_underflow 0
		.amdhsa_exception_fp_ieee_inexact 0
		.amdhsa_exception_int_div_zero 0
	.end_amdhsa_kernel
	.section	.text._ZL13mul_mat_vec_qIL9ggml_type11ELi1ELb0ELb0EEvPKvS2_PKi31ggml_cuda_mm_fusion_args_devicePfj15HIP_vector_typeIjLj3EEjjjS8_jjjS8_jjjj,"axG",@progbits,_ZL13mul_mat_vec_qIL9ggml_type11ELi1ELb0ELb0EEvPKvS2_PKi31ggml_cuda_mm_fusion_args_devicePfj15HIP_vector_typeIjLj3EEjjjS8_jjjS8_jjjj,comdat
.Lfunc_end112:
	.size	_ZL13mul_mat_vec_qIL9ggml_type11ELi1ELb0ELb0EEvPKvS2_PKi31ggml_cuda_mm_fusion_args_devicePfj15HIP_vector_typeIjLj3EEjjjS8_jjjS8_jjjj, .Lfunc_end112-_ZL13mul_mat_vec_qIL9ggml_type11ELi1ELb0ELb0EEvPKvS2_PKi31ggml_cuda_mm_fusion_args_devicePfj15HIP_vector_typeIjLj3EEjjjS8_jjjS8_jjjj
                                        ; -- End function
	.set _ZL13mul_mat_vec_qIL9ggml_type11ELi1ELb0ELb0EEvPKvS2_PKi31ggml_cuda_mm_fusion_args_devicePfj15HIP_vector_typeIjLj3EEjjjS8_jjjS8_jjjj.num_vgpr, 39
	.set _ZL13mul_mat_vec_qIL9ggml_type11ELi1ELb0ELb0EEvPKvS2_PKi31ggml_cuda_mm_fusion_args_devicePfj15HIP_vector_typeIjLj3EEjjjS8_jjjS8_jjjj.num_agpr, 0
	.set _ZL13mul_mat_vec_qIL9ggml_type11ELi1ELb0ELb0EEvPKvS2_PKi31ggml_cuda_mm_fusion_args_devicePfj15HIP_vector_typeIjLj3EEjjjS8_jjjS8_jjjj.numbered_sgpr, 24
	.set _ZL13mul_mat_vec_qIL9ggml_type11ELi1ELb0ELb0EEvPKvS2_PKi31ggml_cuda_mm_fusion_args_devicePfj15HIP_vector_typeIjLj3EEjjjS8_jjjS8_jjjj.num_named_barrier, 0
	.set _ZL13mul_mat_vec_qIL9ggml_type11ELi1ELb0ELb0EEvPKvS2_PKi31ggml_cuda_mm_fusion_args_devicePfj15HIP_vector_typeIjLj3EEjjjS8_jjjS8_jjjj.private_seg_size, 0
	.set _ZL13mul_mat_vec_qIL9ggml_type11ELi1ELb0ELb0EEvPKvS2_PKi31ggml_cuda_mm_fusion_args_devicePfj15HIP_vector_typeIjLj3EEjjjS8_jjjS8_jjjj.uses_vcc, 1
	.set _ZL13mul_mat_vec_qIL9ggml_type11ELi1ELb0ELb0EEvPKvS2_PKi31ggml_cuda_mm_fusion_args_devicePfj15HIP_vector_typeIjLj3EEjjjS8_jjjS8_jjjj.uses_flat_scratch, 0
	.set _ZL13mul_mat_vec_qIL9ggml_type11ELi1ELb0ELb0EEvPKvS2_PKi31ggml_cuda_mm_fusion_args_devicePfj15HIP_vector_typeIjLj3EEjjjS8_jjjS8_jjjj.has_dyn_sized_stack, 0
	.set _ZL13mul_mat_vec_qIL9ggml_type11ELi1ELb0ELb0EEvPKvS2_PKi31ggml_cuda_mm_fusion_args_devicePfj15HIP_vector_typeIjLj3EEjjjS8_jjjS8_jjjj.has_recursion, 0
	.set _ZL13mul_mat_vec_qIL9ggml_type11ELi1ELb0ELb0EEvPKvS2_PKi31ggml_cuda_mm_fusion_args_devicePfj15HIP_vector_typeIjLj3EEjjjS8_jjjS8_jjjj.has_indirect_call, 0
	.section	.AMDGPU.csdata,"",@progbits
; Kernel info:
; codeLenInByte = 1696
; TotalNumSgprs: 28
; NumVgprs: 39
; ScratchSize: 0
; MemoryBound: 0
; FloatMode: 240
; IeeeMode: 1
; LDSByteSize: 256 bytes/workgroup (compile time only)
; SGPRBlocks: 3
; VGPRBlocks: 9
; NumSGPRsForWavesPerEU: 28
; NumVGPRsForWavesPerEU: 39
; Occupancy: 6
; WaveLimiterHint : 0
; COMPUTE_PGM_RSRC2:SCRATCH_EN: 0
; COMPUTE_PGM_RSRC2:USER_SGPR: 6
; COMPUTE_PGM_RSRC2:TRAP_HANDLER: 0
; COMPUTE_PGM_RSRC2:TGID_X_EN: 1
; COMPUTE_PGM_RSRC2:TGID_Y_EN: 1
; COMPUTE_PGM_RSRC2:TGID_Z_EN: 1
; COMPUTE_PGM_RSRC2:TIDIG_COMP_CNT: 1
	.section	.text._ZL13mul_mat_vec_qIL9ggml_type11ELi2ELb0ELb0EEvPKvS2_PKi31ggml_cuda_mm_fusion_args_devicePfj15HIP_vector_typeIjLj3EEjjjS8_jjjS8_jjjj,"axG",@progbits,_ZL13mul_mat_vec_qIL9ggml_type11ELi2ELb0ELb0EEvPKvS2_PKi31ggml_cuda_mm_fusion_args_devicePfj15HIP_vector_typeIjLj3EEjjjS8_jjjS8_jjjj,comdat
	.globl	_ZL13mul_mat_vec_qIL9ggml_type11ELi2ELb0ELb0EEvPKvS2_PKi31ggml_cuda_mm_fusion_args_devicePfj15HIP_vector_typeIjLj3EEjjjS8_jjjS8_jjjj ; -- Begin function _ZL13mul_mat_vec_qIL9ggml_type11ELi2ELb0ELb0EEvPKvS2_PKi31ggml_cuda_mm_fusion_args_devicePfj15HIP_vector_typeIjLj3EEjjjS8_jjjS8_jjjj
	.p2align	8
	.type	_ZL13mul_mat_vec_qIL9ggml_type11ELi2ELb0ELb0EEvPKvS2_PKi31ggml_cuda_mm_fusion_args_devicePfj15HIP_vector_typeIjLj3EEjjjS8_jjjS8_jjjj,@function
_ZL13mul_mat_vec_qIL9ggml_type11ELi2ELb0ELb0EEvPKvS2_PKi31ggml_cuda_mm_fusion_args_devicePfj15HIP_vector_typeIjLj3EEjjjS8_jjjS8_jjjj: ; @_ZL13mul_mat_vec_qIL9ggml_type11ELi2ELb0ELb0EEvPKvS2_PKi31ggml_cuda_mm_fusion_args_devicePfj15HIP_vector_typeIjLj3EEjjjS8_jjjS8_jjjj
; %bb.0:
	s_load_dword s9, s[4:5], 0x40
	s_load_dwordx4 s[0:3], s[4:5], 0x50
	s_load_dword s25, s[4:5], 0x60
	s_load_dwordx4 s[12:15], s[4:5], 0x68
	;; [unrolled: 2-line block ×3, first 2 shown]
	v_lshl_add_u32 v2, v1, 6, v0
	s_waitcnt lgkmcnt(0)
	s_lshr_b32 s9, s9, 8
	v_lshrrev_b32_e32 v12, 4, v2
	s_lshl_b32 s6, s6, 1
	v_cmp_gt_u32_e32 vcc, s9, v12
	v_mov_b32_e32 v11, 0
	v_mov_b32_e32 v13, 0
	v_mov_b32_e32 v14, 0
	v_mov_b32_e32 v10, 0
	s_and_saveexec_b64 s[10:11], vcc
	s_cbranch_execz .LBB113_4
; %bb.1:
	s_mul_hi_u32 s3, s3, s7
	s_add_i32 s3, s7, s3
	s_load_dwordx4 s[20:23], s[4:5], 0x0
	s_lshr_b32 s3, s3, s25
	v_lshrrev_b32_e32 v2, 1, v0
	s_mul_i32 s3, s3, s12
	s_mul_hi_u32 s12, s15, s8
	v_and_b32_e32 v15, 4, v2
	v_lshlrev_b32_e32 v2, 1, v0
	s_add_i32 s12, s8, s12
	v_and_b32_e32 v5, 30, v2
	v_and_b32_e32 v2, 8, v0
	v_bfe_u32 v16, v0, 2, 1
	s_lshr_b32 s12, s12, s24
	s_mul_i32 s15, s17, s8
	v_or_b32_e32 v3, v16, v2
	s_mul_i32 s12, s12, s16
	s_mul_hi_u32 s16, s15, 36
	s_mul_i32 s15, s15, 36
	v_lshrrev_b32_e32 v17, 1, v2
	v_or_b32_e32 v2, 4, v3
	s_waitcnt lgkmcnt(0)
	s_add_u32 s15, s22, s15
	s_mul_i32 s13, s13, s7
	v_and_b32_e32 v18, 5, v2
	v_lshrrev_b32_e32 v19, 1, v2
	v_or_b32_e32 v2, 6, v3
	s_addc_u32 s16, s23, s16
	s_mul_hi_u32 s17, s13, 36
	s_mul_i32 s13, s13, 36
	v_and_b32_e32 v20, 7, v2
	v_and_b32_e32 v21, 3, v2
	v_lshrrev_b32_e32 v2, 1, v2
	s_add_u32 s22, s15, s13
	v_and_b32_e32 v22, 6, v2
	v_bfe_u32 v2, v0, 3, 1
	s_addc_u32 s23, s16, s17
	s_add_i32 s15, s12, s3
	v_mul_hi_u32_u24_e32 v3, 0x90, v2
	v_mul_u32_u24_e32 v2, 0x90, v2
	s_movk_i32 s12, 0x120
	v_mad_u64_u32 v[2:3], s[12:13], v12, s12, v[2:3]
	s_add_i32 s12, s6, 1
	v_and_b32_e32 v4, 7, v0
	s_mul_i32 s3, s6, s0
	s_mul_i32 s0, s0, s12
	v_lshlrev_b32_e32 v6, 1, v4
	s_add_i32 s3, s15, s3
	s_add_i32 s15, s15, s0
	v_lshlrev_b32_e32 v26, 2, v4
	v_lshlrev_b32_e32 v27, 1, v5
	;; [unrolled: 1-line block ×3, first 2 shown]
	v_lshl_add_u32 v30, v12, 3, s1
	v_mad_u64_u32 v[4:5], s[0:1], v15, 36, s[22:23]
	v_mov_b32_e32 v7, s23
	v_add_co_u32_e32 v2, vcc, s22, v2
	v_mov_b32_e32 v10, 0
	v_mov_b32_e32 v23, v17
	v_addc_co_u32_e32 v3, vcc, v7, v3, vcc
	v_mov_b32_e32 v24, v19
	v_mov_b32_e32 v25, v22
	s_mov_b64 s[12:13], 0
	s_movk_i32 s16, 0x6e
	v_lshlrev_b32_e32 v28, 1, v6
	v_mov_b32_e32 v14, 0
	v_mov_b32_e32 v13, 0
	;; [unrolled: 1-line block ×3, first 2 shown]
.LBB113_2:                              ; =>This Inner Loop Header: Depth=1
	v_add_co_u32_e32 v6, vcc, v2, v26
	v_addc_co_u32_e32 v7, vcc, 0, v3, vcc
	v_mov_b32_e32 v8, s20
	global_load_dword v38, v[6:7], off offset:4
	global_load_dword v47, v[6:7], off offset:40
	;; [unrolled: 1-line block ×4, first 2 shown]
	v_add_u32_e32 v6, s3, v12
	v_mov_b32_e32 v9, s21
	v_mad_i64_i32 v[6:7], s[0:1], v6, s16, v[8:9]
	v_add_u32_e32 v32, s15, v12
	v_mad_i64_i32 v[8:9], s[0:1], v32, s16, v[8:9]
	v_add_co_u32_e32 v32, vcc, v6, v27
	v_addc_co_u32_e32 v33, vcc, 0, v7, vcc
	global_load_dword v34, v[32:33], off offset:32
	v_add_co_u32_e32 v32, vcc, v6, v28
	v_addc_co_u32_e32 v33, vcc, 0, v7, vcc
	global_load_dword v37, v[32:33], off
	v_add_co_u32_e32 v32, vcc, v8, v27
	v_addc_co_u32_e32 v33, vcc, 0, v9, vcc
	v_add_co_u32_e32 v35, vcc, v8, v28
	v_addc_co_u32_e32 v36, vcc, 0, v9, vcc
	global_load_dword v32, v[32:33], off offset:32
	v_add_u32_e32 v12, 8, v12
	global_load_dword v48, v[35:36], off
	v_add_co_u32_e32 v35, vcc, v8, v16
	v_addc_co_u32_e32 v36, vcc, 0, v9, vcc
	global_load_ubyte v46, v[35:36], off offset:106
	global_load_ubyte v44, v[35:36], off offset:98
	;; [unrolled: 1-line block ×4, first 2 shown]
	v_add_co_u32_e32 v35, vcc, v6, v18
	v_addc_co_u32_e32 v36, vcc, 0, v7, vcc
	global_load_ubyte v41, v[35:36], off offset:96
	v_add_co_u32_e32 v35, vcc, v6, v16
	v_addc_co_u32_e32 v36, vcc, 0, v7, vcc
	global_load_ubyte v54, v[35:36], off offset:96
	global_load_ubyte v42, v[35:36], off offset:104
	;; [unrolled: 1-line block ×4, first 2 shown]
	v_add_co_u32_e32 v35, vcc, v8, v18
	v_addc_co_u32_e32 v36, vcc, 0, v9, vcc
	global_load_ubyte v43, v[35:36], off offset:96
	v_add_co_u32_e32 v35, vcc, v8, v20
	v_addc_co_u32_e32 v36, vcc, 0, v9, vcc
	global_load_ubyte v33, v[35:36], off offset:96
	;; [unrolled: 3-line block ×3, first 2 shown]
	s_waitcnt vmcnt(15)
	v_and_b32_e32 v51, 0x3030303, v34
	s_waitcnt vmcnt(13)
	v_and_b32_e32 v62, 0x3030303, v32
	s_waitcnt vmcnt(11)
	v_lshrrev_b32_e32 v36, v17, v46
	s_waitcnt vmcnt(10)
	v_lshrrev_b32_e32 v46, v17, v44
	v_and_b32_e32 v50, 15, v46
	v_lshlrev_b32_e32 v46, 4, v36
	v_and_b32_e32 v36, 48, v46
	v_or_b32_e32 v56, v36, v50
	v_ashrrev_i32_e32 v36, v15, v37
	v_not_b32_e32 v36, v36
	v_lshlrev_b32_e32 v37, 2, v36
	v_and_b32_e32 v37, 0x4040404, v37
	v_bfe_u32 v50, v34, 24, 2
	v_sub_u16_sdwa v50, v50, v37 dst_sel:BYTE_1 dst_unused:UNUSED_PAD src0_sel:DWORD src1_sel:BYTE_3
	v_sub_u16_e32 v52, v51, v37
	v_sub_u16_sdwa v53, v51, v37 dst_sel:BYTE_1 dst_unused:UNUSED_PAD src0_sel:BYTE_1 src1_sel:BYTE_1
	v_sub_u16_sdwa v51, v51, v37 dst_sel:DWORD dst_unused:UNUSED_PAD src0_sel:WORD_1 src1_sel:WORD_1
	v_lshrrev_b32_e32 v37, 2, v34
	v_lshlrev_b32_e32 v58, 1, v36
	v_and_b32_e32 v57, 0x3030303, v37
	v_bfe_u32 v37, v37, 24, 2
	v_and_b32_e32 v58, 0x4040404, v58
	v_sub_u16_sdwa v59, v37, v58 dst_sel:BYTE_1 dst_unused:UNUSED_PAD src0_sel:DWORD src1_sel:BYTE_3
	v_ashrrev_i32_e32 v37, v15, v48
	v_not_b32_e32 v37, v37
	v_lshlrev_b32_e32 v48, 2, v37
	v_sub_u16_e32 v60, v57, v58
	v_sub_u16_sdwa v61, v57, v58 dst_sel:BYTE_1 dst_unused:UNUSED_PAD src0_sel:BYTE_1 src1_sel:BYTE_1
	v_sub_u16_sdwa v57, v57, v58 dst_sel:DWORD dst_unused:UNUSED_PAD src0_sel:WORD_1 src1_sel:WORD_1
	v_and_b32_e32 v48, 0x4040404, v48
	v_bfe_u32 v58, v32, 24, 2
	v_sub_u16_sdwa v58, v58, v48 dst_sel:BYTE_1 dst_unused:UNUSED_PAD src0_sel:DWORD src1_sel:BYTE_3
	v_sub_u16_e32 v63, v62, v48
	v_sub_u16_sdwa v64, v62, v48 dst_sel:BYTE_1 dst_unused:UNUSED_PAD src0_sel:BYTE_1 src1_sel:BYTE_1
	v_sub_u16_sdwa v48, v62, v48 dst_sel:DWORD dst_unused:UNUSED_PAD src0_sel:WORD_1 src1_sel:WORD_1
	v_lshrrev_b32_e32 v62, 2, v32
	v_lshlrev_b32_e32 v66, 1, v37
	v_and_b32_e32 v65, 0x3030303, v62
	v_bfe_u32 v62, v62, 24, 2
	v_and_b32_e32 v66, 0x4040404, v66
	v_sub_u16_sdwa v62, v62, v66 dst_sel:BYTE_1 dst_unused:UNUSED_PAD src0_sel:DWORD src1_sel:BYTE_3
	v_sub_u16_e32 v67, v65, v66
	v_sub_u16_sdwa v68, v65, v66 dst_sel:BYTE_1 dst_unused:UNUSED_PAD src0_sel:BYTE_1 src1_sel:BYTE_1
	v_sub_u16_sdwa v65, v65, v66 dst_sel:DWORD dst_unused:UNUSED_PAD src0_sel:WORD_1 src1_sel:WORD_1
	v_or_b32_sdwa v52, v52, v53 dst_sel:DWORD dst_unused:UNUSED_PAD src0_sel:BYTE_0 src1_sel:DWORD
	v_or_b32_sdwa v50, v51, v50 dst_sel:WORD_1 dst_unused:UNUSED_PAD src0_sel:BYTE_0 src1_sel:DWORD
	v_or_b32_sdwa v53, v60, v61 dst_sel:DWORD dst_unused:UNUSED_PAD src0_sel:BYTE_0 src1_sel:DWORD
	v_or_b32_sdwa v57, v57, v59 dst_sel:WORD_1 dst_unused:UNUSED_PAD src0_sel:BYTE_0 src1_sel:DWORD
	v_or_b32_sdwa v59, v63, v64 dst_sel:DWORD dst_unused:UNUSED_PAD src0_sel:BYTE_0 src1_sel:DWORD
	v_or_b32_sdwa v48, v48, v58 dst_sel:WORD_1 dst_unused:UNUSED_PAD src0_sel:BYTE_0 src1_sel:DWORD
	s_waitcnt vmcnt(9)
	v_bfe_u32 v61, v49, v17, 4
	s_waitcnt vmcnt(8)
	v_lshrrev_b32_e32 v49, v17, v40
	v_or_b32_sdwa v58, v67, v68 dst_sel:DWORD dst_unused:UNUSED_PAD src0_sel:BYTE_0 src1_sel:DWORD
	v_or_b32_sdwa v60, v65, v62 dst_sel:WORD_1 dst_unused:UNUSED_PAD src0_sel:BYTE_0 src1_sel:DWORD
	v_or_b32_sdwa v51, v52, v50 dst_sel:DWORD dst_unused:UNUSED_PAD src0_sel:WORD_0 src1_sel:DWORD
	v_or_b32_sdwa v50, v53, v57 dst_sel:DWORD dst_unused:UNUSED_PAD src0_sel:WORD_0 src1_sel:DWORD
	;; [unrolled: 1-line block ×3, first 2 shown]
	s_waitcnt vmcnt(5)
	v_lshrrev_b32_e32 v48, v17, v42
	v_lshlrev_b32_e32 v62, 4, v49
	v_or_b32_sdwa v52, v58, v60 dst_sel:DWORD dst_unused:UNUSED_PAD src0_sel:WORD_0 src1_sel:DWORD
	v_bfe_u32 v58, v54, v17, 4
	v_lshlrev_b32_e32 v59, 4, v48
	v_and_b32_e32 v49, 48, v62
	v_and_or_b32 v48, v59, 48, v58
	v_or_b32_e32 v49, v49, v61
	v_subrev_u32_e32 v48, 32, v48
	v_dot4_i32_i8 v54, v51, v38, 0
	v_subrev_u32_e32 v49, 32, v49
	v_dot4_i32_i8 v38, v53, v38, 0
	v_mul_lo_u32 v48, v48, v54
	s_waitcnt vmcnt(4)
	v_lshrrev_b32_e32 v54, v17, v55
	v_mul_lo_u32 v38, v49, v38
	v_lshlrev_b32_e32 v60, 4, v54
	s_waitcnt vmcnt(3)
	v_bfe_u32 v54, v45, v17, 4
	v_and_or_b32 v54, v60, 48, v54
	v_subrev_u32_e32 v54, 32, v54
	v_dot4_i32_i8 v55, v50, v47, 0
	v_subrev_u32_e32 v49, 32, v56
	v_dot4_i32_i8 v47, v52, v47, 0
	v_mul_lo_u32 v54, v54, v55
	v_mul_lo_u32 v49, v49, v47
	v_cvt_f32_i32_e32 v55, v38
	global_load_dword v56, v[2:3], off
	global_load_dword v57, v[2:3], off offset:36
	global_load_dword v47, v[2:3], off offset:72
	;; [unrolled: 1-line block ×3, first 2 shown]
	v_cvt_f32_i32_e32 v48, v48
	v_cvt_f32_i32_e32 v54, v54
	;; [unrolled: 1-line block ×3, first 2 shown]
	v_bfe_u32 v44, v44, v17, 4
	v_lshrrev_b32_e32 v45, v17, v45
	v_and_or_b32 v44, v46, 48, v44
	v_and_b32_e32 v46, 48, v59
	v_and_b32_e32 v45, 15, v45
	v_or_b32_e32 v46, v46, v58
	v_subrev_u32_e32 v46, 32, v46
	v_subrev_u32_e32 v44, 32, v44
	v_lshrrev_b32_e32 v59, v19, v40
	v_lshlrev_b32_e32 v59, 4, v59
	v_and_b32_e32 v59, 48, v59
	v_lshrrev_b32_e32 v40, v19, v40
	v_lshlrev_b32_e32 v40, 4, v40
	s_waitcnt vmcnt(3)
	v_fma_mix_f32 v48, v56, v48, 0 op_sel_hi:[1,0,0]
	v_fma_mix_f32 v55, v56, v55, 0 op_sel_hi:[1,0,0]
	s_waitcnt vmcnt(2)
	v_fma_mix_f32 v48, v57, v54, v48 op_sel_hi:[1,0,0]
	v_fma_mix_f32 v49, v57, v49, v55 op_sel_hi:[1,0,0]
	v_mad_u64_u32 v[54:55], s[0:1], v30, 36, v[4:5]
	v_cmp_le_u32_e64 s[0:1], s9, v12
	v_add_u32_e32 v30, 64, v30
	v_add_co_u32_e32 v56, vcc, v54, v29
	v_addc_co_u32_e32 v57, vcc, 0, v55, vcc
	global_load_dword v63, v[56:57], off offset:4
	global_load_dword v64, v[56:57], off offset:40
	;; [unrolled: 1-line block ×4, first 2 shown]
	global_load_dword v67, v[54:55], off
	global_load_dword v68, v[54:55], off offset:36
	global_load_dword v69, v[54:55], off offset:72
	;; [unrolled: 1-line block ×3, first 2 shown]
	v_and_b32_e32 v55, 48, v60
	v_or_b32_e32 v45, v55, v45
	v_and_or_b32 v54, v62, 48, v61
	v_subrev_u32_e32 v45, 32, v45
	v_and_b32_e32 v56, 0x4040404, v37
	v_lshrrev_b32_e32 v37, 1, v37
	v_and_b32_e32 v37, 0x4040404, v37
	s_or_b64 s[12:13], s[0:1], s[12:13]
	s_waitcnt vmcnt(7)
	v_dot4_i32_i8 v51, v51, v63, 0
	s_waitcnt vmcnt(6)
	v_dot4_i32_i8 v50, v50, v64, 0
	v_dot4_i32_i8 v53, v53, v63, 0
	v_mul_lo_u32 v46, v46, v51
	v_mul_lo_u32 v45, v45, v50
	v_subrev_u32_e32 v50, 32, v54
	v_dot4_i32_i8 v52, v52, v64, 0
	v_mul_lo_u32 v50, v50, v53
	v_mul_lo_u32 v44, v44, v52
	v_cvt_f32_i32_e32 v46, v46
	v_cvt_f32_i32_e32 v45, v45
	;; [unrolled: 1-line block ×4, first 2 shown]
	s_waitcnt vmcnt(3)
	v_fma_mix_f32 v46, v67, v46, 0 op_sel_hi:[1,0,0]
	s_waitcnt vmcnt(2)
	v_fma_mix_f32 v45, v68, v45, v46 op_sel_hi:[1,0,0]
	v_fma_mix_f32 v50, v67, v50, 0 op_sel_hi:[1,0,0]
	v_lshrrev_b32_e32 v46, v19, v42
	v_fma_mix_f32 v44, v68, v44, v50 op_sel_hi:[1,0,0]
	v_lshlrev_b32_e32 v46, 4, v46
	v_bfe_u32 v50, v41, v17, 4
	v_and_or_b32 v46, v46, 48, v50
	v_lshrrev_b32_e32 v50, 4, v34
	v_and_b32_e32 v51, 0x3030303, v50
	v_bfe_u32 v50, v50, 24, 2
	v_and_b32_e32 v52, 0x4040404, v36
	v_sub_u16_sdwa v50, v50, v52 dst_sel:BYTE_1 dst_unused:UNUSED_PAD src0_sel:DWORD src1_sel:BYTE_3
	v_sub_u16_e32 v53, v51, v52
	v_sub_u16_sdwa v54, v51, v52 dst_sel:BYTE_1 dst_unused:UNUSED_PAD src0_sel:BYTE_1 src1_sel:BYTE_1
	v_sub_u16_sdwa v51, v51, v52 dst_sel:DWORD dst_unused:UNUSED_PAD src0_sel:WORD_1 src1_sel:WORD_1
	v_lshrrev_b32_e32 v52, 4, v32
	v_and_b32_e32 v55, 0x3030303, v52
	v_bfe_u32 v52, v52, 24, 2
	v_sub_u16_sdwa v52, v52, v56 dst_sel:BYTE_1 dst_unused:UNUSED_PAD src0_sel:DWORD src1_sel:BYTE_3
	v_sub_u16_e32 v57, v55, v56
	v_sub_u16_sdwa v58, v55, v56 dst_sel:BYTE_1 dst_unused:UNUSED_PAD src0_sel:BYTE_1 src1_sel:BYTE_1
	v_sub_u16_sdwa v55, v55, v56 dst_sel:DWORD dst_unused:UNUSED_PAD src0_sel:WORD_1 src1_sel:WORD_1
	v_lshrrev_b32_e32 v56, v17, v43
	v_or_b32_sdwa v53, v53, v54 dst_sel:DWORD dst_unused:UNUSED_PAD src0_sel:BYTE_0 src1_sel:DWORD
	v_or_b32_sdwa v50, v51, v50 dst_sel:WORD_1 dst_unused:UNUSED_PAD src0_sel:BYTE_0 src1_sel:DWORD
	v_and_b32_e32 v56, 15, v56
	v_or_b32_sdwa v51, v57, v58 dst_sel:DWORD dst_unused:UNUSED_PAD src0_sel:BYTE_0 src1_sel:DWORD
	v_or_b32_sdwa v52, v55, v52 dst_sel:WORD_1 dst_unused:UNUSED_PAD src0_sel:BYTE_0 src1_sel:DWORD
	v_or_b32_sdwa v50, v53, v50 dst_sel:DWORD dst_unused:UNUSED_PAD src0_sel:WORD_0 src1_sel:DWORD
	v_or_b32_e32 v56, v59, v56
	v_or_b32_sdwa v51, v51, v52 dst_sel:DWORD dst_unused:UNUSED_PAD src0_sel:WORD_0 src1_sel:DWORD
	v_subrev_u32_e32 v46, 32, v46
	v_dot4_i32_i8 v52, v50, v39, 0
	v_mul_lo_u32 v46, v46, v52
	v_subrev_u32_e32 v52, 32, v56
	v_dot4_i32_i8 v39, v51, v39, 0
	v_mul_lo_u32 v39, v52, v39
	v_cvt_f32_i32_e32 v46, v46
	v_lshrrev_b32_e32 v36, 1, v36
	v_and_b32_e32 v36, 0x4040404, v36
	v_cvt_f32_i32_e32 v39, v39
	v_fma_mix_f32 v46, v47, v46, v48 op_sel_hi:[1,0,0]
	v_fma_mix_f32 v47, v47, v39, v49 op_sel_hi:[1,0,0]
	v_bfe_u32 v39, v43, v17, 4
	v_and_or_b32 v39, v40, 48, v39
	v_lshrrev_b32_e32 v40, v23, v41
	v_lshrrev_b32_e32 v41, v24, v42
	v_lshlrev_b32_e32 v41, 4, v41
	v_and_b32_e32 v40, 15, v40
	v_and_b32_e32 v41, 48, v41
	v_or_b32_e32 v40, v41, v40
	v_dot4_i32_i8 v42, v51, v65, 0
	v_subrev_u32_e32 v39, 32, v39
	v_dot4_i32_i8 v41, v50, v65, 0
	v_subrev_u32_e32 v40, 32, v40
	v_mul_lo_u32 v39, v39, v42
	v_mul_lo_u32 v40, v40, v41
	v_cvt_f32_i32_e32 v39, v39
	v_cvt_f32_i32_e32 v40, v40
	s_waitcnt vmcnt(1)
	v_fma_mix_f32 v42, v69, v39, v44 op_sel_hi:[1,0,0]
	v_add_co_u32_e32 v39, vcc, v6, v21
	v_fma_mix_f32 v41, v69, v40, v45 op_sel_hi:[1,0,0]
	v_addc_co_u32_e32 v40, vcc, 0, v7, vcc
	global_load_ubyte v43, v[39:40], off offset:104
	v_add_co_u32_e32 v39, vcc, v6, v20
	v_addc_co_u32_e32 v40, vcc, 0, v7, vcc
	global_load_ubyte v44, v[39:40], off offset:96
	global_load_ushort v45, v[8:9], off offset:108
	v_lshrrev_b32_e32 v39, v22, v35
	global_load_ushort v6, v[6:7], off offset:108
	v_lshlrev_b32_e32 v39, 4, v39
	v_and_b32_e32 v39, 48, v39
	v_add_co_u32_e32 v2, vcc, 0x900, v2
	v_addc_co_u32_e32 v3, vcc, 0, v3, vcc
	s_waitcnt vmcnt(3)
	v_lshrrev_b32_e32 v8, v22, v43
	v_lshlrev_b32_e32 v8, 4, v8
	s_waitcnt vmcnt(2)
	v_bfe_u32 v9, v44, v17, 4
	v_and_or_b32 v8, v8, 48, v9
	v_lshrrev_b32_e32 v9, v17, v33
	v_and_b32_e32 v9, 15, v9
	v_or_b32_e32 v9, v39, v9
	v_lshrrev_b32_e32 v39, 6, v34
	v_lshrrev_b32_e32 v34, 30, v34
	v_and_b32_e32 v39, 0x3030303, v39
	v_sub_u16_sdwa v34, v34, v36 dst_sel:BYTE_1 dst_unused:UNUSED_PAD src0_sel:DWORD src1_sel:BYTE_3
	v_sub_u16_e32 v40, v39, v36
	v_sub_u16_sdwa v48, v39, v36 dst_sel:BYTE_1 dst_unused:UNUSED_PAD src0_sel:BYTE_1 src1_sel:BYTE_1
	v_sub_u16_sdwa v36, v39, v36 dst_sel:DWORD dst_unused:UNUSED_PAD src0_sel:WORD_1 src1_sel:WORD_1
	v_lshrrev_b32_e32 v39, 6, v32
	v_lshrrev_b32_e32 v32, 30, v32
	v_and_b32_e32 v39, 0x3030303, v39
	v_sub_u16_sdwa v32, v32, v37 dst_sel:BYTE_1 dst_unused:UNUSED_PAD src0_sel:DWORD src1_sel:BYTE_3
	v_sub_u16_e32 v49, v39, v37
	v_sub_u16_sdwa v50, v39, v37 dst_sel:BYTE_1 dst_unused:UNUSED_PAD src0_sel:BYTE_1 src1_sel:BYTE_1
	v_sub_u16_sdwa v37, v39, v37 dst_sel:DWORD dst_unused:UNUSED_PAD src0_sel:WORD_1 src1_sel:WORD_1
	v_or_b32_sdwa v39, v40, v48 dst_sel:DWORD dst_unused:UNUSED_PAD src0_sel:BYTE_0 src1_sel:DWORD
	v_or_b32_sdwa v34, v36, v34 dst_sel:WORD_1 dst_unused:UNUSED_PAD src0_sel:BYTE_0 src1_sel:DWORD
	v_or_b32_sdwa v36, v49, v50 dst_sel:DWORD dst_unused:UNUSED_PAD src0_sel:BYTE_0 src1_sel:DWORD
	v_or_b32_sdwa v32, v37, v32 dst_sel:WORD_1 dst_unused:UNUSED_PAD src0_sel:BYTE_0 src1_sel:DWORD
	v_or_b32_sdwa v34, v39, v34 dst_sel:DWORD dst_unused:UNUSED_PAD src0_sel:WORD_0 src1_sel:DWORD
	v_or_b32_sdwa v32, v36, v32 dst_sel:DWORD dst_unused:UNUSED_PAD src0_sel:WORD_0 src1_sel:DWORD
	v_dot4_i32_i8 v36, v34, v31, 0
	v_subrev_u32_e32 v9, 32, v9
	v_dot4_i32_i8 v31, v32, v31, 0
	v_mul_lo_u32 v9, v9, v31
	v_bfe_u32 v31, v33, v17, 4
	v_lshrrev_b32_e32 v33, v22, v35
	v_lshlrev_b32_e32 v33, 4, v33
	v_lshrrev_b32_e32 v35, v25, v43
	v_and_or_b32 v31, v33, 48, v31
	v_lshrrev_b32_e32 v33, v23, v44
	v_lshlrev_b32_e32 v35, 4, v35
	v_and_b32_e32 v33, 15, v33
	v_and_b32_e32 v35, 48, v35
	v_or_b32_e32 v33, v35, v33
	v_subrev_u32_e32 v8, 32, v8
	v_dot4_i32_i8 v34, v34, v66, 0
	v_dot4_i32_i8 v32, v32, v66, 0
	v_subrev_u32_e32 v33, 32, v33
	v_subrev_u32_e32 v31, 32, v31
	v_mul_lo_u32 v8, v8, v36
	v_mul_lo_u32 v33, v33, v34
	;; [unrolled: 1-line block ×3, first 2 shown]
	v_cvt_f32_i32_e32 v9, v9
	v_cvt_f32_i32_e32 v8, v8
	;; [unrolled: 1-line block ×4, first 2 shown]
	v_fma_mix_f32 v9, v38, v9, v47 op_sel_hi:[1,0,0]
	v_fma_mix_f32 v8, v38, v8, v46 op_sel_hi:[1,0,0]
	;; [unrolled: 1-line block ×4, first 2 shown]
	s_waitcnt vmcnt(0)
	v_fma_mix_f32 v14, v8, v6, v14 op_sel_hi:[0,1,0]
	v_fma_mix_f32 v11, v32, v6, v11 op_sel_hi:[0,1,0]
	;; [unrolled: 1-line block ×4, first 2 shown]
	s_andn2_b64 exec, exec, s[12:13]
	s_cbranch_execnz .LBB113_2
; %bb.3:
	s_or_b64 exec, exec, s[12:13]
.LBB113_4:
	s_or_b64 exec, exec, s[10:11]
	v_cmp_eq_u32_e32 vcc, 0, v1
	v_cmp_ne_u32_e64 s[0:1], 0, v1
	v_lshlrev_b32_e32 v2, 2, v0
	s_and_saveexec_b64 s[10:11], s[0:1]
	s_cbranch_execz .LBB113_6
; %bb.5:
	v_lshl_or_b32 v1, v1, 10, v2
	v_add_u32_e32 v1, 0xfffffc00, v1
	ds_write2st64_b32 v1, v14, v13 offset1:1
	ds_write2st64_b32 v1, v11, v10 offset0:2 offset1:3
.LBB113_6:
	s_or_b64 exec, exec, s[10:11]
	s_waitcnt lgkmcnt(0)
	s_barrier
	s_and_saveexec_b64 s[0:1], vcc
	s_cbranch_execz .LBB113_11
; %bb.7:
	v_mbcnt_lo_u32_b32 v1, -1, 0
	v_mbcnt_hi_u32_b32 v7, -1, v1
	ds_read2st64_b32 v[5:6], v2 offset1:1
	v_and_b32_e32 v1, 64, v7
	v_add_u32_e32 v8, 64, v1
	v_xor_b32_e32 v1, 32, v7
	v_cmp_lt_i32_e32 vcc, v1, v8
	v_cndmask_b32_e32 v1, v7, v1, vcc
	v_lshlrev_b32_e32 v1, 2, v1
	s_waitcnt lgkmcnt(0)
	v_add_f32_e32 v12, v5, v14
	v_add_f32_e32 v6, v6, v13
	ds_bpermute_b32 v14, v1, v12
	ds_bpermute_b32 v13, v1, v6
	v_xor_b32_e32 v3, 16, v7
	v_cmp_lt_i32_e32 vcc, v3, v8
	v_cndmask_b32_e32 v3, v7, v3, vcc
	v_lshlrev_b32_e32 v3, 2, v3
	s_waitcnt lgkmcnt(1)
	v_add_f32_e32 v12, v12, v14
	s_waitcnt lgkmcnt(0)
	v_add_f32_e32 v6, v6, v13
	ds_bpermute_b32 v14, v3, v12
	ds_bpermute_b32 v13, v3, v6
	v_xor_b32_e32 v4, 8, v7
	v_cmp_lt_i32_e32 vcc, v4, v8
	v_cndmask_b32_e32 v4, v7, v4, vcc
	v_lshlrev_b32_e32 v4, 2, v4
	s_waitcnt lgkmcnt(1)
	v_add_f32_e32 v12, v12, v14
	s_waitcnt lgkmcnt(0)
	;; [unrolled: 10-line block ×3, first 2 shown]
	v_add_f32_e32 v13, v13, v15
	ds_bpermute_b32 v14, v5, v12
	ds_bpermute_b32 v15, v5, v13
	v_xor_b32_e32 v9, 2, v7
	v_cmp_lt_i32_e32 vcc, v9, v8
	v_cndmask_b32_e32 v9, v7, v9, vcc
	v_lshlrev_b32_e32 v6, 2, v9
	v_xor_b32_e32 v9, 1, v7
	v_cmp_lt_i32_e32 vcc, v9, v8
	s_waitcnt lgkmcnt(1)
	v_add_f32_e32 v8, v12, v14
	s_waitcnt lgkmcnt(0)
	v_add_f32_e32 v13, v13, v15
	ds_bpermute_b32 v12, v6, v8
	ds_bpermute_b32 v14, v6, v13
	s_load_dwordx2 s[0:1], s[4:5], 0x38
	v_cndmask_b32_e32 v7, v7, v9, vcc
	s_mul_i32 s4, s14, s7
	v_lshlrev_b32_e32 v9, 2, v7
	s_waitcnt lgkmcnt(0)
	v_add_f32_e32 v7, v8, v12
	v_add_f32_e32 v12, v13, v14
	s_mul_i32 s3, s18, s8
	s_add_i32 s4, s4, s6
	ds_bpermute_b32 v8, v9, v7
	ds_bpermute_b32 v13, v9, v12
	s_add_i32 s4, s4, s3
	s_mov_b32 s5, 0
	s_lshl_b64 s[4:5], s[4:5], 2
	s_add_u32 s4, s0, s4
	v_add_u32_e32 v14, s6, v0
	s_addc_u32 s5, s1, s5
	v_cmp_gt_u32_e32 vcc, 2, v0
	v_cmp_gt_u32_e64 s[0:1], s2, v14
	s_and_b64 s[0:1], vcc, s[0:1]
	s_waitcnt lgkmcnt(1)
	v_add_f32_e32 v7, v7, v8
	s_waitcnt lgkmcnt(0)
	v_add_f32_e32 v8, v12, v13
	s_and_saveexec_b64 s[6:7], s[0:1]
	s_cbranch_execz .LBB113_9
; %bb.8:
	v_cmp_eq_u32_e32 vcc, 1, v0
	v_cndmask_b32_e32 v12, v7, v8, vcc
	v_cmp_eq_u32_e32 vcc, 2, v0
	v_cndmask_b32_e32 v12, v12, v11, vcc
	;; [unrolled: 2-line block ×3, first 2 shown]
	global_store_dword v2, v12, s[4:5]
.LBB113_9:
	s_or_b64 exec, exec, s[6:7]
	ds_read2st64_b32 v[12:13], v2 offset0:2 offset1:3
	s_waitcnt lgkmcnt(0)
	v_add_f32_e32 v2, v12, v11
	v_add_f32_e32 v10, v13, v10
	ds_bpermute_b32 v11, v1, v2
	ds_bpermute_b32 v1, v1, v10
	s_waitcnt lgkmcnt(1)
	v_add_f32_e32 v2, v2, v11
	s_waitcnt lgkmcnt(0)
	v_add_f32_e32 v1, v10, v1
	ds_bpermute_b32 v10, v3, v2
	ds_bpermute_b32 v3, v3, v1
	s_waitcnt lgkmcnt(1)
	v_add_f32_e32 v2, v2, v10
	s_waitcnt lgkmcnt(0)
	;; [unrolled: 6-line block ×5, first 2 shown]
	v_add_f32_e32 v2, v3, v4
	ds_bpermute_b32 v3, v9, v1
	ds_bpermute_b32 v4, v9, v2
	s_and_b64 exec, exec, s[0:1]
	s_cbranch_execz .LBB113_11
; %bb.10:
	s_waitcnt lgkmcnt(1)
	v_add_f32_e32 v1, v1, v3
	v_add_u32_e32 v3, 2, v0
	v_cmp_eq_u32_e32 vcc, 1, v3
	s_waitcnt lgkmcnt(0)
	v_add_f32_e32 v2, v2, v4
	v_cndmask_b32_e32 v4, v7, v8, vcc
	v_cmp_eq_u32_e32 vcc, 2, v3
	v_cndmask_b32_e32 v1, v4, v1, vcc
	v_cmp_eq_u32_e32 vcc, 3, v3
	v_cndmask_b32_e32 v2, v1, v2, vcc
	v_add_u32_e32 v0, s2, v0
	v_mov_b32_e32 v1, 0
	v_lshlrev_b64 v[0:1], 2, v[0:1]
	v_mov_b32_e32 v3, s5
	v_add_co_u32_e32 v0, vcc, s4, v0
	v_addc_co_u32_e32 v1, vcc, v3, v1, vcc
	global_store_dword v[0:1], v2, off
.LBB113_11:
	s_endpgm
	.section	.rodata,"a",@progbits
	.p2align	6, 0x0
	.amdhsa_kernel _ZL13mul_mat_vec_qIL9ggml_type11ELi2ELb0ELb0EEvPKvS2_PKi31ggml_cuda_mm_fusion_args_devicePfj15HIP_vector_typeIjLj3EEjjjS8_jjjS8_jjjj
		.amdhsa_group_segment_fixed_size 1024
		.amdhsa_private_segment_fixed_size 0
		.amdhsa_kernarg_size 144
		.amdhsa_user_sgpr_count 6
		.amdhsa_user_sgpr_private_segment_buffer 1
		.amdhsa_user_sgpr_dispatch_ptr 0
		.amdhsa_user_sgpr_queue_ptr 0
		.amdhsa_user_sgpr_kernarg_segment_ptr 1
		.amdhsa_user_sgpr_dispatch_id 0
		.amdhsa_user_sgpr_flat_scratch_init 0
		.amdhsa_user_sgpr_private_segment_size 0
		.amdhsa_uses_dynamic_stack 0
		.amdhsa_system_sgpr_private_segment_wavefront_offset 0
		.amdhsa_system_sgpr_workgroup_id_x 1
		.amdhsa_system_sgpr_workgroup_id_y 1
		.amdhsa_system_sgpr_workgroup_id_z 1
		.amdhsa_system_sgpr_workgroup_info 0
		.amdhsa_system_vgpr_workitem_id 1
		.amdhsa_next_free_vgpr 71
		.amdhsa_next_free_sgpr 26
		.amdhsa_reserve_vcc 1
		.amdhsa_reserve_flat_scratch 0
		.amdhsa_float_round_mode_32 0
		.amdhsa_float_round_mode_16_64 0
		.amdhsa_float_denorm_mode_32 3
		.amdhsa_float_denorm_mode_16_64 3
		.amdhsa_dx10_clamp 1
		.amdhsa_ieee_mode 1
		.amdhsa_fp16_overflow 0
		.amdhsa_exception_fp_ieee_invalid_op 0
		.amdhsa_exception_fp_denorm_src 0
		.amdhsa_exception_fp_ieee_div_zero 0
		.amdhsa_exception_fp_ieee_overflow 0
		.amdhsa_exception_fp_ieee_underflow 0
		.amdhsa_exception_fp_ieee_inexact 0
		.amdhsa_exception_int_div_zero 0
	.end_amdhsa_kernel
	.section	.text._ZL13mul_mat_vec_qIL9ggml_type11ELi2ELb0ELb0EEvPKvS2_PKi31ggml_cuda_mm_fusion_args_devicePfj15HIP_vector_typeIjLj3EEjjjS8_jjjS8_jjjj,"axG",@progbits,_ZL13mul_mat_vec_qIL9ggml_type11ELi2ELb0ELb0EEvPKvS2_PKi31ggml_cuda_mm_fusion_args_devicePfj15HIP_vector_typeIjLj3EEjjjS8_jjjS8_jjjj,comdat
.Lfunc_end113:
	.size	_ZL13mul_mat_vec_qIL9ggml_type11ELi2ELb0ELb0EEvPKvS2_PKi31ggml_cuda_mm_fusion_args_devicePfj15HIP_vector_typeIjLj3EEjjjS8_jjjS8_jjjj, .Lfunc_end113-_ZL13mul_mat_vec_qIL9ggml_type11ELi2ELb0ELb0EEvPKvS2_PKi31ggml_cuda_mm_fusion_args_devicePfj15HIP_vector_typeIjLj3EEjjjS8_jjjS8_jjjj
                                        ; -- End function
	.set _ZL13mul_mat_vec_qIL9ggml_type11ELi2ELb0ELb0EEvPKvS2_PKi31ggml_cuda_mm_fusion_args_devicePfj15HIP_vector_typeIjLj3EEjjjS8_jjjS8_jjjj.num_vgpr, 71
	.set _ZL13mul_mat_vec_qIL9ggml_type11ELi2ELb0ELb0EEvPKvS2_PKi31ggml_cuda_mm_fusion_args_devicePfj15HIP_vector_typeIjLj3EEjjjS8_jjjS8_jjjj.num_agpr, 0
	.set _ZL13mul_mat_vec_qIL9ggml_type11ELi2ELb0ELb0EEvPKvS2_PKi31ggml_cuda_mm_fusion_args_devicePfj15HIP_vector_typeIjLj3EEjjjS8_jjjS8_jjjj.numbered_sgpr, 26
	.set _ZL13mul_mat_vec_qIL9ggml_type11ELi2ELb0ELb0EEvPKvS2_PKi31ggml_cuda_mm_fusion_args_devicePfj15HIP_vector_typeIjLj3EEjjjS8_jjjS8_jjjj.num_named_barrier, 0
	.set _ZL13mul_mat_vec_qIL9ggml_type11ELi2ELb0ELb0EEvPKvS2_PKi31ggml_cuda_mm_fusion_args_devicePfj15HIP_vector_typeIjLj3EEjjjS8_jjjS8_jjjj.private_seg_size, 0
	.set _ZL13mul_mat_vec_qIL9ggml_type11ELi2ELb0ELb0EEvPKvS2_PKi31ggml_cuda_mm_fusion_args_devicePfj15HIP_vector_typeIjLj3EEjjjS8_jjjS8_jjjj.uses_vcc, 1
	.set _ZL13mul_mat_vec_qIL9ggml_type11ELi2ELb0ELb0EEvPKvS2_PKi31ggml_cuda_mm_fusion_args_devicePfj15HIP_vector_typeIjLj3EEjjjS8_jjjS8_jjjj.uses_flat_scratch, 0
	.set _ZL13mul_mat_vec_qIL9ggml_type11ELi2ELb0ELb0EEvPKvS2_PKi31ggml_cuda_mm_fusion_args_devicePfj15HIP_vector_typeIjLj3EEjjjS8_jjjS8_jjjj.has_dyn_sized_stack, 0
	.set _ZL13mul_mat_vec_qIL9ggml_type11ELi2ELb0ELb0EEvPKvS2_PKi31ggml_cuda_mm_fusion_args_devicePfj15HIP_vector_typeIjLj3EEjjjS8_jjjS8_jjjj.has_recursion, 0
	.set _ZL13mul_mat_vec_qIL9ggml_type11ELi2ELb0ELb0EEvPKvS2_PKi31ggml_cuda_mm_fusion_args_devicePfj15HIP_vector_typeIjLj3EEjjjS8_jjjS8_jjjj.has_indirect_call, 0
	.section	.AMDGPU.csdata,"",@progbits
; Kernel info:
; codeLenInByte = 3304
; TotalNumSgprs: 30
; NumVgprs: 71
; ScratchSize: 0
; MemoryBound: 0
; FloatMode: 240
; IeeeMode: 1
; LDSByteSize: 1024 bytes/workgroup (compile time only)
; SGPRBlocks: 3
; VGPRBlocks: 17
; NumSGPRsForWavesPerEU: 30
; NumVGPRsForWavesPerEU: 71
; Occupancy: 3
; WaveLimiterHint : 0
; COMPUTE_PGM_RSRC2:SCRATCH_EN: 0
; COMPUTE_PGM_RSRC2:USER_SGPR: 6
; COMPUTE_PGM_RSRC2:TRAP_HANDLER: 0
; COMPUTE_PGM_RSRC2:TGID_X_EN: 1
; COMPUTE_PGM_RSRC2:TGID_Y_EN: 1
; COMPUTE_PGM_RSRC2:TGID_Z_EN: 1
; COMPUTE_PGM_RSRC2:TIDIG_COMP_CNT: 1
	.section	.text._ZL13mul_mat_vec_qIL9ggml_type11ELi3ELb0ELb0EEvPKvS2_PKi31ggml_cuda_mm_fusion_args_devicePfj15HIP_vector_typeIjLj3EEjjjS8_jjjS8_jjjj,"axG",@progbits,_ZL13mul_mat_vec_qIL9ggml_type11ELi3ELb0ELb0EEvPKvS2_PKi31ggml_cuda_mm_fusion_args_devicePfj15HIP_vector_typeIjLj3EEjjjS8_jjjS8_jjjj,comdat
	.globl	_ZL13mul_mat_vec_qIL9ggml_type11ELi3ELb0ELb0EEvPKvS2_PKi31ggml_cuda_mm_fusion_args_devicePfj15HIP_vector_typeIjLj3EEjjjS8_jjjS8_jjjj ; -- Begin function _ZL13mul_mat_vec_qIL9ggml_type11ELi3ELb0ELb0EEvPKvS2_PKi31ggml_cuda_mm_fusion_args_devicePfj15HIP_vector_typeIjLj3EEjjjS8_jjjS8_jjjj
	.p2align	8
	.type	_ZL13mul_mat_vec_qIL9ggml_type11ELi3ELb0ELb0EEvPKvS2_PKi31ggml_cuda_mm_fusion_args_devicePfj15HIP_vector_typeIjLj3EEjjjS8_jjjS8_jjjj,@function
_ZL13mul_mat_vec_qIL9ggml_type11ELi3ELb0ELb0EEvPKvS2_PKi31ggml_cuda_mm_fusion_args_devicePfj15HIP_vector_typeIjLj3EEjjjS8_jjjS8_jjjj: ; @_ZL13mul_mat_vec_qIL9ggml_type11ELi3ELb0ELb0EEvPKvS2_PKi31ggml_cuda_mm_fusion_args_devicePfj15HIP_vector_typeIjLj3EEjjjS8_jjjS8_jjjj
; %bb.0:
	s_load_dword s9, s[4:5], 0x40
	s_load_dwordx4 s[0:3], s[4:5], 0x50
	s_load_dword s25, s[4:5], 0x60
	s_load_dwordx4 s[12:15], s[4:5], 0x68
	;; [unrolled: 2-line block ×3, first 2 shown]
	v_lshl_add_u32 v2, v1, 6, v0
	s_waitcnt lgkmcnt(0)
	s_lshr_b32 s9, s9, 8
	v_lshrrev_b32_e32 v15, 4, v2
	v_mov_b32_e32 v11, 0
	s_lshl_b32 s6, s6, 1
	v_cmp_gt_u32_e32 vcc, s9, v15
	v_mov_b32_e32 v12, v11
	v_mov_b32_e32 v13, v11
	;; [unrolled: 1-line block ×5, first 2 shown]
	s_and_saveexec_b64 s[10:11], vcc
	s_cbranch_execz .LBB114_4
; %bb.1:
	s_mul_hi_u32 s3, s3, s7
	s_add_i32 s3, s7, s3
	s_load_dwordx4 s[20:23], s[4:5], 0x0
	s_lshr_b32 s3, s3, s25
	s_mul_i32 s3, s3, s12
	s_mul_hi_u32 s12, s15, s8
	v_lshrrev_b32_e32 v2, 1, v0
	s_add_i32 s12, s8, s12
	v_and_b32_e32 v17, 4, v2
	v_lshlrev_b32_e32 v2, 1, v0
	s_lshr_b32 s12, s12, s24
	s_mul_i32 s15, s17, s8
	v_and_b32_e32 v5, 30, v2
	v_and_b32_e32 v2, 8, v0
	v_bfe_u32 v18, v0, 2, 1
	s_mul_i32 s12, s12, s16
	s_mul_hi_u32 s16, s15, 36
	s_mul_i32 s15, s15, 36
	v_or_b32_e32 v3, v18, v2
	s_waitcnt lgkmcnt(0)
	s_add_u32 s15, s22, s15
	s_mul_i32 s13, s13, s7
	v_lshrrev_b32_e32 v19, 1, v2
	v_or_b32_e32 v2, 4, v3
	s_addc_u32 s16, s23, s16
	s_mul_hi_u32 s17, s13, 36
	s_mul_i32 s13, s13, 36
	v_and_b32_e32 v20, 5, v2
	v_lshrrev_b32_e32 v21, 1, v2
	v_or_b32_e32 v2, 6, v3
	s_add_u32 s22, s15, s13
	v_and_b32_e32 v22, 7, v2
	v_and_b32_e32 v23, 3, v2
	v_lshrrev_b32_e32 v2, 1, v2
	s_addc_u32 s23, s16, s17
	s_add_i32 s15, s12, s3
	v_and_b32_e32 v24, 6, v2
	s_add_i32 s12, s6, 1
	v_bfe_u32 v2, v0, 3, 1
	s_mul_i32 s3, s6, s0
	s_mul_i32 s0, s0, s12
	v_mul_hi_u32_u24_e32 v3, 0x90, v2
	v_mul_u32_u24_e32 v2, 0x90, v2
	s_movk_i32 s12, 0x120
	v_mad_u64_u32 v[2:3], s[12:13], v15, s12, v[2:3]
	v_mov_b32_e32 v7, s23
	v_and_b32_e32 v4, 7, v0
	v_add_co_u32_e32 v2, vcc, s22, v2
	v_addc_co_u32_e32 v3, vcc, v7, v3, vcc
	v_lshlrev_b32_e32 v7, 3, v15
	v_lshlrev_b32_e32 v6, 1, v4
	s_add_i32 s3, s15, s3
	s_add_i32 s15, s15, s0
	v_lshlrev_b32_e32 v26, 2, v4
	v_add_u32_e32 v27, s1, v7
	v_lshl_add_u32 v28, s1, 1, v7
	v_lshlrev_b32_e32 v29, 1, v5
	v_lshlrev_b32_e32 v31, 2, v4
	v_mad_u64_u32 v[4:5], s[0:1], v17, 36, s[22:23]
	v_mov_b32_e32 v10, 0
	v_mov_b32_e32 v25, v19
	s_mov_b64 s[12:13], 0
	s_movk_i32 s16, 0x6e
	v_lshlrev_b32_e32 v30, 1, v6
	v_mov_b32_e32 v32, v21
	v_mov_b32_e32 v33, v24
	;; [unrolled: 1-line block ×7, first 2 shown]
.LBB114_2:                              ; =>This Inner Loop Header: Depth=1
	v_add_co_u32_e32 v6, vcc, v2, v26
	v_addc_co_u32_e32 v7, vcc, 0, v3, vcc
	v_mov_b32_e32 v8, s20
	global_load_dword v41, v[6:7], off offset:4
	global_load_dword v47, v[6:7], off offset:40
	;; [unrolled: 1-line block ×4, first 2 shown]
	v_add_u32_e32 v6, s3, v15
	v_mov_b32_e32 v9, s21
	v_mad_i64_i32 v[6:7], s[0:1], v6, s16, v[8:9]
	v_add_u32_e32 v35, s15, v15
	v_mad_i64_i32 v[8:9], s[0:1], v35, s16, v[8:9]
	v_add_co_u32_e32 v35, vcc, v6, v30
	v_addc_co_u32_e32 v36, vcc, 0, v7, vcc
	global_load_dword v48, v[35:36], off
	v_add_co_u32_e32 v35, vcc, v6, v29
	v_addc_co_u32_e32 v36, vcc, 0, v7, vcc
	global_load_dword v38, v[35:36], off offset:32
	v_add_co_u32_e32 v35, vcc, v8, v30
	v_addc_co_u32_e32 v36, vcc, 0, v9, vcc
	global_load_dword v50, v[35:36], off
	v_add_co_u32_e32 v35, vcc, v8, v29
	v_addc_co_u32_e32 v36, vcc, 0, v9, vcc
	global_load_dword v36, v[35:36], off offset:32
	v_add_co_u32_e32 v39, vcc, v6, v20
	v_addc_co_u32_e32 v40, vcc, 0, v7, vcc
	global_load_ubyte v43, v[39:40], off offset:96
	v_add_co_u32_e32 v39, vcc, v6, v18
	v_addc_co_u32_e32 v40, vcc, 0, v7, vcc
	global_load_ubyte v44, v[39:40], off offset:104
	global_load_ubyte v51, v[39:40], off offset:106
	;; [unrolled: 1-line block ×4, first 2 shown]
	v_add_co_u32_e32 v39, vcc, v8, v18
	v_addc_co_u32_e32 v40, vcc, 0, v9, vcc
	global_load_ubyte v57, v[39:40], off offset:96
	global_load_ubyte v45, v[39:40], off offset:104
	;; [unrolled: 1-line block ×4, first 2 shown]
	v_add_co_u32_e32 v39, vcc, v8, v20
	v_addc_co_u32_e32 v40, vcc, 0, v9, vcc
	global_load_ubyte v46, v[39:40], off offset:96
	v_add_co_u32_e32 v39, vcc, v8, v22
	v_addc_co_u32_e32 v40, vcc, 0, v9, vcc
	global_load_ubyte v35, v[39:40], off offset:96
	;; [unrolled: 3-line block ×3, first 2 shown]
	v_add_u32_e32 v15, 8, v15
	s_waitcnt vmcnt(15)
	v_ashrrev_i32_e32 v39, v17, v48
	v_not_b32_e32 v39, v39
	v_lshlrev_b32_e32 v40, 2, v39
	v_and_b32_e32 v40, 0x4040404, v40
	v_lshlrev_b32_e32 v58, 1, v39
	s_waitcnt vmcnt(14)
	v_bfe_u32 v48, v38, 24, 2
	v_and_b32_e32 v53, 0x3030303, v38
	v_sub_u16_sdwa v48, v48, v40 dst_sel:BYTE_1 dst_unused:UNUSED_PAD src0_sel:DWORD src1_sel:BYTE_3
	v_sub_u16_e32 v54, v53, v40
	v_sub_u16_sdwa v55, v53, v40 dst_sel:BYTE_1 dst_unused:UNUSED_PAD src0_sel:BYTE_1 src1_sel:BYTE_1
	v_sub_u16_sdwa v53, v53, v40 dst_sel:DWORD dst_unused:UNUSED_PAD src0_sel:WORD_1 src1_sel:WORD_1
	v_lshrrev_b32_e32 v40, 2, v38
	v_and_b32_e32 v56, 0x3030303, v40
	v_bfe_u32 v40, v40, 24, 2
	v_and_b32_e32 v58, 0x4040404, v58
	v_sub_u16_sdwa v59, v40, v58 dst_sel:BYTE_1 dst_unused:UNUSED_PAD src0_sel:DWORD src1_sel:BYTE_3
	s_waitcnt vmcnt(13)
	v_ashrrev_i32_e32 v40, v17, v50
	v_not_b32_e32 v40, v40
	v_lshlrev_b32_e32 v50, 2, v40
	v_sub_u16_e32 v60, v56, v58
	v_sub_u16_sdwa v62, v56, v58 dst_sel:BYTE_1 dst_unused:UNUSED_PAD src0_sel:BYTE_1 src1_sel:BYTE_1
	v_sub_u16_sdwa v56, v56, v58 dst_sel:DWORD dst_unused:UNUSED_PAD src0_sel:WORD_1 src1_sel:WORD_1
	v_and_b32_e32 v50, 0x4040404, v50
	s_waitcnt vmcnt(12)
	v_bfe_u32 v58, v36, 24, 2
	v_and_b32_e32 v63, 0x3030303, v36
	v_sub_u16_sdwa v58, v58, v50 dst_sel:BYTE_1 dst_unused:UNUSED_PAD src0_sel:DWORD src1_sel:BYTE_3
	v_sub_u16_e32 v64, v63, v50
	v_sub_u16_sdwa v65, v63, v50 dst_sel:BYTE_1 dst_unused:UNUSED_PAD src0_sel:BYTE_1 src1_sel:BYTE_1
	v_sub_u16_sdwa v50, v63, v50 dst_sel:DWORD dst_unused:UNUSED_PAD src0_sel:WORD_1 src1_sel:WORD_1
	v_lshrrev_b32_e32 v63, 2, v36
	v_lshlrev_b32_e32 v68, 1, v40
	v_and_b32_e32 v67, 0x3030303, v63
	v_bfe_u32 v63, v63, 24, 2
	v_and_b32_e32 v68, 0x4040404, v68
	v_sub_u16_sdwa v63, v63, v68 dst_sel:BYTE_1 dst_unused:UNUSED_PAD src0_sel:DWORD src1_sel:BYTE_3
	v_sub_u16_e32 v69, v67, v68
	v_sub_u16_sdwa v70, v67, v68 dst_sel:BYTE_1 dst_unused:UNUSED_PAD src0_sel:BYTE_1 src1_sel:BYTE_1
	v_sub_u16_sdwa v67, v67, v68 dst_sel:DWORD dst_unused:UNUSED_PAD src0_sel:WORD_1 src1_sel:WORD_1
	v_or_b32_sdwa v54, v54, v55 dst_sel:DWORD dst_unused:UNUSED_PAD src0_sel:BYTE_0 src1_sel:DWORD
	v_or_b32_sdwa v48, v53, v48 dst_sel:WORD_1 dst_unused:UNUSED_PAD src0_sel:BYTE_0 src1_sel:DWORD
	v_or_b32_sdwa v53, v60, v62 dst_sel:DWORD dst_unused:UNUSED_PAD src0_sel:BYTE_0 src1_sel:DWORD
	v_or_b32_sdwa v55, v56, v59 dst_sel:WORD_1 dst_unused:UNUSED_PAD src0_sel:BYTE_0 src1_sel:DWORD
	v_or_b32_sdwa v50, v50, v58 dst_sel:WORD_1 dst_unused:UNUSED_PAD src0_sel:BYTE_0 src1_sel:DWORD
	v_or_b32_sdwa v58, v69, v70 dst_sel:DWORD dst_unused:UNUSED_PAD src0_sel:BYTE_0 src1_sel:DWORD
	v_or_b32_sdwa v59, v67, v63 dst_sel:WORD_1 dst_unused:UNUSED_PAD src0_sel:BYTE_0 src1_sel:DWORD
	v_or_b32_sdwa v54, v54, v48 dst_sel:DWORD dst_unused:UNUSED_PAD src0_sel:WORD_0 src1_sel:DWORD
	s_waitcnt vmcnt(10)
	v_lshrrev_b32_e32 v48, v19, v44
	v_or_b32_sdwa v53, v53, v55 dst_sel:DWORD dst_unused:UNUSED_PAD src0_sel:WORD_0 src1_sel:DWORD
	v_or_b32_sdwa v55, v58, v59 dst_sel:DWORD dst_unused:UNUSED_PAD src0_sel:WORD_0 src1_sel:DWORD
	s_waitcnt vmcnt(8)
	v_bfe_u32 v58, v52, v19, 4
	v_lshlrev_b32_e32 v59, 4, v48
	s_waitcnt vmcnt(5)
	v_lshrrev_b32_e32 v48, v19, v45
	v_or_b32_sdwa v56, v64, v65 dst_sel:DWORD dst_unused:UNUSED_PAD src0_sel:BYTE_0 src1_sel:DWORD
	v_bfe_u32 v67, v57, v19, 4
	v_lshlrev_b32_e32 v68, 4, v48
	v_and_or_b32 v48, v59, 48, v58
	v_or_b32_sdwa v56, v56, v50 dst_sel:DWORD dst_unused:UNUSED_PAD src0_sel:WORD_0 src1_sel:DWORD
	v_subrev_u32_e32 v69, 32, v48
	v_and_or_b32 v48, v68, 48, v67
	v_subrev_u32_e32 v57, 32, v48
	v_dot4_i32_i8 v48, v54, v41, 0
	v_dot4_i32_i8 v41, v56, v41, 0
	v_mul_lo_u32 v41, v57, v41
	v_mul_lo_u32 v48, v69, v48
	v_lshrrev_b32_e32 v51, v19, v51
	v_and_b32_e32 v59, 48, v59
	v_cvt_f32_i32_e32 v52, v41
	global_load_dword v60, v[2:3], off
	global_load_dword v62, v[2:3], off offset:36
	global_load_dword v50, v[2:3], off offset:72
	global_load_dword v41, v[2:3], off offset:108
	v_cvt_f32_i32_e32 v48, v48
	v_or_b32_e32 v58, v59, v58
	v_subrev_u32_e32 v58, 32, v58
	s_waitcnt vmcnt(3)
	v_fma_mix_f32 v48, v60, v48, 0 op_sel_hi:[1,0,0]
	v_fma_mix_f32 v52, v60, v52, 0 op_sel_hi:[1,0,0]
	v_lshlrev_b32_e32 v60, 4, v51
	v_bfe_u32 v51, v49, v19, 4
	v_and_or_b32 v51, v60, 48, v51
	v_subrev_u32_e32 v70, 32, v51
	v_dot4_i32_i8 v51, v53, v47, 0
	v_mul_lo_u32 v51, v70, v51
	v_dot4_i32_i8 v47, v55, v47, 0
	v_lshrrev_b32_e32 v49, v19, v49
	v_and_b32_e32 v49, 15, v49
	v_cvt_f32_i32_e32 v51, v51
	v_and_b32_e32 v59, 48, v60
	v_or_b32_e32 v49, v59, v49
	v_subrev_u32_e32 v49, 32, v49
	s_waitcnt vmcnt(2)
	v_fma_mix_f32 v51, v62, v51, v48 op_sel_hi:[1,0,0]
	v_lshrrev_b32_e32 v48, v19, v61
	v_lshlrev_b32_e32 v71, 4, v48
	v_bfe_u32 v48, v66, v19, 4
	v_and_or_b32 v48, v71, 48, v48
	v_subrev_u32_e32 v61, 32, v48
	v_mul_lo_u32 v47, v61, v47
	v_cvt_f32_i32_e32 v47, v47
	v_fma_mix_f32 v52, v62, v47, v52 op_sel_hi:[1,0,0]
	v_mad_u64_u32 v[62:63], s[0:1], v27, 36, v[4:5]
	v_add_u32_e32 v27, 64, v27
	v_add_co_u32_e32 v64, vcc, v62, v31
	v_addc_co_u32_e32 v65, vcc, 0, v63, vcc
	global_load_dword v72, v[64:65], off offset:4
	global_load_dword v73, v[64:65], off offset:40
	;; [unrolled: 1-line block ×4, first 2 shown]
	global_load_dword v75, v[62:63], off
	global_load_dword v76, v[62:63], off offset:36
	global_load_dword v77, v[62:63], off offset:72
	;; [unrolled: 1-line block ×3, first 2 shown]
	v_and_b32_e32 v62, 48, v68
	v_lshrrev_b32_e32 v63, v19, v66
	v_or_b32_e32 v62, v62, v67
	v_and_b32_e32 v63, 15, v63
	v_and_b32_e32 v64, 48, v71
	v_or_b32_e32 v63, v64, v63
	v_subrev_u32_e32 v62, 32, v62
	v_subrev_u32_e32 v63, 32, v63
	s_waitcnt vmcnt(7)
	v_dot4_i32_i8 v66, v56, v72, 0
	v_mul_lo_u32 v62, v62, v66
	s_waitcnt vmcnt(6)
	v_dot4_i32_i8 v66, v55, v73, 0
	v_mul_lo_u32 v63, v63, v66
	v_dot4_i32_i8 v64, v54, v72, 0
	v_mul_lo_u32 v64, v69, v64
	v_dot4_i32_i8 v65, v53, v73, 0
	v_cvt_f32_i32_e32 v62, v62
	v_mul_lo_u32 v65, v70, v65
	v_cvt_f32_i32_e32 v63, v63
	v_cvt_f32_i32_e32 v64, v64
	s_waitcnt vmcnt(3)
	v_fma_mix_f32 v62, v75, v62, 0 op_sel_hi:[1,0,0]
	v_cvt_f32_i32_e32 v65, v65
	s_waitcnt vmcnt(2)
	v_fma_mix_f32 v67, v76, v63, v62 op_sel_hi:[1,0,0]
	v_mad_u64_u32 v[62:63], s[0:1], v28, 36, v[4:5]
	v_fma_mix_f32 v64, v75, v64, 0 op_sel_hi:[1,0,0]
	v_fma_mix_f32 v66, v76, v65, v64 op_sel_hi:[1,0,0]
	v_add_co_u32_e32 v64, vcc, v62, v31
	v_addc_co_u32_e32 v65, vcc, 0, v63, vcc
	global_load_dword v68, v[64:65], off offset:4
	global_load_dword v69, v[64:65], off offset:40
	global_load_dword v70, v[64:65], off offset:76
	global_load_dword v71, v[64:65], off offset:112
	global_load_dword v72, v[62:63], off
	global_load_dword v73, v[62:63], off offset:36
	global_load_dword v75, v[62:63], off offset:72
	;; [unrolled: 1-line block ×3, first 2 shown]
	v_and_b32_e32 v62, 0x4040404, v40
	v_lshrrev_b32_e32 v40, 1, v40
	v_and_b32_e32 v40, 0x4040404, v40
	v_cmp_le_u32_e64 s[0:1], s9, v15
	v_add_u32_e32 v28, 64, v28
	s_or_b64 s[12:13], s[0:1], s[12:13]
	s_waitcnt vmcnt(7)
	v_dot4_i32_i8 v54, v54, v68, 0
	v_dot4_i32_i8 v56, v56, v68, 0
	s_waitcnt vmcnt(6)
	v_dot4_i32_i8 v53, v53, v69, 0
	v_mul_lo_u32 v54, v58, v54
	v_dot4_i32_i8 v55, v55, v69, 0
	v_mul_lo_u32 v56, v57, v56
	v_mul_lo_u32 v49, v49, v53
	;; [unrolled: 1-line block ×3, first 2 shown]
	v_cvt_f32_i32_e32 v54, v54
	v_cvt_f32_i32_e32 v55, v56
	;; [unrolled: 1-line block ×4, first 2 shown]
	s_waitcnt vmcnt(3)
	v_fma_mix_f32 v54, v72, v54, 0 op_sel_hi:[1,0,0]
	v_fma_mix_f32 v55, v72, v55, 0 op_sel_hi:[1,0,0]
	s_waitcnt vmcnt(2)
	v_fma_mix_f32 v49, v73, v49, v54 op_sel_hi:[1,0,0]
	v_lshrrev_b32_e32 v54, v21, v44
	v_fma_mix_f32 v53, v73, v53, v55 op_sel_hi:[1,0,0]
	v_lshlrev_b32_e32 v54, 4, v54
	v_bfe_u32 v55, v43, v19, 4
	v_and_or_b32 v54, v54, 48, v55
	v_lshrrev_b32_e32 v55, v21, v45
	v_lshlrev_b32_e32 v55, 4, v55
	v_bfe_u32 v56, v46, v19, 4
	v_and_or_b32 v55, v55, 48, v56
	v_lshrrev_b32_e32 v56, 4, v38
	v_and_b32_e32 v57, 0x3030303, v56
	v_bfe_u32 v56, v56, 24, 2
	v_and_b32_e32 v58, 0x4040404, v39
	v_sub_u16_sdwa v56, v56, v58 dst_sel:BYTE_1 dst_unused:UNUSED_PAD src0_sel:DWORD src1_sel:BYTE_3
	v_sub_u16_e32 v59, v57, v58
	v_sub_u16_sdwa v60, v57, v58 dst_sel:BYTE_1 dst_unused:UNUSED_PAD src0_sel:BYTE_1 src1_sel:BYTE_1
	v_sub_u16_sdwa v57, v57, v58 dst_sel:DWORD dst_unused:UNUSED_PAD src0_sel:WORD_1 src1_sel:WORD_1
	v_lshrrev_b32_e32 v58, 4, v36
	v_and_b32_e32 v61, 0x3030303, v58
	v_bfe_u32 v58, v58, 24, 2
	v_sub_u16_sdwa v58, v58, v62 dst_sel:BYTE_1 dst_unused:UNUSED_PAD src0_sel:DWORD src1_sel:BYTE_3
	v_sub_u16_e32 v63, v61, v62
	v_sub_u16_sdwa v64, v61, v62 dst_sel:BYTE_1 dst_unused:UNUSED_PAD src0_sel:BYTE_1 src1_sel:BYTE_1
	v_sub_u16_sdwa v61, v61, v62 dst_sel:DWORD dst_unused:UNUSED_PAD src0_sel:WORD_1 src1_sel:WORD_1
	v_or_b32_sdwa v59, v59, v60 dst_sel:DWORD dst_unused:UNUSED_PAD src0_sel:BYTE_0 src1_sel:DWORD
	v_or_b32_sdwa v56, v57, v56 dst_sel:WORD_1 dst_unused:UNUSED_PAD src0_sel:BYTE_0 src1_sel:DWORD
	v_or_b32_sdwa v57, v63, v64 dst_sel:DWORD dst_unused:UNUSED_PAD src0_sel:BYTE_0 src1_sel:DWORD
	v_or_b32_sdwa v58, v61, v58 dst_sel:WORD_1 dst_unused:UNUSED_PAD src0_sel:BYTE_0 src1_sel:DWORD
	v_or_b32_sdwa v56, v59, v56 dst_sel:DWORD dst_unused:UNUSED_PAD src0_sel:WORD_0 src1_sel:DWORD
	v_or_b32_sdwa v57, v57, v58 dst_sel:DWORD dst_unused:UNUSED_PAD src0_sel:WORD_0 src1_sel:DWORD
	v_subrev_u32_e32 v54, 32, v54
	v_dot4_i32_i8 v58, v56, v42, 0
	v_subrev_u32_e32 v55, 32, v55
	v_dot4_i32_i8 v42, v57, v42, 0
	v_mul_lo_u32 v58, v54, v58
	v_mul_lo_u32 v42, v55, v42
	v_lshrrev_b32_e32 v45, v21, v45
	v_lshlrev_b32_e32 v45, 4, v45
	v_cvt_f32_i32_e32 v58, v58
	v_cvt_f32_i32_e32 v42, v42
	v_and_b32_e32 v45, 48, v45
	v_lshrrev_b32_e32 v39, 1, v39
	v_fma_mix_f32 v51, v50, v58, v51 op_sel_hi:[1,0,0]
	v_fma_mix_f32 v50, v50, v42, v52 op_sel_hi:[1,0,0]
	v_lshrrev_b32_e32 v42, v19, v46
	v_and_b32_e32 v42, 15, v42
	v_or_b32_e32 v42, v45, v42
	v_subrev_u32_e32 v42, 32, v42
	v_dot4_i32_i8 v46, v57, v74, 0
	v_mul_lo_u32 v42, v42, v46
	v_dot4_i32_i8 v45, v56, v74, 0
	v_mul_lo_u32 v45, v54, v45
	v_and_b32_e32 v39, 0x4040404, v39
	v_cvt_f32_i32_e32 v42, v42
	v_cvt_f32_i32_e32 v45, v45
	v_fma_mix_f32 v46, v77, v42, v67 op_sel_hi:[1,0,0]
	v_lshrrev_b32_e32 v42, v25, v43
	v_lshrrev_b32_e32 v43, v32, v44
	v_lshlrev_b32_e32 v43, 4, v43
	v_and_b32_e32 v42, 15, v42
	v_and_b32_e32 v43, 48, v43
	v_or_b32_e32 v42, v43, v42
	v_dot4_i32_i8 v43, v56, v70, 0
	v_subrev_u32_e32 v42, 32, v42
	v_mul_lo_u32 v42, v42, v43
	v_dot4_i32_i8 v44, v57, v70, 0
	v_mul_lo_u32 v43, v55, v44
	v_fma_mix_f32 v45, v77, v45, v66 op_sel_hi:[1,0,0]
	v_cvt_f32_i32_e32 v42, v42
	s_waitcnt vmcnt(1)
	v_fma_mix_f32 v44, v75, v42, v49 op_sel_hi:[1,0,0]
	v_cvt_f32_i32_e32 v42, v43
	v_fma_mix_f32 v49, v75, v42, v53 op_sel_hi:[1,0,0]
	v_add_co_u32_e32 v42, vcc, v6, v23
	v_addc_co_u32_e32 v43, vcc, 0, v7, vcc
	global_load_ubyte v52, v[42:43], off offset:104
	v_add_co_u32_e32 v42, vcc, v6, v22
	v_addc_co_u32_e32 v43, vcc, 0, v7, vcc
	global_load_ubyte v53, v[42:43], off offset:96
	global_load_ushort v54, v[8:9], off offset:108
	v_bfe_u32 v42, v35, v19, 4
	global_load_ushort v6, v[6:7], off offset:108
	v_lshrrev_b32_e32 v35, v19, v35
	v_and_b32_e32 v35, 15, v35
	v_add_co_u32_e32 v2, vcc, 0x900, v2
	v_addc_co_u32_e32 v3, vcc, 0, v3, vcc
	s_waitcnt vmcnt(3)
	v_lshrrev_b32_e32 v8, v24, v52
	v_lshlrev_b32_e32 v8, 4, v8
	s_waitcnt vmcnt(2)
	v_bfe_u32 v9, v53, v19, 4
	v_and_or_b32 v8, v8, 48, v9
	v_lshrrev_b32_e32 v9, v24, v37
	v_lshlrev_b32_e32 v9, 4, v9
	v_and_or_b32 v9, v9, 48, v42
	v_lshrrev_b32_e32 v42, 6, v38
	v_lshrrev_b32_e32 v38, 30, v38
	v_and_b32_e32 v42, 0x3030303, v42
	v_sub_u16_sdwa v38, v38, v39 dst_sel:BYTE_1 dst_unused:UNUSED_PAD src0_sel:DWORD src1_sel:BYTE_3
	v_sub_u16_e32 v43, v42, v39
	v_sub_u16_sdwa v55, v42, v39 dst_sel:BYTE_1 dst_unused:UNUSED_PAD src0_sel:BYTE_1 src1_sel:BYTE_1
	v_sub_u16_sdwa v39, v42, v39 dst_sel:DWORD dst_unused:UNUSED_PAD src0_sel:WORD_1 src1_sel:WORD_1
	v_lshrrev_b32_e32 v42, 6, v36
	v_lshrrev_b32_e32 v36, 30, v36
	v_and_b32_e32 v42, 0x3030303, v42
	v_lshrrev_b32_e32 v37, v24, v37
	v_sub_u16_sdwa v36, v36, v40 dst_sel:BYTE_1 dst_unused:UNUSED_PAD src0_sel:DWORD src1_sel:BYTE_3
	v_sub_u16_e32 v56, v42, v40
	v_sub_u16_sdwa v57, v42, v40 dst_sel:BYTE_1 dst_unused:UNUSED_PAD src0_sel:BYTE_1 src1_sel:BYTE_1
	v_sub_u16_sdwa v40, v42, v40 dst_sel:DWORD dst_unused:UNUSED_PAD src0_sel:WORD_1 src1_sel:WORD_1
	v_or_b32_sdwa v42, v43, v55 dst_sel:DWORD dst_unused:UNUSED_PAD src0_sel:BYTE_0 src1_sel:DWORD
	v_or_b32_sdwa v38, v39, v38 dst_sel:WORD_1 dst_unused:UNUSED_PAD src0_sel:BYTE_0 src1_sel:DWORD
	v_lshlrev_b32_e32 v37, 4, v37
	v_or_b32_sdwa v39, v56, v57 dst_sel:DWORD dst_unused:UNUSED_PAD src0_sel:BYTE_0 src1_sel:DWORD
	v_or_b32_sdwa v36, v40, v36 dst_sel:WORD_1 dst_unused:UNUSED_PAD src0_sel:BYTE_0 src1_sel:DWORD
	v_or_b32_sdwa v38, v42, v38 dst_sel:DWORD dst_unused:UNUSED_PAD src0_sel:WORD_0 src1_sel:DWORD
	v_and_b32_e32 v37, 48, v37
	v_or_b32_sdwa v36, v39, v36 dst_sel:DWORD dst_unused:UNUSED_PAD src0_sel:WORD_0 src1_sel:DWORD
	v_subrev_u32_e32 v8, 32, v8
	v_dot4_i32_i8 v39, v38, v34, 0
	v_or_b32_e32 v35, v37, v35
	v_dot4_i32_i8 v37, v38, v48, 0
	v_mul_lo_u32 v39, v8, v39
	v_mul_lo_u32 v8, v8, v37
	v_subrev_u32_e32 v35, 32, v35
	v_dot4_i32_i8 v37, v36, v48, 0
	v_lshrrev_b32_e32 v40, v33, v52
	v_mul_lo_u32 v35, v35, v37
	v_lshrrev_b32_e32 v37, v25, v53
	v_lshlrev_b32_e32 v40, 4, v40
	v_and_b32_e32 v37, 15, v37
	v_and_b32_e32 v40, 48, v40
	v_or_b32_e32 v37, v40, v37
	v_subrev_u32_e32 v9, 32, v9
	v_dot4_i32_i8 v34, v36, v34, 0
	v_dot4_i32_i8 v38, v38, v71, 0
	;; [unrolled: 1-line block ×3, first 2 shown]
	v_subrev_u32_e32 v37, 32, v37
	v_mul_lo_u32 v34, v9, v34
	v_mul_lo_u32 v37, v37, v38
	;; [unrolled: 1-line block ×3, first 2 shown]
	v_cvt_f32_i32_e32 v39, v39
	v_cvt_f32_i32_e32 v34, v34
	v_cvt_f32_i32_e32 v8, v8
	v_cvt_f32_i32_e32 v35, v35
	v_cvt_f32_i32_e32 v36, v37
	v_cvt_f32_i32_e32 v9, v9
	v_fma_mix_f32 v39, v41, v39, v51 op_sel_hi:[1,0,0]
	v_fma_mix_f32 v34, v41, v34, v50 op_sel_hi:[1,0,0]
	;; [unrolled: 1-line block ×6, first 2 shown]
	s_waitcnt vmcnt(0)
	v_fma_mix_f32 v16, v39, v6, v16 op_sel_hi:[0,1,0]
	v_fma_mix_f32 v13, v8, v6, v13 op_sel_hi:[0,1,0]
	;; [unrolled: 1-line block ×6, first 2 shown]
	s_andn2_b64 exec, exec, s[12:13]
	s_cbranch_execnz .LBB114_2
; %bb.3:
	s_or_b64 exec, exec, s[12:13]
.LBB114_4:
	s_or_b64 exec, exec, s[10:11]
	v_cmp_eq_u32_e32 vcc, 0, v1
	v_cmp_ne_u32_e64 s[0:1], 0, v1
	s_and_saveexec_b64 s[10:11], s[0:1]
	s_cbranch_execz .LBB114_6
; %bb.5:
	v_mul_u32_u24_e32 v1, 0x600, v1
	v_lshl_or_b32 v1, v0, 2, v1
	v_add_u32_e32 v1, 0xfffffa00, v1
	ds_write2st64_b32 v1, v16, v14 offset1:1
	ds_write2st64_b32 v1, v13, v12 offset0:2 offset1:3
	ds_write2st64_b32 v1, v11, v10 offset0:4 offset1:5
.LBB114_6:
	s_or_b64 exec, exec, s[10:11]
	s_waitcnt lgkmcnt(0)
	s_barrier
	s_and_saveexec_b64 s[0:1], vcc
	s_cbranch_execz .LBB114_13
; %bb.7:
	v_lshlrev_b32_e32 v3, 2, v0
	v_mbcnt_lo_u32_b32 v1, -1, 0
	v_mbcnt_hi_u32_b32 v7, -1, v1
	ds_read2st64_b32 v[5:6], v3 offset1:1
	v_and_b32_e32 v1, 64, v7
	v_add_u32_e32 v8, 64, v1
	v_xor_b32_e32 v1, 32, v7
	v_cmp_lt_i32_e32 vcc, v1, v8
	v_cndmask_b32_e32 v1, v7, v1, vcc
	v_lshlrev_b32_e32 v1, 2, v1
	s_waitcnt lgkmcnt(0)
	v_add_f32_e32 v15, v5, v16
	v_add_f32_e32 v6, v6, v14
	ds_bpermute_b32 v16, v1, v15
	ds_bpermute_b32 v14, v1, v6
	v_xor_b32_e32 v2, 16, v7
	v_cmp_lt_i32_e32 vcc, v2, v8
	v_cndmask_b32_e32 v2, v7, v2, vcc
	v_lshlrev_b32_e32 v2, 2, v2
	s_waitcnt lgkmcnt(1)
	v_add_f32_e32 v15, v15, v16
	s_waitcnt lgkmcnt(0)
	v_add_f32_e32 v6, v6, v14
	ds_bpermute_b32 v16, v2, v15
	ds_bpermute_b32 v14, v2, v6
	v_xor_b32_e32 v4, 8, v7
	v_cmp_lt_i32_e32 vcc, v4, v8
	v_cndmask_b32_e32 v4, v7, v4, vcc
	v_lshlrev_b32_e32 v4, 2, v4
	s_waitcnt lgkmcnt(1)
	v_add_f32_e32 v15, v15, v16
	s_waitcnt lgkmcnt(0)
	;; [unrolled: 10-line block ×3, first 2 shown]
	v_add_f32_e32 v14, v14, v17
	ds_bpermute_b32 v16, v5, v15
	ds_bpermute_b32 v17, v5, v14
	v_xor_b32_e32 v9, 2, v7
	v_cmp_lt_i32_e32 vcc, v9, v8
	v_cndmask_b32_e32 v9, v7, v9, vcc
	v_lshlrev_b32_e32 v6, 2, v9
	v_xor_b32_e32 v9, 1, v7
	v_cmp_lt_i32_e32 vcc, v9, v8
	s_waitcnt lgkmcnt(1)
	v_add_f32_e32 v8, v15, v16
	s_waitcnt lgkmcnt(0)
	v_add_f32_e32 v14, v14, v17
	ds_bpermute_b32 v15, v6, v8
	ds_bpermute_b32 v16, v6, v14
	s_load_dwordx2 s[0:1], s[4:5], 0x38
	v_cndmask_b32_e32 v7, v7, v9, vcc
	s_mul_i32 s4, s14, s7
	v_lshlrev_b32_e32 v9, 2, v7
	s_waitcnt lgkmcnt(0)
	v_add_f32_e32 v7, v8, v15
	v_add_f32_e32 v14, v14, v16
	s_mul_i32 s3, s18, s8
	s_add_i32 s4, s4, s6
	ds_bpermute_b32 v8, v9, v7
	ds_bpermute_b32 v15, v9, v14
	s_add_i32 s4, s4, s3
	s_mov_b32 s5, 0
	s_lshl_b64 s[4:5], s[4:5], 2
	s_add_u32 s4, s0, s4
	v_add_u32_e32 v16, s6, v0
	s_addc_u32 s5, s1, s5
	v_cmp_gt_u32_e32 vcc, 2, v0
	v_cmp_gt_u32_e64 s[0:1], s2, v16
	s_and_b64 s[0:1], vcc, s[0:1]
	s_waitcnt lgkmcnt(1)
	v_add_f32_e32 v7, v7, v8
	s_waitcnt lgkmcnt(0)
	v_add_f32_e32 v8, v14, v15
	s_and_saveexec_b64 s[6:7], s[0:1]
	s_cbranch_execz .LBB114_9
; %bb.8:
	v_cmp_eq_u32_e32 vcc, 1, v0
	v_cndmask_b32_e32 v14, v7, v8, vcc
	v_cmp_eq_u32_e32 vcc, 2, v0
	v_cndmask_b32_e32 v14, v14, v13, vcc
	;; [unrolled: 2-line block ×5, first 2 shown]
	global_store_dword v3, v14, s[4:5]
.LBB114_9:
	s_or_b64 exec, exec, s[6:7]
	ds_read2st64_b32 v[14:15], v3 offset0:2 offset1:3
	s_waitcnt lgkmcnt(0)
	v_add_f32_e32 v13, v14, v13
	v_add_f32_e32 v12, v15, v12
	ds_bpermute_b32 v14, v1, v13
	ds_bpermute_b32 v15, v1, v12
	s_waitcnt lgkmcnt(1)
	v_add_f32_e32 v13, v13, v14
	s_waitcnt lgkmcnt(0)
	v_add_f32_e32 v12, v12, v15
	ds_bpermute_b32 v14, v2, v13
	ds_bpermute_b32 v15, v2, v12
	s_waitcnt lgkmcnt(1)
	v_add_f32_e32 v13, v13, v14
	s_waitcnt lgkmcnt(0)
	;; [unrolled: 6-line block ×6, first 2 shown]
	v_add_f32_e32 v12, v12, v15
	s_and_saveexec_b64 s[6:7], s[0:1]
	s_cbranch_execz .LBB114_11
; %bb.10:
	v_add_u32_e32 v14, 2, v0
	v_cmp_eq_u32_e32 vcc, 1, v14
	v_cndmask_b32_e32 v15, v7, v8, vcc
	v_cmp_eq_u32_e32 vcc, 2, v14
	v_cndmask_b32_e32 v15, v15, v13, vcc
	;; [unrolled: 2-line block ×5, first 2 shown]
	v_add_u32_e32 v14, s2, v0
	v_mov_b32_e32 v15, 0
	v_lshlrev_b64 v[14:15], 2, v[14:15]
	v_mov_b32_e32 v17, s5
	v_add_co_u32_e32 v14, vcc, s4, v14
	v_addc_co_u32_e32 v15, vcc, v17, v15, vcc
	global_store_dword v[14:15], v16, off
.LBB114_11:
	s_or_b64 exec, exec, s[6:7]
	ds_read2st64_b32 v[14:15], v3 offset0:4 offset1:5
	s_waitcnt lgkmcnt(0)
	v_add_f32_e32 v3, v14, v11
	v_add_f32_e32 v10, v15, v10
	ds_bpermute_b32 v11, v1, v3
	ds_bpermute_b32 v1, v1, v10
	s_waitcnt lgkmcnt(1)
	v_add_f32_e32 v3, v3, v11
	s_waitcnt lgkmcnt(0)
	v_add_f32_e32 v1, v10, v1
	ds_bpermute_b32 v10, v2, v3
	ds_bpermute_b32 v2, v2, v1
	s_waitcnt lgkmcnt(1)
	v_add_f32_e32 v3, v3, v10
	s_waitcnt lgkmcnt(0)
	v_add_f32_e32 v1, v1, v2
	ds_bpermute_b32 v2, v4, v3
	ds_bpermute_b32 v4, v4, v1
	s_waitcnt lgkmcnt(1)
	v_add_f32_e32 v2, v3, v2
	s_waitcnt lgkmcnt(0)
	v_add_f32_e32 v1, v1, v4
	ds_bpermute_b32 v3, v5, v2
	ds_bpermute_b32 v4, v5, v1
	s_waitcnt lgkmcnt(1)
	v_add_f32_e32 v2, v2, v3
	s_waitcnt lgkmcnt(0)
	v_add_f32_e32 v3, v1, v4
	ds_bpermute_b32 v1, v6, v2
	ds_bpermute_b32 v4, v6, v3
	s_waitcnt lgkmcnt(1)
	v_add_f32_e32 v1, v2, v1
	s_waitcnt lgkmcnt(0)
	v_add_f32_e32 v2, v3, v4
	ds_bpermute_b32 v3, v9, v1
	ds_bpermute_b32 v4, v9, v2
	s_and_b64 exec, exec, s[0:1]
	s_cbranch_execz .LBB114_13
; %bb.12:
	s_waitcnt lgkmcnt(1)
	v_add_f32_e32 v1, v1, v3
	v_add_u32_e32 v3, 4, v0
	v_cmp_eq_u32_e32 vcc, 1, v3
	s_waitcnt lgkmcnt(0)
	v_add_f32_e32 v2, v2, v4
	v_cndmask_b32_e32 v4, v7, v8, vcc
	v_cmp_eq_u32_e32 vcc, 2, v3
	v_cndmask_b32_e32 v4, v4, v13, vcc
	v_cmp_eq_u32_e32 vcc, 3, v3
	;; [unrolled: 2-line block ×4, first 2 shown]
	v_cndmask_b32_e32 v2, v1, v2, vcc
	v_lshl_or_b32 v0, s2, 1, v0
	v_mov_b32_e32 v1, 0
	v_lshlrev_b64 v[0:1], 2, v[0:1]
	v_mov_b32_e32 v3, s5
	v_add_co_u32_e32 v0, vcc, s4, v0
	v_addc_co_u32_e32 v1, vcc, v3, v1, vcc
	global_store_dword v[0:1], v2, off
.LBB114_13:
	s_endpgm
	.section	.rodata,"a",@progbits
	.p2align	6, 0x0
	.amdhsa_kernel _ZL13mul_mat_vec_qIL9ggml_type11ELi3ELb0ELb0EEvPKvS2_PKi31ggml_cuda_mm_fusion_args_devicePfj15HIP_vector_typeIjLj3EEjjjS8_jjjS8_jjjj
		.amdhsa_group_segment_fixed_size 1536
		.amdhsa_private_segment_fixed_size 0
		.amdhsa_kernarg_size 144
		.amdhsa_user_sgpr_count 6
		.amdhsa_user_sgpr_private_segment_buffer 1
		.amdhsa_user_sgpr_dispatch_ptr 0
		.amdhsa_user_sgpr_queue_ptr 0
		.amdhsa_user_sgpr_kernarg_segment_ptr 1
		.amdhsa_user_sgpr_dispatch_id 0
		.amdhsa_user_sgpr_flat_scratch_init 0
		.amdhsa_user_sgpr_private_segment_size 0
		.amdhsa_uses_dynamic_stack 0
		.amdhsa_system_sgpr_private_segment_wavefront_offset 0
		.amdhsa_system_sgpr_workgroup_id_x 1
		.amdhsa_system_sgpr_workgroup_id_y 1
		.amdhsa_system_sgpr_workgroup_id_z 1
		.amdhsa_system_sgpr_workgroup_info 0
		.amdhsa_system_vgpr_workitem_id 1
		.amdhsa_next_free_vgpr 78
		.amdhsa_next_free_sgpr 26
		.amdhsa_reserve_vcc 1
		.amdhsa_reserve_flat_scratch 0
		.amdhsa_float_round_mode_32 0
		.amdhsa_float_round_mode_16_64 0
		.amdhsa_float_denorm_mode_32 3
		.amdhsa_float_denorm_mode_16_64 3
		.amdhsa_dx10_clamp 1
		.amdhsa_ieee_mode 1
		.amdhsa_fp16_overflow 0
		.amdhsa_exception_fp_ieee_invalid_op 0
		.amdhsa_exception_fp_denorm_src 0
		.amdhsa_exception_fp_ieee_div_zero 0
		.amdhsa_exception_fp_ieee_overflow 0
		.amdhsa_exception_fp_ieee_underflow 0
		.amdhsa_exception_fp_ieee_inexact 0
		.amdhsa_exception_int_div_zero 0
	.end_amdhsa_kernel
	.section	.text._ZL13mul_mat_vec_qIL9ggml_type11ELi3ELb0ELb0EEvPKvS2_PKi31ggml_cuda_mm_fusion_args_devicePfj15HIP_vector_typeIjLj3EEjjjS8_jjjS8_jjjj,"axG",@progbits,_ZL13mul_mat_vec_qIL9ggml_type11ELi3ELb0ELb0EEvPKvS2_PKi31ggml_cuda_mm_fusion_args_devicePfj15HIP_vector_typeIjLj3EEjjjS8_jjjS8_jjjj,comdat
.Lfunc_end114:
	.size	_ZL13mul_mat_vec_qIL9ggml_type11ELi3ELb0ELb0EEvPKvS2_PKi31ggml_cuda_mm_fusion_args_devicePfj15HIP_vector_typeIjLj3EEjjjS8_jjjS8_jjjj, .Lfunc_end114-_ZL13mul_mat_vec_qIL9ggml_type11ELi3ELb0ELb0EEvPKvS2_PKi31ggml_cuda_mm_fusion_args_devicePfj15HIP_vector_typeIjLj3EEjjjS8_jjjS8_jjjj
                                        ; -- End function
	.set _ZL13mul_mat_vec_qIL9ggml_type11ELi3ELb0ELb0EEvPKvS2_PKi31ggml_cuda_mm_fusion_args_devicePfj15HIP_vector_typeIjLj3EEjjjS8_jjjS8_jjjj.num_vgpr, 78
	.set _ZL13mul_mat_vec_qIL9ggml_type11ELi3ELb0ELb0EEvPKvS2_PKi31ggml_cuda_mm_fusion_args_devicePfj15HIP_vector_typeIjLj3EEjjjS8_jjjS8_jjjj.num_agpr, 0
	.set _ZL13mul_mat_vec_qIL9ggml_type11ELi3ELb0ELb0EEvPKvS2_PKi31ggml_cuda_mm_fusion_args_devicePfj15HIP_vector_typeIjLj3EEjjjS8_jjjS8_jjjj.numbered_sgpr, 26
	.set _ZL13mul_mat_vec_qIL9ggml_type11ELi3ELb0ELb0EEvPKvS2_PKi31ggml_cuda_mm_fusion_args_devicePfj15HIP_vector_typeIjLj3EEjjjS8_jjjS8_jjjj.num_named_barrier, 0
	.set _ZL13mul_mat_vec_qIL9ggml_type11ELi3ELb0ELb0EEvPKvS2_PKi31ggml_cuda_mm_fusion_args_devicePfj15HIP_vector_typeIjLj3EEjjjS8_jjjS8_jjjj.private_seg_size, 0
	.set _ZL13mul_mat_vec_qIL9ggml_type11ELi3ELb0ELb0EEvPKvS2_PKi31ggml_cuda_mm_fusion_args_devicePfj15HIP_vector_typeIjLj3EEjjjS8_jjjS8_jjjj.uses_vcc, 1
	.set _ZL13mul_mat_vec_qIL9ggml_type11ELi3ELb0ELb0EEvPKvS2_PKi31ggml_cuda_mm_fusion_args_devicePfj15HIP_vector_typeIjLj3EEjjjS8_jjjS8_jjjj.uses_flat_scratch, 0
	.set _ZL13mul_mat_vec_qIL9ggml_type11ELi3ELb0ELb0EEvPKvS2_PKi31ggml_cuda_mm_fusion_args_devicePfj15HIP_vector_typeIjLj3EEjjjS8_jjjS8_jjjj.has_dyn_sized_stack, 0
	.set _ZL13mul_mat_vec_qIL9ggml_type11ELi3ELb0ELb0EEvPKvS2_PKi31ggml_cuda_mm_fusion_args_devicePfj15HIP_vector_typeIjLj3EEjjjS8_jjjS8_jjjj.has_recursion, 0
	.set _ZL13mul_mat_vec_qIL9ggml_type11ELi3ELb0ELb0EEvPKvS2_PKi31ggml_cuda_mm_fusion_args_devicePfj15HIP_vector_typeIjLj3EEjjjS8_jjjS8_jjjj.has_indirect_call, 0
	.section	.AMDGPU.csdata,"",@progbits
; Kernel info:
; codeLenInByte = 4016
; TotalNumSgprs: 30
; NumVgprs: 78
; ScratchSize: 0
; MemoryBound: 0
; FloatMode: 240
; IeeeMode: 1
; LDSByteSize: 1536 bytes/workgroup (compile time only)
; SGPRBlocks: 3
; VGPRBlocks: 19
; NumSGPRsForWavesPerEU: 30
; NumVGPRsForWavesPerEU: 78
; Occupancy: 3
; WaveLimiterHint : 0
; COMPUTE_PGM_RSRC2:SCRATCH_EN: 0
; COMPUTE_PGM_RSRC2:USER_SGPR: 6
; COMPUTE_PGM_RSRC2:TRAP_HANDLER: 0
; COMPUTE_PGM_RSRC2:TGID_X_EN: 1
; COMPUTE_PGM_RSRC2:TGID_Y_EN: 1
; COMPUTE_PGM_RSRC2:TGID_Z_EN: 1
; COMPUTE_PGM_RSRC2:TIDIG_COMP_CNT: 1
	.section	.text._ZL13mul_mat_vec_qIL9ggml_type11ELi4ELb0ELb0EEvPKvS2_PKi31ggml_cuda_mm_fusion_args_devicePfj15HIP_vector_typeIjLj3EEjjjS8_jjjS8_jjjj,"axG",@progbits,_ZL13mul_mat_vec_qIL9ggml_type11ELi4ELb0ELb0EEvPKvS2_PKi31ggml_cuda_mm_fusion_args_devicePfj15HIP_vector_typeIjLj3EEjjjS8_jjjS8_jjjj,comdat
	.globl	_ZL13mul_mat_vec_qIL9ggml_type11ELi4ELb0ELb0EEvPKvS2_PKi31ggml_cuda_mm_fusion_args_devicePfj15HIP_vector_typeIjLj3EEjjjS8_jjjS8_jjjj ; -- Begin function _ZL13mul_mat_vec_qIL9ggml_type11ELi4ELb0ELb0EEvPKvS2_PKi31ggml_cuda_mm_fusion_args_devicePfj15HIP_vector_typeIjLj3EEjjjS8_jjjS8_jjjj
	.p2align	8
	.type	_ZL13mul_mat_vec_qIL9ggml_type11ELi4ELb0ELb0EEvPKvS2_PKi31ggml_cuda_mm_fusion_args_devicePfj15HIP_vector_typeIjLj3EEjjjS8_jjjS8_jjjj,@function
_ZL13mul_mat_vec_qIL9ggml_type11ELi4ELb0ELb0EEvPKvS2_PKi31ggml_cuda_mm_fusion_args_devicePfj15HIP_vector_typeIjLj3EEjjjS8_jjjS8_jjjj: ; @_ZL13mul_mat_vec_qIL9ggml_type11ELi4ELb0ELb0EEvPKvS2_PKi31ggml_cuda_mm_fusion_args_devicePfj15HIP_vector_typeIjLj3EEjjjS8_jjjS8_jjjj
; %bb.0:
	s_load_dword s9, s[4:5], 0x40
	s_load_dwordx4 s[0:3], s[4:5], 0x50
	s_load_dword s25, s[4:5], 0x60
	s_load_dwordx4 s[12:15], s[4:5], 0x68
	;; [unrolled: 2-line block ×3, first 2 shown]
	v_lshl_add_u32 v2, v1, 6, v0
	s_waitcnt lgkmcnt(0)
	s_lshr_b32 s9, s9, 8
	v_lshrrev_b32_e32 v17, 4, v2
	v_mov_b32_e32 v12, 0
	s_lshl_b32 s6, s6, 1
	v_cmp_gt_u32_e32 vcc, s9, v17
	v_mov_b32_e32 v13, v12
	v_mov_b32_e32 v14, v12
	;; [unrolled: 1-line block ×7, first 2 shown]
	s_and_saveexec_b64 s[10:11], vcc
	s_cbranch_execz .LBB115_4
; %bb.1:
	s_mul_hi_u32 s3, s3, s7
	s_add_i32 s3, s7, s3
	s_load_dwordx4 s[20:23], s[4:5], 0x0
	s_lshr_b32 s3, s3, s25
	s_mul_i32 s3, s3, s12
	s_mul_hi_u32 s12, s15, s8
	s_add_i32 s12, s8, s12
	v_lshrrev_b32_e32 v2, 1, v0
	s_lshr_b32 s12, s12, s24
	s_mul_i32 s15, s17, s8
	v_and_b32_e32 v20, 4, v2
	v_lshlrev_b32_e32 v2, 1, v0
	s_mul_i32 s12, s12, s16
	s_mul_hi_u32 s16, s15, 36
	s_mul_i32 s15, s15, 36
	v_and_b32_e32 v8, 30, v2
	v_and_b32_e32 v2, 8, v0
	v_bfe_u32 v21, v0, 2, 1
	s_waitcnt lgkmcnt(0)
	s_add_u32 s15, s22, s15
	s_mul_i32 s13, s13, s7
	v_or_b32_e32 v3, v21, v2
	s_addc_u32 s16, s23, s16
	s_mul_hi_u32 s17, s13, 36
	s_mul_i32 s13, s13, 36
	v_lshrrev_b32_e32 v22, 1, v2
	v_or_b32_e32 v2, 4, v3
	s_add_u32 s22, s15, s13
	v_and_b32_e32 v23, 5, v2
	v_lshrrev_b32_e32 v24, 1, v2
	v_or_b32_e32 v2, 6, v3
	s_addc_u32 s23, s16, s17
	s_add_i32 s15, s12, s3
	v_and_b32_e32 v25, 7, v2
	v_and_b32_e32 v26, 3, v2
	v_lshrrev_b32_e32 v2, 1, v2
	s_add_i32 s12, s6, 1
	v_and_b32_e32 v27, 6, v2
	s_mul_i32 s3, s6, s0
	s_mul_i32 s0, s0, s12
	v_bfe_u32 v2, v0, 3, 1
	s_add_i32 s3, s15, s3
	s_add_i32 s15, s15, s0
	v_mul_hi_u32_u24_e32 v3, 0x90, v2
	v_mul_u32_u24_e32 v2, 0x90, v2
	s_movk_i32 s0, 0x120
	v_mad_u64_u32 v[2:3], s[12:13], v17, s0, v[2:3]
	v_and_b32_e32 v7, 7, v0
	v_mov_b32_e32 v4, s23
	v_add_co_u32_e32 v2, vcc, s22, v2
	v_lshlrev_b32_e32 v6, 3, v17
	v_addc_co_u32_e32 v3, vcc, v4, v3, vcc
	v_mad_u64_u32 v[4:5], s[12:13], s1, 3, v[6:7]
	v_add_u32_e32 v32, s1, v6
	v_lshl_add_u32 v33, s1, 1, v6
	v_mad_u64_u32 v[5:6], s[0:1], v20, 36, s[22:23]
	v_mov_b32_e32 v11, 0
	v_lshlrev_b32_e32 v9, 1, v7
	v_mov_b32_e32 v28, v22
	v_mov_b32_e32 v29, v24
	;; [unrolled: 1-line block ×3, first 2 shown]
	v_lshlrev_b32_e32 v31, 2, v7
	s_mov_b64 s[12:13], 0
	s_movk_i32 s16, 0x6e
	v_lshlrev_b32_e32 v34, 1, v8
	v_lshlrev_b32_e32 v35, 1, v9
	;; [unrolled: 1-line block ×3, first 2 shown]
	v_mov_b32_e32 v14, v11
	v_mov_b32_e32 v15, v11
	;; [unrolled: 1-line block ×7, first 2 shown]
.LBB115_2:                              ; =>This Inner Loop Header: Depth=1
	v_add_co_u32_e32 v7, vcc, v2, v31
	v_addc_co_u32_e32 v8, vcc, 0, v3, vcc
	v_mov_b32_e32 v9, s20
	global_load_dword v45, v[7:8], off offset:4
	global_load_dword v52, v[7:8], off offset:40
	;; [unrolled: 1-line block ×4, first 2 shown]
	v_add_u32_e32 v7, s3, v17
	v_mov_b32_e32 v10, s21
	v_mad_i64_i32 v[7:8], s[0:1], v7, s16, v[9:10]
	v_add_u32_e32 v38, s15, v17
	v_mad_i64_i32 v[9:10], s[0:1], v38, s16, v[9:10]
	v_add_co_u32_e32 v38, vcc, v7, v34
	v_addc_co_u32_e32 v39, vcc, 0, v8, vcc
	global_load_dword v40, v[38:39], off offset:32
	v_add_co_u32_e32 v38, vcc, v7, v35
	v_addc_co_u32_e32 v39, vcc, 0, v8, vcc
	global_load_dword v43, v[38:39], off
	v_add_co_u32_e32 v38, vcc, v9, v34
	v_addc_co_u32_e32 v39, vcc, 0, v10, vcc
	v_add_co_u32_e32 v41, vcc, v9, v35
	v_addc_co_u32_e32 v42, vcc, 0, v10, vcc
	global_load_dword v38, v[38:39], off offset:32
	v_add_u32_e32 v17, 8, v17
	global_load_dword v50, v[41:42], off
	v_add_co_u32_e32 v41, vcc, v9, v21
	v_addc_co_u32_e32 v42, vcc, 0, v10, vcc
	global_load_ubyte v51, v[41:42], off offset:106
	global_load_ubyte v65, v[41:42], off offset:98
	;; [unrolled: 1-line block ×4, first 2 shown]
	v_add_co_u32_e32 v41, vcc, v7, v23
	v_addc_co_u32_e32 v42, vcc, 0, v8, vcc
	global_load_ubyte v47, v[41:42], off offset:96
	v_add_co_u32_e32 v41, vcc, v7, v21
	v_addc_co_u32_e32 v42, vcc, 0, v8, vcc
	global_load_ubyte v58, v[41:42], off offset:96
	global_load_ubyte v48, v[41:42], off offset:104
	;; [unrolled: 1-line block ×4, first 2 shown]
	v_add_co_u32_e32 v41, vcc, v9, v23
	v_addc_co_u32_e32 v42, vcc, 0, v10, vcc
	global_load_ubyte v49, v[41:42], off offset:96
	v_add_co_u32_e32 v41, vcc, v9, v25
	v_addc_co_u32_e32 v42, vcc, 0, v10, vcc
	global_load_ubyte v39, v[41:42], off offset:96
	;; [unrolled: 3-line block ×3, first 2 shown]
	s_waitcnt vmcnt(15)
	v_and_b32_e32 v53, 0x3030303, v40
	s_waitcnt vmcnt(13)
	v_and_b32_e32 v68, 0x3030303, v38
	s_waitcnt vmcnt(11)
	v_lshrrev_b32_e32 v42, v22, v51
	s_waitcnt vmcnt(10)
	v_lshrrev_b32_e32 v51, v22, v65
	v_lshlrev_b32_e32 v67, 4, v42
	v_and_b32_e32 v51, 15, v51
	v_and_b32_e32 v42, 48, v67
	v_or_b32_e32 v62, v42, v51
	v_ashrrev_i32_e32 v42, v20, v43
	v_not_b32_e32 v42, v42
	v_lshlrev_b32_e32 v43, 2, v42
	v_and_b32_e32 v43, 0x4040404, v43
	v_bfe_u32 v51, v40, 24, 2
	v_sub_u16_sdwa v51, v51, v43 dst_sel:BYTE_1 dst_unused:UNUSED_PAD src0_sel:DWORD src1_sel:BYTE_3
	v_sub_u16_e32 v54, v53, v43
	v_sub_u16_sdwa v55, v53, v43 dst_sel:BYTE_1 dst_unused:UNUSED_PAD src0_sel:BYTE_1 src1_sel:BYTE_1
	v_sub_u16_sdwa v53, v53, v43 dst_sel:DWORD dst_unused:UNUSED_PAD src0_sel:WORD_1 src1_sel:WORD_1
	v_lshrrev_b32_e32 v43, 2, v40
	v_lshlrev_b32_e32 v59, 1, v42
	v_and_b32_e32 v56, 0x3030303, v43
	v_bfe_u32 v43, v43, 24, 2
	v_and_b32_e32 v59, 0x4040404, v59
	v_sub_u16_sdwa v60, v43, v59 dst_sel:BYTE_1 dst_unused:UNUSED_PAD src0_sel:DWORD src1_sel:BYTE_3
	v_ashrrev_i32_e32 v43, v20, v50
	v_not_b32_e32 v43, v43
	v_lshlrev_b32_e32 v50, 2, v43
	v_sub_u16_e32 v63, v56, v59
	v_sub_u16_sdwa v64, v56, v59 dst_sel:BYTE_1 dst_unused:UNUSED_PAD src0_sel:BYTE_1 src1_sel:BYTE_1
	v_sub_u16_sdwa v56, v56, v59 dst_sel:DWORD dst_unused:UNUSED_PAD src0_sel:WORD_1 src1_sel:WORD_1
	v_and_b32_e32 v50, 0x4040404, v50
	v_bfe_u32 v59, v38, 24, 2
	v_sub_u16_sdwa v59, v59, v50 dst_sel:BYTE_1 dst_unused:UNUSED_PAD src0_sel:DWORD src1_sel:BYTE_3
	v_sub_u16_e32 v69, v68, v50
	v_sub_u16_sdwa v70, v68, v50 dst_sel:BYTE_1 dst_unused:UNUSED_PAD src0_sel:BYTE_1 src1_sel:BYTE_1
	v_sub_u16_sdwa v50, v68, v50 dst_sel:DWORD dst_unused:UNUSED_PAD src0_sel:WORD_1 src1_sel:WORD_1
	v_lshrrev_b32_e32 v68, 2, v38
	v_lshlrev_b32_e32 v72, 1, v43
	v_and_b32_e32 v71, 0x3030303, v68
	v_bfe_u32 v68, v68, 24, 2
	v_and_b32_e32 v72, 0x4040404, v72
	v_or_b32_sdwa v54, v54, v55 dst_sel:DWORD dst_unused:UNUSED_PAD src0_sel:BYTE_0 src1_sel:DWORD
	v_or_b32_sdwa v55, v56, v60 dst_sel:WORD_1 dst_unused:UNUSED_PAD src0_sel:BYTE_0 src1_sel:DWORD
	v_or_b32_sdwa v56, v69, v70 dst_sel:DWORD dst_unused:UNUSED_PAD src0_sel:BYTE_0 src1_sel:DWORD
	v_or_b32_sdwa v50, v50, v59 dst_sel:WORD_1 dst_unused:UNUSED_PAD src0_sel:BYTE_0 src1_sel:DWORD
	v_sub_u16_sdwa v68, v68, v72 dst_sel:BYTE_1 dst_unused:UNUSED_PAD src0_sel:DWORD src1_sel:BYTE_3
	v_sub_u16_e32 v73, v71, v72
	v_sub_u16_sdwa v74, v71, v72 dst_sel:BYTE_1 dst_unused:UNUSED_PAD src0_sel:BYTE_1 src1_sel:BYTE_1
	v_sub_u16_sdwa v71, v71, v72 dst_sel:DWORD dst_unused:UNUSED_PAD src0_sel:WORD_1 src1_sel:WORD_1
	v_or_b32_sdwa v56, v56, v50 dst_sel:DWORD dst_unused:UNUSED_PAD src0_sel:WORD_0 src1_sel:DWORD
	s_waitcnt vmcnt(5)
	v_lshrrev_b32_e32 v50, v22, v48
	v_or_b32_sdwa v60, v71, v68 dst_sel:WORD_1 dst_unused:UNUSED_PAD src0_sel:BYTE_0 src1_sel:DWORD
	v_bfe_u32 v68, v58, v22, 4
	v_lshlrev_b32_e32 v70, 4, v50
	v_lshrrev_b32_e32 v50, v22, v46
	v_or_b32_sdwa v51, v53, v51 dst_sel:WORD_1 dst_unused:UNUSED_PAD src0_sel:BYTE_0 src1_sel:DWORD
	v_or_b32_sdwa v53, v63, v64 dst_sel:DWORD dst_unused:UNUSED_PAD src0_sel:BYTE_0 src1_sel:DWORD
	v_or_b32_sdwa v59, v73, v74 dst_sel:DWORD dst_unused:UNUSED_PAD src0_sel:BYTE_0 src1_sel:DWORD
	v_lshlrev_b32_e32 v71, 4, v50
	v_and_or_b32 v50, v70, 48, v68
	v_or_b32_sdwa v53, v53, v55 dst_sel:DWORD dst_unused:UNUSED_PAD src0_sel:WORD_0 src1_sel:DWORD
	v_or_b32_sdwa v55, v59, v60 dst_sel:DWORD dst_unused:UNUSED_PAD src0_sel:WORD_0 src1_sel:DWORD
	v_bfe_u32 v69, v57, v22, 4
	v_subrev_u32_e32 v60, 32, v50
	v_and_b32_e32 v50, 48, v71
	v_or_b32_sdwa v54, v54, v51 dst_sel:DWORD dst_unused:UNUSED_PAD src0_sel:WORD_0 src1_sel:DWORD
	v_or_b32_e32 v50, v50, v69
	v_subrev_u32_e32 v59, 32, v50
	v_dot4_i32_i8 v50, v54, v45, 0
	v_dot4_i32_i8 v45, v56, v45, 0
	v_mul_lo_u32 v50, v60, v50
	v_mul_lo_u32 v45, v59, v45
	v_subrev_u32_e32 v74, 32, v62
	v_cvt_f32_i32_e32 v51, v50
	v_cvt_f32_i32_e32 v57, v45
	global_load_dword v58, v[2:3], off
	global_load_dword v63, v[2:3], off offset:36
	global_load_dword v50, v[2:3], off offset:72
	;; [unrolled: 1-line block ×3, first 2 shown]
	s_waitcnt vmcnt(3)
	v_fma_mix_f32 v51, v58, v51, 0 op_sel_hi:[1,0,0]
	v_fma_mix_f32 v57, v58, v57, 0 op_sel_hi:[1,0,0]
	v_lshrrev_b32_e32 v58, v22, v61
	v_lshlrev_b32_e32 v72, 4, v58
	v_bfe_u32 v58, v66, v22, 4
	v_and_or_b32 v58, v72, 48, v58
	v_subrev_u32_e32 v73, 32, v58
	v_dot4_i32_i8 v58, v53, v52, 0
	v_dot4_i32_i8 v52, v55, v52, 0
	v_mul_lo_u32 v58, v73, v58
	v_mul_lo_u32 v52, v74, v52
	v_mad_u64_u32 v[61:62], s[0:1], v32, 36, v[5:6]
	v_cvt_f32_i32_e32 v58, v58
	v_cvt_f32_i32_e32 v52, v52
	v_add_u32_e32 v32, 64, v32
	s_waitcnt vmcnt(2)
	v_fma_mix_f32 v51, v63, v58, v51 op_sel_hi:[1,0,0]
	v_fma_mix_f32 v52, v63, v52, v57 op_sel_hi:[1,0,0]
	v_add_co_u32_e32 v63, vcc, v61, v36
	v_addc_co_u32_e32 v64, vcc, 0, v62, vcc
	global_load_dword v75, v[63:64], off offset:4
	global_load_dword v76, v[63:64], off offset:40
	;; [unrolled: 1-line block ×4, first 2 shown]
	global_load_dword v78, v[61:62], off
	global_load_dword v79, v[61:62], off offset:36
	global_load_dword v80, v[61:62], off offset:72
	;; [unrolled: 1-line block ×3, first 2 shown]
	v_and_b32_e32 v63, 48, v70
	v_lshrrev_b32_e32 v64, v22, v66
	v_and_or_b32 v61, v71, 48, v69
	v_bfe_u32 v62, v65, v22, 4
	v_or_b32_e32 v63, v63, v68
	v_and_b32_e32 v64, 15, v64
	v_and_b32_e32 v65, 48, v72
	v_or_b32_e32 v64, v65, v64
	v_subrev_u32_e32 v65, 32, v61
	v_subrev_u32_e32 v66, 32, v63
	v_and_or_b32 v62, v67, 48, v62
	v_subrev_u32_e32 v67, 32, v64
	v_subrev_u32_e32 v69, 32, v62
	s_waitcnt vmcnt(7)
	v_dot4_i32_i8 v61, v54, v75, 0
	v_mul_lo_u32 v61, v66, v61
	s_waitcnt vmcnt(6)
	v_dot4_i32_i8 v64, v53, v76, 0
	v_mul_lo_u32 v64, v67, v64
	v_dot4_i32_i8 v63, v56, v75, 0
	v_cvt_f32_i32_e32 v61, v61
	v_mul_lo_u32 v63, v65, v63
	v_cvt_f32_i32_e32 v64, v64
	s_waitcnt vmcnt(3)
	v_fma_mix_f32 v61, v78, v61, 0 op_sel_hi:[1,0,0]
	v_cvt_f32_i32_e32 v63, v63
	s_waitcnt vmcnt(2)
	v_fma_mix_f32 v68, v79, v64, v61 op_sel_hi:[1,0,0]
	v_dot4_i32_i8 v61, v55, v76, 0
	v_mul_lo_u32 v61, v69, v61
	v_fma_mix_f32 v63, v78, v63, 0 op_sel_hi:[1,0,0]
	v_cvt_f32_i32_e32 v61, v61
	v_fma_mix_f32 v70, v79, v61, v63 op_sel_hi:[1,0,0]
	v_mad_u64_u32 v[61:62], s[0:1], v33, 36, v[5:6]
	v_add_u32_e32 v33, 64, v33
	v_add_co_u32_e32 v63, vcc, v61, v36
	v_addc_co_u32_e32 v64, vcc, 0, v62, vcc
	global_load_dword v71, v[63:64], off offset:4
	global_load_dword v72, v[63:64], off offset:40
	global_load_dword v75, v[63:64], off offset:76
	global_load_dword v76, v[63:64], off offset:112
	global_load_dword v78, v[61:62], off
	global_load_dword v79, v[61:62], off offset:36
	global_load_dword v81, v[61:62], off offset:72
	;; [unrolled: 1-line block ×3, first 2 shown]
	s_waitcnt vmcnt(7)
	v_dot4_i32_i8 v61, v54, v71, 0
	v_mul_lo_u32 v60, v60, v61
	s_waitcnt vmcnt(6)
	v_dot4_i32_i8 v61, v53, v72, 0
	v_mul_lo_u32 v61, v73, v61
	v_dot4_i32_i8 v62, v56, v71, 0
	v_mul_lo_u32 v59, v59, v62
	v_dot4_i32_i8 v62, v55, v72, 0
	v_cvt_f32_i32_e32 v60, v60
	v_mul_lo_u32 v62, v74, v62
	v_cvt_f32_i32_e32 v61, v61
	v_cvt_f32_i32_e32 v59, v59
	s_waitcnt vmcnt(3)
	v_fma_mix_f32 v60, v78, v60, 0 op_sel_hi:[1,0,0]
	s_waitcnt vmcnt(2)
	v_fma_mix_f32 v63, v79, v61, v60 op_sel_hi:[1,0,0]
	v_cvt_f32_i32_e32 v60, v62
	v_fma_mix_f32 v59, v78, v59, 0 op_sel_hi:[1,0,0]
	v_fma_mix_f32 v64, v79, v60, v59 op_sel_hi:[1,0,0]
	v_mad_u64_u32 v[59:60], s[0:1], v4, 36, v[5:6]
	v_cmp_le_u32_e64 s[0:1], s9, v17
	v_add_u32_e32 v4, 64, v4
	v_add_co_u32_e32 v61, vcc, v59, v36
	v_addc_co_u32_e32 v62, vcc, 0, v60, vcc
	global_load_dword v71, v[61:62], off offset:4
	global_load_dword v72, v[61:62], off offset:40
	;; [unrolled: 1-line block ×4, first 2 shown]
	global_load_dword v78, v[59:60], off
	global_load_dword v79, v[59:60], off offset:36
	global_load_dword v83, v[59:60], off offset:72
                                        ; kill: killed $vgpr61 killed $vgpr62
	s_nop 0
	global_load_dword v59, v[59:60], off offset:108
	v_and_b32_e32 v61, 0x4040404, v42
	v_lshrrev_b32_e32 v42, 1, v42
	v_and_b32_e32 v42, 0x4040404, v42
	s_or_b64 s[12:13], s[0:1], s[12:13]
	s_waitcnt vmcnt(7)
	v_dot4_i32_i8 v54, v54, v71, 0
	s_waitcnt vmcnt(6)
	v_dot4_i32_i8 v53, v53, v72, 0
	v_mul_lo_u32 v54, v66, v54
	v_mul_lo_u32 v53, v67, v53
	v_dot4_i32_i8 v56, v56, v71, 0
	v_dot4_i32_i8 v55, v55, v72, 0
	v_mul_lo_u32 v56, v65, v56
	v_cvt_f32_i32_e32 v54, v54
	v_mul_lo_u32 v55, v69, v55
	v_cvt_f32_i32_e32 v53, v53
	v_cvt_f32_i32_e32 v56, v56
	s_waitcnt vmcnt(3)
	v_fma_mix_f32 v54, v78, v54, 0 op_sel_hi:[1,0,0]
	v_and_b32_e32 v67, 0x4040404, v43
	s_waitcnt vmcnt(2)
	v_fma_mix_f32 v53, v79, v53, v54 op_sel_hi:[1,0,0]
	v_cvt_f32_i32_e32 v54, v55
	v_fma_mix_f32 v56, v78, v56, 0 op_sel_hi:[1,0,0]
	v_lshrrev_b32_e32 v55, v24, v48
	v_lshlrev_b32_e32 v55, 4, v55
	v_fma_mix_f32 v54, v79, v54, v56 op_sel_hi:[1,0,0]
	v_bfe_u32 v56, v47, v22, 4
	v_and_or_b32 v55, v55, 48, v56
	v_lshrrev_b32_e32 v56, 4, v40
	v_and_b32_e32 v60, 0x3030303, v56
	v_bfe_u32 v56, v56, 24, 2
	v_sub_u16_sdwa v56, v56, v61 dst_sel:BYTE_1 dst_unused:UNUSED_PAD src0_sel:DWORD src1_sel:BYTE_3
	v_sub_u16_e32 v62, v60, v61
	v_sub_u16_sdwa v65, v60, v61 dst_sel:BYTE_1 dst_unused:UNUSED_PAD src0_sel:BYTE_1 src1_sel:BYTE_1
	v_sub_u16_sdwa v60, v60, v61 dst_sel:DWORD dst_unused:UNUSED_PAD src0_sel:WORD_1 src1_sel:WORD_1
	v_lshrrev_b32_e32 v61, 4, v38
	v_and_b32_e32 v66, 0x3030303, v61
	v_bfe_u32 v61, v61, 24, 2
	v_sub_u16_sdwa v61, v61, v67 dst_sel:BYTE_1 dst_unused:UNUSED_PAD src0_sel:DWORD src1_sel:BYTE_3
	v_sub_u16_e32 v69, v66, v67
	v_sub_u16_sdwa v71, v66, v67 dst_sel:BYTE_1 dst_unused:UNUSED_PAD src0_sel:BYTE_1 src1_sel:BYTE_1
	v_sub_u16_sdwa v66, v66, v67 dst_sel:DWORD dst_unused:UNUSED_PAD src0_sel:WORD_1 src1_sel:WORD_1
	v_or_b32_sdwa v62, v62, v65 dst_sel:DWORD dst_unused:UNUSED_PAD src0_sel:BYTE_0 src1_sel:DWORD
	v_or_b32_sdwa v56, v60, v56 dst_sel:WORD_1 dst_unused:UNUSED_PAD src0_sel:BYTE_0 src1_sel:DWORD
	v_or_b32_sdwa v60, v69, v71 dst_sel:DWORD dst_unused:UNUSED_PAD src0_sel:BYTE_0 src1_sel:DWORD
	v_or_b32_sdwa v61, v66, v61 dst_sel:WORD_1 dst_unused:UNUSED_PAD src0_sel:BYTE_0 src1_sel:DWORD
	v_or_b32_sdwa v56, v62, v56 dst_sel:DWORD dst_unused:UNUSED_PAD src0_sel:WORD_0 src1_sel:DWORD
	v_or_b32_sdwa v60, v60, v61 dst_sel:DWORD dst_unused:UNUSED_PAD src0_sel:WORD_0 src1_sel:DWORD
	v_subrev_u32_e32 v55, 32, v55
	v_dot4_i32_i8 v61, v56, v44, 0
	v_mul_lo_u32 v61, v55, v61
	v_lshrrev_b32_e32 v72, v24, v46
	v_lshrrev_b32_e32 v67, v22, v49
	v_lshlrev_b32_e32 v72, 4, v72
	v_cvt_f32_i32_e32 v61, v61
	v_and_b32_e32 v67, 15, v67
	v_and_b32_e32 v72, 48, v72
	v_or_b32_e32 v67, v72, v67
	v_fma_mix_f32 v51, v50, v61, v51 op_sel_hi:[1,0,0]
	v_subrev_u32_e32 v61, 32, v67
	v_dot4_i32_i8 v44, v60, v44, 0
	v_mul_lo_u32 v44, v61, v44
	v_lshrrev_b32_e32 v46, v24, v46
	v_lshrrev_b32_e32 v48, v29, v48
	v_bfe_u32 v49, v49, v22, 4
	v_cvt_f32_i32_e32 v44, v44
	v_lshlrev_b32_e32 v46, 4, v46
	v_lshrrev_b32_e32 v47, v28, v47
	v_lshlrev_b32_e32 v48, 4, v48
	v_fma_mix_f32 v44, v50, v44, v52 op_sel_hi:[1,0,0]
	v_and_or_b32 v46, v46, 48, v49
	v_and_b32_e32 v47, 15, v47
	v_and_b32_e32 v48, 48, v48
	v_dot4_i32_i8 v50, v56, v75, 0
	v_or_b32_e32 v47, v48, v47
	v_dot4_i32_i8 v48, v56, v77, 0
	v_subrev_u32_e32 v46, 32, v46
	v_dot4_i32_i8 v49, v60, v77, 0
	v_mul_lo_u32 v50, v55, v50
	v_dot4_i32_i8 v55, v56, v73, 0
	v_dot4_i32_i8 v56, v60, v73, 0
	v_subrev_u32_e32 v47, 32, v47
	v_mul_lo_u32 v49, v46, v49
	v_mul_lo_u32 v46, v46, v56
	;; [unrolled: 1-line block ×4, first 2 shown]
	v_dot4_i32_i8 v52, v60, v75, 0
	v_cvt_f32_i32_e32 v46, v46
	v_cvt_f32_i32_e32 v50, v50
	;; [unrolled: 1-line block ×3, first 2 shown]
	v_mul_lo_u32 v52, v61, v52
	s_waitcnt vmcnt(1)
	v_fma_mix_f32 v54, v83, v46, v54 op_sel_hi:[1,0,0]
	v_add_co_u32_e32 v46, vcc, v7, v26
	v_fma_mix_f32 v53, v83, v47, v53 op_sel_hi:[1,0,0]
	v_addc_co_u32_e32 v47, vcc, 0, v8, vcc
	global_load_ubyte v55, v[46:47], off offset:104
	v_add_co_u32_e32 v46, vcc, v7, v25
	v_addc_co_u32_e32 v47, vcc, 0, v8, vcc
	global_load_ubyte v56, v[46:47], off offset:96
	global_load_ushort v60, v[9:10], off offset:108
	v_lshrrev_b32_e32 v46, v27, v41
	global_load_ushort v7, v[7:8], off offset:108
	v_lshlrev_b32_e32 v46, 4, v46
	v_and_b32_e32 v46, 48, v46
	v_lshrrev_b32_e32 v43, 1, v43
	v_and_b32_e32 v43, 0x4040404, v43
	v_fma_mix_f32 v50, v81, v50, v63 op_sel_hi:[1,0,0]
	v_lshrrev_b32_e32 v41, v27, v41
	v_lshlrev_b32_e32 v41, 4, v41
	v_cvt_f32_i32_e32 v48, v48
	v_cvt_f32_i32_e32 v49, v49
	;; [unrolled: 1-line block ×3, first 2 shown]
	v_add_co_u32_e32 v2, vcc, 0x900, v2
	v_fma_mix_f32 v48, v80, v48, v68 op_sel_hi:[1,0,0]
	v_fma_mix_f32 v49, v80, v49, v70 op_sel_hi:[1,0,0]
	;; [unrolled: 1-line block ×3, first 2 shown]
	v_addc_co_u32_e32 v3, vcc, 0, v3, vcc
	s_waitcnt vmcnt(3)
	v_lshrrev_b32_e32 v9, v27, v55
	v_lshlrev_b32_e32 v9, 4, v9
	s_waitcnt vmcnt(2)
	v_bfe_u32 v10, v56, v22, 4
	v_and_or_b32 v9, v9, 48, v10
	v_lshrrev_b32_e32 v10, v22, v39
	v_and_b32_e32 v10, 15, v10
	v_or_b32_e32 v10, v46, v10
	v_lshrrev_b32_e32 v46, 6, v40
	v_lshrrev_b32_e32 v40, 30, v40
	v_and_b32_e32 v46, 0x3030303, v46
	v_sub_u16_sdwa v40, v40, v42 dst_sel:BYTE_1 dst_unused:UNUSED_PAD src0_sel:DWORD src1_sel:BYTE_3
	v_sub_u16_e32 v47, v46, v42
	v_sub_u16_sdwa v61, v46, v42 dst_sel:BYTE_1 dst_unused:UNUSED_PAD src0_sel:BYTE_1 src1_sel:BYTE_1
	v_sub_u16_sdwa v42, v46, v42 dst_sel:DWORD dst_unused:UNUSED_PAD src0_sel:WORD_1 src1_sel:WORD_1
	v_lshrrev_b32_e32 v46, 6, v38
	v_lshrrev_b32_e32 v38, 30, v38
	v_and_b32_e32 v46, 0x3030303, v46
	v_sub_u16_sdwa v38, v38, v43 dst_sel:BYTE_1 dst_unused:UNUSED_PAD src0_sel:DWORD src1_sel:BYTE_3
	v_sub_u16_e32 v62, v46, v43
	v_sub_u16_sdwa v63, v46, v43 dst_sel:BYTE_1 dst_unused:UNUSED_PAD src0_sel:BYTE_1 src1_sel:BYTE_1
	v_sub_u16_sdwa v43, v46, v43 dst_sel:DWORD dst_unused:UNUSED_PAD src0_sel:WORD_1 src1_sel:WORD_1
	v_or_b32_sdwa v46, v47, v61 dst_sel:DWORD dst_unused:UNUSED_PAD src0_sel:BYTE_0 src1_sel:DWORD
	v_or_b32_sdwa v40, v42, v40 dst_sel:WORD_1 dst_unused:UNUSED_PAD src0_sel:BYTE_0 src1_sel:DWORD
	v_or_b32_sdwa v42, v62, v63 dst_sel:DWORD dst_unused:UNUSED_PAD src0_sel:BYTE_0 src1_sel:DWORD
	v_or_b32_sdwa v38, v43, v38 dst_sel:WORD_1 dst_unused:UNUSED_PAD src0_sel:BYTE_0 src1_sel:DWORD
	v_or_b32_sdwa v40, v46, v40 dst_sel:DWORD dst_unused:UNUSED_PAD src0_sel:WORD_0 src1_sel:DWORD
	v_or_b32_sdwa v38, v42, v38 dst_sel:DWORD dst_unused:UNUSED_PAD src0_sel:WORD_0 src1_sel:DWORD
	v_subrev_u32_e32 v9, 32, v9
	v_dot4_i32_i8 v42, v40, v37, 0
	v_subrev_u32_e32 v10, 32, v10
	v_dot4_i32_i8 v37, v38, v37, 0
	v_mul_lo_u32 v42, v9, v42
	v_mul_lo_u32 v37, v10, v37
	v_bfe_u32 v39, v39, v22, 4
	v_lshrrev_b32_e32 v43, v30, v55
	v_cvt_f32_i32_e32 v42, v42
	v_cvt_f32_i32_e32 v37, v37
	v_and_or_b32 v39, v41, 48, v39
	v_lshrrev_b32_e32 v41, v28, v56
	v_lshlrev_b32_e32 v43, 4, v43
	v_and_b32_e32 v41, 15, v41
	v_and_b32_e32 v43, 48, v43
	v_fma_mix_f32 v42, v45, v42, v51 op_sel_hi:[1,0,0]
	v_fma_mix_f32 v37, v45, v37, v44 op_sel_hi:[1,0,0]
	v_or_b32_e32 v41, v43, v41
	v_dot4_i32_i8 v45, v40, v76, 0
	v_subrev_u32_e32 v41, 32, v41
	v_dot4_i32_i8 v43, v40, v57, 0
	v_subrev_u32_e32 v39, 32, v39
	v_dot4_i32_i8 v44, v38, v57, 0
	v_mul_lo_u32 v9, v9, v45
	v_dot4_i32_i8 v45, v38, v76, 0
	v_dot4_i32_i8 v40, v40, v74, 0
	;; [unrolled: 1-line block ×3, first 2 shown]
	v_mul_lo_u32 v43, v41, v43
	v_mul_lo_u32 v44, v39, v44
	;; [unrolled: 1-line block ×5, first 2 shown]
	v_cvt_f32_i32_e32 v43, v43
	v_cvt_f32_i32_e32 v44, v44
	v_cvt_f32_i32_e32 v9, v9
	v_cvt_f32_i32_e32 v10, v10
	v_cvt_f32_i32_e32 v39, v40
	v_cvt_f32_i32_e32 v38, v38
	v_fma_mix_f32 v43, v58, v43, v48 op_sel_hi:[1,0,0]
	v_fma_mix_f32 v44, v58, v44, v49 op_sel_hi:[1,0,0]
	;; [unrolled: 1-line block ×6, first 2 shown]
	s_waitcnt vmcnt(0)
	v_fma_mix_f32 v19, v42, v7, v19 op_sel_hi:[0,1,0]
	v_fma_mix_f32 v16, v43, v7, v16 op_sel_hi:[0,1,0]
	;; [unrolled: 1-line block ×8, first 2 shown]
	s_andn2_b64 exec, exec, s[12:13]
	s_cbranch_execnz .LBB115_2
; %bb.3:
	s_or_b64 exec, exec, s[12:13]
.LBB115_4:
	s_or_b64 exec, exec, s[10:11]
	v_cmp_eq_u32_e32 vcc, 0, v1
	v_cmp_ne_u32_e64 s[0:1], 0, v1
	v_lshlrev_b32_e32 v2, 2, v0
	s_and_saveexec_b64 s[10:11], s[0:1]
	s_cbranch_execz .LBB115_6
; %bb.5:
	v_lshl_or_b32 v1, v1, 11, v2
	v_add_u32_e32 v1, 0xfffff800, v1
	ds_write2st64_b32 v1, v19, v18 offset1:1
	ds_write2st64_b32 v1, v16, v15 offset0:2 offset1:3
	ds_write2st64_b32 v1, v14, v13 offset0:4 offset1:5
	;; [unrolled: 1-line block ×3, first 2 shown]
.LBB115_6:
	s_or_b64 exec, exec, s[10:11]
	s_waitcnt lgkmcnt(0)
	s_barrier
	s_and_saveexec_b64 s[0:1], vcc
	s_cbranch_execz .LBB115_15
; %bb.7:
	v_mbcnt_lo_u32_b32 v1, -1, 0
	v_mbcnt_hi_u32_b32 v7, -1, v1
	ds_read2st64_b32 v[5:6], v2 offset1:1
	v_and_b32_e32 v1, 64, v7
	v_add_u32_e32 v8, 64, v1
	v_xor_b32_e32 v1, 32, v7
	v_cmp_lt_i32_e32 vcc, v1, v8
	v_cndmask_b32_e32 v1, v7, v1, vcc
	v_lshlrev_b32_e32 v1, 2, v1
	s_waitcnt lgkmcnt(0)
	v_add_f32_e32 v10, v5, v19
	v_add_f32_e32 v6, v6, v18
	ds_bpermute_b32 v17, v1, v10
	ds_bpermute_b32 v18, v1, v6
	v_xor_b32_e32 v3, 16, v7
	v_cmp_lt_i32_e32 vcc, v3, v8
	v_cndmask_b32_e32 v3, v7, v3, vcc
	v_lshlrev_b32_e32 v3, 2, v3
	s_waitcnt lgkmcnt(1)
	v_add_f32_e32 v10, v10, v17
	s_waitcnt lgkmcnt(0)
	v_add_f32_e32 v6, v6, v18
	ds_bpermute_b32 v17, v3, v10
	ds_bpermute_b32 v18, v3, v6
	v_xor_b32_e32 v4, 8, v7
	v_cmp_lt_i32_e32 vcc, v4, v8
	v_cndmask_b32_e32 v4, v7, v4, vcc
	v_lshlrev_b32_e32 v4, 2, v4
	s_waitcnt lgkmcnt(1)
	v_add_f32_e32 v10, v10, v17
	s_waitcnt lgkmcnt(0)
	;; [unrolled: 10-line block ×3, first 2 shown]
	v_add_f32_e32 v18, v18, v19
	ds_bpermute_b32 v17, v5, v10
	ds_bpermute_b32 v19, v5, v18
	v_xor_b32_e32 v9, 2, v7
	v_cmp_lt_i32_e32 vcc, v9, v8
	v_cndmask_b32_e32 v9, v7, v9, vcc
	v_lshlrev_b32_e32 v6, 2, v9
	v_xor_b32_e32 v9, 1, v7
	v_cmp_lt_i32_e32 vcc, v9, v8
	s_waitcnt lgkmcnt(1)
	v_add_f32_e32 v8, v10, v17
	s_waitcnt lgkmcnt(0)
	v_add_f32_e32 v17, v18, v19
	ds_bpermute_b32 v10, v6, v8
	ds_bpermute_b32 v18, v6, v17
	s_load_dwordx2 s[0:1], s[4:5], 0x38
	v_cndmask_b32_e32 v7, v7, v9, vcc
	s_mul_i32 s4, s14, s7
	v_lshlrev_b32_e32 v9, 2, v7
	s_waitcnt lgkmcnt(0)
	v_add_f32_e32 v7, v8, v10
	v_add_f32_e32 v10, v17, v18
	s_mul_i32 s3, s18, s8
	s_add_i32 s4, s4, s6
	ds_bpermute_b32 v8, v9, v7
	ds_bpermute_b32 v17, v9, v10
	s_add_i32 s4, s4, s3
	s_mov_b32 s5, 0
	s_lshl_b64 s[4:5], s[4:5], 2
	s_add_u32 s4, s0, s4
	v_add_u32_e32 v18, s6, v0
	s_addc_u32 s5, s1, s5
	v_cmp_gt_u32_e32 vcc, 2, v0
	v_cmp_gt_u32_e64 s[0:1], s2, v18
	s_and_b64 s[0:1], vcc, s[0:1]
	s_waitcnt lgkmcnt(1)
	v_add_f32_e32 v7, v7, v8
	s_waitcnt lgkmcnt(0)
	v_add_f32_e32 v8, v10, v17
	s_and_saveexec_b64 s[6:7], s[0:1]
	s_cbranch_execz .LBB115_9
; %bb.8:
	v_cmp_eq_u32_e32 vcc, 1, v0
	v_cndmask_b32_e32 v10, v7, v8, vcc
	v_cmp_eq_u32_e32 vcc, 2, v0
	v_cndmask_b32_e32 v10, v10, v16, vcc
	;; [unrolled: 2-line block ×7, first 2 shown]
	global_store_dword v2, v10, s[4:5]
.LBB115_9:
	s_or_b64 exec, exec, s[6:7]
	ds_read2st64_b32 v[17:18], v2 offset0:2 offset1:3
	s_waitcnt lgkmcnt(0)
	v_add_f32_e32 v10, v17, v16
	v_add_f32_e32 v15, v18, v15
	ds_bpermute_b32 v16, v1, v10
	ds_bpermute_b32 v17, v1, v15
	s_waitcnt lgkmcnt(1)
	v_add_f32_e32 v10, v10, v16
	s_waitcnt lgkmcnt(0)
	v_add_f32_e32 v15, v15, v17
	ds_bpermute_b32 v16, v3, v10
	ds_bpermute_b32 v17, v3, v15
	s_waitcnt lgkmcnt(1)
	v_add_f32_e32 v10, v10, v16
	s_waitcnt lgkmcnt(0)
	;; [unrolled: 6-line block ×6, first 2 shown]
	v_add_f32_e32 v10, v16, v17
	s_and_saveexec_b64 s[6:7], s[0:1]
	s_cbranch_execz .LBB115_11
; %bb.10:
	v_add_u32_e32 v16, 2, v0
	v_cmp_eq_u32_e32 vcc, 1, v16
	v_cndmask_b32_e32 v17, v7, v8, vcc
	v_cmp_eq_u32_e32 vcc, 2, v16
	v_cndmask_b32_e32 v17, v17, v15, vcc
	;; [unrolled: 2-line block ×7, first 2 shown]
	v_add_u32_e32 v16, s2, v0
	v_mov_b32_e32 v17, 0
	v_lshlrev_b64 v[16:17], 2, v[16:17]
	v_mov_b32_e32 v19, s5
	v_add_co_u32_e32 v16, vcc, s4, v16
	v_addc_co_u32_e32 v17, vcc, v19, v17, vcc
	global_store_dword v[16:17], v18, off
.LBB115_11:
	s_or_b64 exec, exec, s[6:7]
	ds_read2st64_b32 v[16:17], v2 offset0:4 offset1:5
	s_waitcnt lgkmcnt(0)
	v_add_f32_e32 v14, v16, v14
	v_add_f32_e32 v13, v17, v13
	ds_bpermute_b32 v16, v1, v14
	ds_bpermute_b32 v17, v1, v13
	s_waitcnt lgkmcnt(1)
	v_add_f32_e32 v14, v14, v16
	s_waitcnt lgkmcnt(0)
	v_add_f32_e32 v13, v13, v17
	ds_bpermute_b32 v16, v3, v14
	ds_bpermute_b32 v17, v3, v13
	s_waitcnt lgkmcnt(1)
	v_add_f32_e32 v14, v14, v16
	s_waitcnt lgkmcnt(0)
	;; [unrolled: 6-line block ×6, first 2 shown]
	v_add_f32_e32 v13, v13, v17
	s_and_saveexec_b64 s[6:7], s[0:1]
	s_cbranch_execz .LBB115_13
; %bb.12:
	v_add_u32_e32 v16, 4, v0
	v_cmp_eq_u32_e32 vcc, 1, v16
	v_cndmask_b32_e32 v17, v7, v8, vcc
	v_cmp_eq_u32_e32 vcc, 2, v16
	v_cndmask_b32_e32 v17, v17, v15, vcc
	;; [unrolled: 2-line block ×7, first 2 shown]
	v_lshl_or_b32 v16, s2, 1, v0
	v_mov_b32_e32 v17, 0
	v_lshlrev_b64 v[16:17], 2, v[16:17]
	v_mov_b32_e32 v19, s5
	v_add_co_u32_e32 v16, vcc, s4, v16
	v_addc_co_u32_e32 v17, vcc, v19, v17, vcc
	global_store_dword v[16:17], v18, off
.LBB115_13:
	s_or_b64 exec, exec, s[6:7]
	ds_read2st64_b32 v[16:17], v2 offset0:6 offset1:7
	s_waitcnt lgkmcnt(0)
	v_add_f32_e32 v2, v16, v12
	v_add_f32_e32 v11, v17, v11
	ds_bpermute_b32 v12, v1, v2
	ds_bpermute_b32 v1, v1, v11
	s_waitcnt lgkmcnt(1)
	v_add_f32_e32 v2, v2, v12
	s_waitcnt lgkmcnt(0)
	v_add_f32_e32 v1, v11, v1
	ds_bpermute_b32 v11, v3, v2
	ds_bpermute_b32 v3, v3, v1
	s_waitcnt lgkmcnt(1)
	v_add_f32_e32 v2, v2, v11
	s_waitcnt lgkmcnt(0)
	;; [unrolled: 6-line block ×5, first 2 shown]
	v_add_f32_e32 v2, v3, v4
	ds_bpermute_b32 v3, v9, v1
	ds_bpermute_b32 v4, v9, v2
	s_and_b64 exec, exec, s[0:1]
	s_cbranch_execz .LBB115_15
; %bb.14:
	s_waitcnt lgkmcnt(1)
	v_add_f32_e32 v1, v1, v3
	v_add_u32_e32 v3, 6, v0
	v_cmp_eq_u32_e32 vcc, 1, v3
	s_waitcnt lgkmcnt(0)
	v_add_f32_e32 v2, v2, v4
	v_cndmask_b32_e32 v4, v7, v8, vcc
	v_cmp_eq_u32_e32 vcc, 2, v3
	v_cndmask_b32_e32 v4, v4, v15, vcc
	v_cmp_eq_u32_e32 vcc, 3, v3
	;; [unrolled: 2-line block ×5, first 2 shown]
	v_cndmask_b32_e32 v4, v4, v1, vcc
	v_mad_u64_u32 v[0:1], s[0:1], s2, 3, v[0:1]
	v_mov_b32_e32 v1, 0
	v_cmp_eq_u32_e32 vcc, 7, v3
	v_lshlrev_b64 v[0:1], 2, v[0:1]
	v_cndmask_b32_e32 v2, v4, v2, vcc
	v_mov_b32_e32 v3, s5
	v_add_co_u32_e32 v0, vcc, s4, v0
	v_addc_co_u32_e32 v1, vcc, v3, v1, vcc
	global_store_dword v[0:1], v2, off
.LBB115_15:
	s_endpgm
	.section	.rodata,"a",@progbits
	.p2align	6, 0x0
	.amdhsa_kernel _ZL13mul_mat_vec_qIL9ggml_type11ELi4ELb0ELb0EEvPKvS2_PKi31ggml_cuda_mm_fusion_args_devicePfj15HIP_vector_typeIjLj3EEjjjS8_jjjS8_jjjj
		.amdhsa_group_segment_fixed_size 2048
		.amdhsa_private_segment_fixed_size 0
		.amdhsa_kernarg_size 144
		.amdhsa_user_sgpr_count 6
		.amdhsa_user_sgpr_private_segment_buffer 1
		.amdhsa_user_sgpr_dispatch_ptr 0
		.amdhsa_user_sgpr_queue_ptr 0
		.amdhsa_user_sgpr_kernarg_segment_ptr 1
		.amdhsa_user_sgpr_dispatch_id 0
		.amdhsa_user_sgpr_flat_scratch_init 0
		.amdhsa_user_sgpr_private_segment_size 0
		.amdhsa_uses_dynamic_stack 0
		.amdhsa_system_sgpr_private_segment_wavefront_offset 0
		.amdhsa_system_sgpr_workgroup_id_x 1
		.amdhsa_system_sgpr_workgroup_id_y 1
		.amdhsa_system_sgpr_workgroup_id_z 1
		.amdhsa_system_sgpr_workgroup_info 0
		.amdhsa_system_vgpr_workitem_id 1
		.amdhsa_next_free_vgpr 84
		.amdhsa_next_free_sgpr 61
		.amdhsa_reserve_vcc 1
		.amdhsa_reserve_flat_scratch 0
		.amdhsa_float_round_mode_32 0
		.amdhsa_float_round_mode_16_64 0
		.amdhsa_float_denorm_mode_32 3
		.amdhsa_float_denorm_mode_16_64 3
		.amdhsa_dx10_clamp 1
		.amdhsa_ieee_mode 1
		.amdhsa_fp16_overflow 0
		.amdhsa_exception_fp_ieee_invalid_op 0
		.amdhsa_exception_fp_denorm_src 0
		.amdhsa_exception_fp_ieee_div_zero 0
		.amdhsa_exception_fp_ieee_overflow 0
		.amdhsa_exception_fp_ieee_underflow 0
		.amdhsa_exception_fp_ieee_inexact 0
		.amdhsa_exception_int_div_zero 0
	.end_amdhsa_kernel
	.section	.text._ZL13mul_mat_vec_qIL9ggml_type11ELi4ELb0ELb0EEvPKvS2_PKi31ggml_cuda_mm_fusion_args_devicePfj15HIP_vector_typeIjLj3EEjjjS8_jjjS8_jjjj,"axG",@progbits,_ZL13mul_mat_vec_qIL9ggml_type11ELi4ELb0ELb0EEvPKvS2_PKi31ggml_cuda_mm_fusion_args_devicePfj15HIP_vector_typeIjLj3EEjjjS8_jjjS8_jjjj,comdat
.Lfunc_end115:
	.size	_ZL13mul_mat_vec_qIL9ggml_type11ELi4ELb0ELb0EEvPKvS2_PKi31ggml_cuda_mm_fusion_args_devicePfj15HIP_vector_typeIjLj3EEjjjS8_jjjS8_jjjj, .Lfunc_end115-_ZL13mul_mat_vec_qIL9ggml_type11ELi4ELb0ELb0EEvPKvS2_PKi31ggml_cuda_mm_fusion_args_devicePfj15HIP_vector_typeIjLj3EEjjjS8_jjjS8_jjjj
                                        ; -- End function
	.set _ZL13mul_mat_vec_qIL9ggml_type11ELi4ELb0ELb0EEvPKvS2_PKi31ggml_cuda_mm_fusion_args_devicePfj15HIP_vector_typeIjLj3EEjjjS8_jjjS8_jjjj.num_vgpr, 84
	.set _ZL13mul_mat_vec_qIL9ggml_type11ELi4ELb0ELb0EEvPKvS2_PKi31ggml_cuda_mm_fusion_args_devicePfj15HIP_vector_typeIjLj3EEjjjS8_jjjS8_jjjj.num_agpr, 0
	.set _ZL13mul_mat_vec_qIL9ggml_type11ELi4ELb0ELb0EEvPKvS2_PKi31ggml_cuda_mm_fusion_args_devicePfj15HIP_vector_typeIjLj3EEjjjS8_jjjS8_jjjj.numbered_sgpr, 26
	.set _ZL13mul_mat_vec_qIL9ggml_type11ELi4ELb0ELb0EEvPKvS2_PKi31ggml_cuda_mm_fusion_args_devicePfj15HIP_vector_typeIjLj3EEjjjS8_jjjS8_jjjj.num_named_barrier, 0
	.set _ZL13mul_mat_vec_qIL9ggml_type11ELi4ELb0ELb0EEvPKvS2_PKi31ggml_cuda_mm_fusion_args_devicePfj15HIP_vector_typeIjLj3EEjjjS8_jjjS8_jjjj.private_seg_size, 0
	.set _ZL13mul_mat_vec_qIL9ggml_type11ELi4ELb0ELb0EEvPKvS2_PKi31ggml_cuda_mm_fusion_args_devicePfj15HIP_vector_typeIjLj3EEjjjS8_jjjS8_jjjj.uses_vcc, 1
	.set _ZL13mul_mat_vec_qIL9ggml_type11ELi4ELb0ELb0EEvPKvS2_PKi31ggml_cuda_mm_fusion_args_devicePfj15HIP_vector_typeIjLj3EEjjjS8_jjjS8_jjjj.uses_flat_scratch, 0
	.set _ZL13mul_mat_vec_qIL9ggml_type11ELi4ELb0ELb0EEvPKvS2_PKi31ggml_cuda_mm_fusion_args_devicePfj15HIP_vector_typeIjLj3EEjjjS8_jjjS8_jjjj.has_dyn_sized_stack, 0
	.set _ZL13mul_mat_vec_qIL9ggml_type11ELi4ELb0ELb0EEvPKvS2_PKi31ggml_cuda_mm_fusion_args_devicePfj15HIP_vector_typeIjLj3EEjjjS8_jjjS8_jjjj.has_recursion, 0
	.set _ZL13mul_mat_vec_qIL9ggml_type11ELi4ELb0ELb0EEvPKvS2_PKi31ggml_cuda_mm_fusion_args_devicePfj15HIP_vector_typeIjLj3EEjjjS8_jjjS8_jjjj.has_indirect_call, 0
	.section	.AMDGPU.csdata,"",@progbits
; Kernel info:
; codeLenInByte = 4748
; TotalNumSgprs: 30
; NumVgprs: 84
; ScratchSize: 0
; MemoryBound: 0
; FloatMode: 240
; IeeeMode: 1
; LDSByteSize: 2048 bytes/workgroup (compile time only)
; SGPRBlocks: 8
; VGPRBlocks: 20
; NumSGPRsForWavesPerEU: 65
; NumVGPRsForWavesPerEU: 84
; Occupancy: 3
; WaveLimiterHint : 0
; COMPUTE_PGM_RSRC2:SCRATCH_EN: 0
; COMPUTE_PGM_RSRC2:USER_SGPR: 6
; COMPUTE_PGM_RSRC2:TRAP_HANDLER: 0
; COMPUTE_PGM_RSRC2:TGID_X_EN: 1
; COMPUTE_PGM_RSRC2:TGID_Y_EN: 1
; COMPUTE_PGM_RSRC2:TGID_Z_EN: 1
; COMPUTE_PGM_RSRC2:TIDIG_COMP_CNT: 1
	.section	.text._ZL13mul_mat_vec_qIL9ggml_type11ELi5ELb0ELb0EEvPKvS2_PKi31ggml_cuda_mm_fusion_args_devicePfj15HIP_vector_typeIjLj3EEjjjS8_jjjS8_jjjj,"axG",@progbits,_ZL13mul_mat_vec_qIL9ggml_type11ELi5ELb0ELb0EEvPKvS2_PKi31ggml_cuda_mm_fusion_args_devicePfj15HIP_vector_typeIjLj3EEjjjS8_jjjS8_jjjj,comdat
	.globl	_ZL13mul_mat_vec_qIL9ggml_type11ELi5ELb0ELb0EEvPKvS2_PKi31ggml_cuda_mm_fusion_args_devicePfj15HIP_vector_typeIjLj3EEjjjS8_jjjS8_jjjj ; -- Begin function _ZL13mul_mat_vec_qIL9ggml_type11ELi5ELb0ELb0EEvPKvS2_PKi31ggml_cuda_mm_fusion_args_devicePfj15HIP_vector_typeIjLj3EEjjjS8_jjjS8_jjjj
	.p2align	8
	.type	_ZL13mul_mat_vec_qIL9ggml_type11ELi5ELb0ELb0EEvPKvS2_PKi31ggml_cuda_mm_fusion_args_devicePfj15HIP_vector_typeIjLj3EEjjjS8_jjjS8_jjjj,@function
_ZL13mul_mat_vec_qIL9ggml_type11ELi5ELb0ELb0EEvPKvS2_PKi31ggml_cuda_mm_fusion_args_devicePfj15HIP_vector_typeIjLj3EEjjjS8_jjjS8_jjjj: ; @_ZL13mul_mat_vec_qIL9ggml_type11ELi5ELb0ELb0EEvPKvS2_PKi31ggml_cuda_mm_fusion_args_devicePfj15HIP_vector_typeIjLj3EEjjjS8_jjjS8_jjjj
; %bb.0:
	s_load_dword s9, s[4:5], 0x40
	s_load_dwordx4 s[12:15], s[4:5], 0x50
	s_load_dword s25, s[4:5], 0x60
	s_load_dwordx4 s[0:3], s[4:5], 0x68
	;; [unrolled: 2-line block ×3, first 2 shown]
	v_lshl_or_b32 v2, v1, 6, v0
	s_waitcnt lgkmcnt(0)
	s_lshr_b32 s9, s9, 8
	v_lshrrev_b32_e32 v18, 4, v2
	v_mov_b32_e32 v10, 0
	s_lshl_b32 s6, s6, 1
	v_cmp_gt_u32_e32 vcc, s9, v18
	v_mov_b32_e32 v11, v10
	v_mov_b32_e32 v13, v10
	;; [unrolled: 1-line block ×9, first 2 shown]
	s_and_saveexec_b64 s[10:11], vcc
	s_cbranch_execz .LBB116_4
; %bb.1:
	s_mul_hi_u32 s15, s15, s7
	s_add_i32 s15, s7, s15
	s_lshr_b32 s15, s15, s25
	s_load_dwordx4 s[20:23], s[4:5], 0x0
	s_mul_i32 s15, s15, s0
	s_mul_hi_u32 s0, s3, s8
	v_lshrrev_b32_e32 v2, 1, v0
	s_add_i32 s0, s8, s0
	v_and_b32_e32 v21, 4, v2
	v_lshlrev_b32_e32 v2, 1, v0
	s_lshr_b32 s0, s0, s24
	v_and_b32_e32 v5, 30, v2
	v_and_b32_e32 v2, 8, v0
	v_bfe_u32 v22, v0, 2, 1
	s_mul_i32 s3, s0, s16
	s_mul_i32 s0, s17, s8
	v_or_b32_e32 v3, v22, v2
	s_mul_hi_u32 s16, s0, 36
	s_mul_i32 s0, s0, 36
	v_lshrrev_b32_e32 v23, 1, v2
	v_or_b32_e32 v2, 4, v3
	s_waitcnt lgkmcnt(0)
	s_add_u32 s0, s22, s0
	s_mul_i32 s1, s1, s7
	v_and_b32_e32 v24, 5, v2
	v_lshrrev_b32_e32 v25, 1, v2
	v_or_b32_e32 v2, 6, v3
	s_addc_u32 s16, s23, s16
	s_mul_hi_u32 s17, s1, 36
	s_mul_i32 s1, s1, 36
	v_and_b32_e32 v26, 7, v2
	v_and_b32_e32 v27, 3, v2
	v_lshrrev_b32_e32 v2, 1, v2
	s_add_u32 s0, s0, s1
	v_and_b32_e32 v28, 6, v2
	v_bfe_u32 v2, v0, 3, 1
	s_addc_u32 s1, s16, s17
	s_add_i32 s15, s3, s15
	v_mul_hi_u32_u24_e32 v3, 0x90, v2
	v_mul_u32_u24_e32 v2, 0x90, v2
	s_movk_i32 s3, 0x120
	v_mad_u64_u32 v[2:3], s[16:17], v18, s3, v[2:3]
	v_and_b32_e32 v4, 7, v0
	v_lshlrev_b32_e32 v6, 1, v4
	v_mov_b32_e32 v7, s1
	v_add_co_u32_e32 v2, vcc, s0, v2
	v_lshlrev_b32_e32 v31, 2, v4
	v_lshlrev_b32_e32 v32, 1, v5
	;; [unrolled: 1-line block ×3, first 2 shown]
	v_mad_u64_u32 v[4:5], s[0:1], v21, 36, s[0:1]
	s_add_i32 s16, s6, 1
	v_mov_b32_e32 v10, 0
	s_mul_i32 s3, s6, s12
	s_mul_i32 s12, s12, s16
	v_addc_co_u32_e32 v3, vcc, v7, v3, vcc
	v_mov_b32_e32 v29, v23
	v_mov_b32_e32 v30, v25
	s_add_i32 s3, s15, s3
	s_add_i32 s12, s15, s12
	s_lshl_b32 s15, s13, 2
	s_lshl_b32 s19, s13, 1
	s_mul_i32 s22, s13, 3
	s_mov_b64 s[16:17], 0
	s_movk_i32 s23, 0x6e
	v_lshlrev_b32_e32 v33, 1, v6
	v_mov_b32_e32 v35, v28
	v_lshlrev_b32_e32 v36, 3, v18
	v_mov_b32_e32 v12, v10
	v_mov_b32_e32 v14, v10
	;; [unrolled: 1-line block ×9, first 2 shown]
.LBB116_2:                              ; =>This Inner Loop Header: Depth=1
	v_mov_b32_e32 v6, s20
	v_add_u32_e32 v37, s3, v18
	v_mov_b32_e32 v7, s21
	v_add_co_u32_e32 v8, vcc, v2, v31
	v_mad_i64_i32 v[44:45], s[0:1], v37, s23, v[6:7]
	v_addc_co_u32_e32 v9, vcc, 0, v3, vcc
	global_load_dword v41, v[2:3], off
	global_load_dword v40, v[2:3], off offset:36
	global_load_dword v78, v[2:3], off offset:72
	;; [unrolled: 1-line block ×3, first 2 shown]
	v_add_co_u32_e32 v2, vcc, 0x480, v2
	v_add_u32_e32 v38, s12, v18
	v_add_u32_e32 v39, s13, v36
	;; [unrolled: 1-line block ×3, first 2 shown]
	v_addc_co_u32_e32 v3, vcc, 0, v3, vcc
	v_mad_i64_i32 v[6:7], s[0:1], v38, s23, v[6:7]
	v_mad_u64_u32 v[37:38], s[0:1], v39, 36, v[4:5]
	global_load_dword v39, v[8:9], off offset:4
	global_load_dword v80, v[8:9], off offset:40
	global_load_dword v81, v[8:9], off offset:76
	global_load_dword v82, v[8:9], off offset:112
	v_mad_u64_u32 v[8:9], s[0:1], v48, 36, v[4:5]
	v_add_co_u32_e32 v48, vcc, v44, v33
	v_addc_co_u32_e32 v49, vcc, 0, v45, vcc
	v_add_co_u32_e32 v50, vcc, v44, v32
	v_addc_co_u32_e32 v51, vcc, 0, v45, vcc
	;; [unrolled: 2-line block ×4, first 2 shown]
	v_add_co_u32_e32 v56, vcc, v44, v22
	v_add_u32_e32 v42, s19, v36
	v_addc_co_u32_e32 v57, vcc, 0, v45, vcc
	v_mad_u64_u32 v[46:47], s[0:1], v42, 36, v[4:5]
	v_add_co_u32_e32 v58, vcc, v6, v22
	v_add_u32_e32 v43, s22, v36
	v_addc_co_u32_e32 v59, vcc, 0, v7, vcc
	v_mad_u64_u32 v[42:43], s[0:1], v43, 36, v[4:5]
	v_add_co_u32_e32 v60, vcc, v37, v34
	v_addc_co_u32_e32 v61, vcc, 0, v38, vcc
	v_add_co_u32_e32 v62, vcc, v46, v34
	v_addc_co_u32_e32 v63, vcc, 0, v47, vcc
	;; [unrolled: 2-line block ×4, first 2 shown]
	global_load_dword v83, v[37:38], off
	global_load_dword v84, v[37:38], off offset:36
	global_load_dword v85, v[37:38], off offset:72
	global_load_dword v86, v[46:47], off
	global_load_dword v87, v[46:47], off offset:36
	global_load_dword v88, v[46:47], off offset:72
	;; [unrolled: 3-line block ×4, first 2 shown]
	global_load_dword v95, v[8:9], off offset:108
	v_add_co_u32_e32 v8, vcc, v6, v24
	v_addc_co_u32_e32 v9, vcc, 0, v7, vcc
	v_add_co_u32_e32 v68, vcc, v6, v26
	v_addc_co_u32_e32 v69, vcc, 0, v7, vcc
	;; [unrolled: 2-line block ×6, first 2 shown]
	global_load_dword v96, v[48:49], off
	global_load_ubyte v97, v[56:57], off offset:106
	global_load_ubyte v98, v[56:57], off offset:96
	;; [unrolled: 1-line block ×4, first 2 shown]
	global_load_dword v101, v[50:51], off offset:32
	global_load_dword v102, v[52:53], off
	global_load_ubyte v103, v[58:59], off offset:96
	global_load_ubyte v104, v[58:59], off offset:98
	global_load_dword v105, v[54:55], off offset:32
	global_load_ubyte v106, v[56:57], off offset:104
	global_load_ubyte v107, v[58:59], off offset:104
	global_load_ubyte v108, v[58:59], off offset:106
	global_load_ubyte v109, v[8:9], off offset:96
	global_load_ubyte v110, v[74:75], off offset:104
                                        ; kill: killed $vgpr50 killed $vgpr51
                                        ; kill: killed $vgpr58 killed $vgpr59
                                        ; kill: killed $vgpr48 killed $vgpr49
                                        ; kill: killed $vgpr74 killed $vgpr75
                                        ; kill: killed $vgpr8 killed $vgpr9
                                        ; kill: killed $vgpr52 killed $vgpr53
                                        ; kill: killed $vgpr72 killed $vgpr73
                                        ; kill: killed $vgpr54 killed $vgpr55
                                        ; kill: killed $vgpr56 killed $vgpr57
	s_nop 0
	global_load_ubyte v8, v[76:77], off offset:96
	global_load_ubyte v9, v[70:71], off offset:104
	;; [unrolled: 1-line block ×3, first 2 shown]
	global_load_ushort v49, v[6:7], off offset:108
	global_load_dword v50, v[60:61], off offset:4
	global_load_dword v51, v[60:61], off offset:40
	;; [unrolled: 1-line block ×11, first 2 shown]
                                        ; kill: killed $vgpr6 killed $vgpr7
                                        ; kill: killed $vgpr76 killed $vgpr77
                                        ; kill: killed $vgpr70 killed $vgpr71
                                        ; kill: killed $vgpr62 killed $vgpr63
                                        ; kill: killed $vgpr37 killed $vgpr38
                                        ; kill: killed $vgpr46 killed $vgpr47
                                        ; kill: killed $vgpr60 killed $vgpr61
                                        ; kill: killed $vgpr68 killed $vgpr69
	global_load_dword v6, v[64:65], off offset:40
	global_load_dword v7, v[64:65], off offset:76
	;; [unrolled: 1-line block ×4, first 2 shown]
	global_load_ushort v46, v[44:45], off offset:108
	global_load_dword v47, v[66:67], off offset:4
	global_load_dword v60, v[66:67], off offset:40
	;; [unrolled: 1-line block ×4, first 2 shown]
	v_add_u32_e32 v18, 4, v18
	v_cmp_le_u32_e64 s[0:1], s9, v18
	v_add_u32_e32 v36, 32, v36
	s_or_b64 s[16:17], s[0:1], s[16:17]
	s_waitcnt vmcnt(38)
	v_ashrrev_i32_e32 v42, v21, v96
	s_waitcnt vmcnt(37)
	v_lshrrev_b32_e32 v71, v23, v97
	s_waitcnt vmcnt(36)
	v_bfe_u32 v67, v98, v23, 4
	v_not_b32_e32 v42, v42
	s_waitcnt vmcnt(34)
	v_bfe_u32 v73, v100, v23, 4
	s_waitcnt vmcnt(33)
	v_lshrrev_b32_e32 v45, 2, v101
	s_waitcnt vmcnt(32)
	v_ashrrev_i32_e32 v63, v21, v102
	v_not_b32_e32 v63, v63
	s_waitcnt vmcnt(30)
	v_bfe_u32 v75, v104, v23, 4
	v_lshrrev_b32_e32 v76, v23, v104
	s_waitcnt vmcnt(28)
	v_lshrrev_b32_e32 v69, v23, v106
	s_waitcnt vmcnt(27)
	;; [unrolled: 2-line block ×3, first 2 shown]
	v_lshrrev_b32_e32 v74, v23, v108
	v_lshrrev_b32_e32 v96, v25, v106
	;; [unrolled: 1-line block ×3, first 2 shown]
	s_waitcnt vmcnt(24)
	v_lshrrev_b32_e32 v102, v28, v110
	v_lshrrev_b32_e32 v107, v25, v107
	;; [unrolled: 1-line block ×5, first 2 shown]
	v_bfe_u32 v68, v103, v23, 4
	v_lshrrev_b32_e32 v77, v23, v100
	v_bfe_u32 v97, v99, v23, 4
	v_bfe_u32 v100, v109, v23, 4
	s_waitcnt vmcnt(23)
	v_bfe_u32 v103, v8, v23, 4
	s_waitcnt vmcnt(22)
	v_lshrrev_b32_e32 v104, v28, v9
	v_lshrrev_b32_e32 v9, v28, v9
	s_waitcnt vmcnt(21)
	v_bfe_u32 v108, v48, v23, 4
	v_lshrrev_b32_e32 v111, 4, v101
	v_lshrrev_b32_e32 v112, 4, v105
	;; [unrolled: 1-line block ×6, first 2 shown]
	v_lshlrev_b32_e32 v69, 4, v69
	v_lshlrev_b32_e32 v70, 4, v70
	;; [unrolled: 1-line block ×16, first 2 shown]
	v_bfe_u32 v43, v101, 24, 2
	v_and_b32_e32 v44, 0x3030303, v101
	v_bfe_u32 v64, v105, 24, 2
	v_and_b32_e32 v65, 0x3030303, v105
	v_lshrrev_b32_e32 v113, 6, v101
	v_lshrrev_b32_e32 v114, 6, v105
	v_and_b32_e32 v115, 0x3030303, v45
	v_bfe_u32 v45, v45, 24, 2
	v_and_b32_e32 v116, 0x3030303, v66
	v_bfe_u32 v66, v66, 24, 2
	v_and_b32_e32 v76, 15, v76
	v_and_b32_e32 v77, 15, v77
	;; [unrolled: 1-line block ×3, first 2 shown]
	v_bfe_u32 v111, v111, 24, 2
	v_and_b32_e32 v118, 0x3030303, v112
	v_bfe_u32 v112, v112, 24, 2
	v_and_b32_e32 v109, 15, v109
	v_and_b32_e32 v99, 15, v99
	;; [unrolled: 1-line block ×4, first 2 shown]
	v_and_or_b32 v123, v69, 48, v67
	v_and_or_b32 v124, v70, 48, v68
	;; [unrolled: 1-line block ×4, first 2 shown]
	v_and_b32_e32 v70, 48, v70
	v_and_b32_e32 v74, 48, v74
	;; [unrolled: 1-line block ×4, first 2 shown]
	v_and_or_b32 v96, v96, 48, v97
	v_and_or_b32 v97, v98, 48, v100
	;; [unrolled: 1-line block ×4, first 2 shown]
	v_and_b32_e32 v102, 0x4040404, v42
	v_and_b32_e32 v103, 0x4040404, v63
	;; [unrolled: 1-line block ×6, first 2 shown]
	v_lshrrev_b32_e32 v42, 1, v42
	v_lshrrev_b32_e32 v63, 1, v63
	v_and_b32_e32 v108, 0x4040404, v119
	v_and_b32_e32 v110, 0x4040404, v120
	;; [unrolled: 1-line block ×4, first 2 shown]
	v_lshrrev_b32_e32 v101, 30, v101
	v_lshrrev_b32_e32 v105, 30, v105
	v_and_b32_e32 v113, 0x3030303, v113
	v_and_b32_e32 v114, 0x3030303, v114
	v_or_b32_e32 v68, v70, v68
	v_or_b32_e32 v70, v74, v76
	;; [unrolled: 1-line block ×4, first 2 shown]
	v_sub_u16_sdwa v71, v111, v102 dst_sel:BYTE_1 dst_unused:UNUSED_PAD src0_sel:DWORD src1_sel:BYTE_3
	v_sub_u16_e32 v74, v117, v102
	v_sub_u16_sdwa v76, v117, v102 dst_sel:BYTE_1 dst_unused:UNUSED_PAD src0_sel:BYTE_1 src1_sel:BYTE_1
	v_sub_u16_sdwa v77, v117, v102 dst_sel:DWORD dst_unused:UNUSED_PAD src0_sel:WORD_1 src1_sel:WORD_1
	v_sub_u16_sdwa v102, v112, v103 dst_sel:BYTE_1 dst_unused:UNUSED_PAD src0_sel:DWORD src1_sel:BYTE_3
	v_sub_u16_e32 v111, v118, v103
	v_sub_u16_sdwa v112, v118, v103 dst_sel:BYTE_1 dst_unused:UNUSED_PAD src0_sel:BYTE_1 src1_sel:BYTE_1
	v_sub_u16_sdwa v103, v118, v103 dst_sel:DWORD dst_unused:UNUSED_PAD src0_sel:WORD_1 src1_sel:WORD_1
	v_or_b32_e32 v104, v104, v109
	v_or_b32_e32 v99, v106, v99
	;; [unrolled: 1-line block ×4, first 2 shown]
	v_and_b32_e32 v42, 0x4040404, v42
	v_and_b32_e32 v48, 0x4040404, v63
	v_subrev_u32_e32 v63, 32, v96
	v_subrev_u32_e32 v96, 32, v97
	;; [unrolled: 1-line block ×4, first 2 shown]
	v_sub_u16_sdwa v43, v43, v108 dst_sel:BYTE_1 dst_unused:UNUSED_PAD src0_sel:DWORD src1_sel:BYTE_3
	v_sub_u16_e32 v100, v44, v108
	v_sub_u16_sdwa v106, v44, v108 dst_sel:BYTE_1 dst_unused:UNUSED_PAD src0_sel:BYTE_1 src1_sel:BYTE_1
	v_sub_u16_sdwa v44, v44, v108 dst_sel:DWORD dst_unused:UNUSED_PAD src0_sel:WORD_1 src1_sel:WORD_1
	v_sub_u16_sdwa v45, v45, v110 dst_sel:BYTE_1 dst_unused:UNUSED_PAD src0_sel:DWORD src1_sel:BYTE_3
	v_sub_u16_e32 v107, v115, v110
	v_sub_u16_sdwa v108, v115, v110 dst_sel:BYTE_1 dst_unused:UNUSED_PAD src0_sel:BYTE_1 src1_sel:BYTE_1
	v_sub_u16_sdwa v109, v115, v110 dst_sel:DWORD dst_unused:UNUSED_PAD src0_sel:WORD_1 src1_sel:WORD_1
	;; [unrolled: 4-line block ×4, first 2 shown]
	v_or_b32_sdwa v74, v74, v76 dst_sel:DWORD dst_unused:UNUSED_PAD src0_sel:BYTE_0 src1_sel:DWORD
	v_or_b32_sdwa v71, v77, v71 dst_sel:WORD_1 dst_unused:UNUSED_PAD src0_sel:BYTE_0 src1_sel:DWORD
	v_or_b32_sdwa v76, v111, v112 dst_sel:DWORD dst_unused:UNUSED_PAD src0_sel:BYTE_0 src1_sel:DWORD
	v_or_b32_sdwa v77, v103, v102 dst_sel:WORD_1 dst_unused:UNUSED_PAD src0_sel:BYTE_0 src1_sel:DWORD
	v_sub_u16_sdwa v101, v101, v42 dst_sel:BYTE_1 dst_unused:UNUSED_PAD src0_sel:DWORD src1_sel:BYTE_3
	v_sub_u16_e32 v102, v113, v42
	v_sub_u16_sdwa v103, v113, v42 dst_sel:BYTE_1 dst_unused:UNUSED_PAD src0_sel:BYTE_1 src1_sel:BYTE_1
	v_sub_u16_sdwa v42, v113, v42 dst_sel:DWORD dst_unused:UNUSED_PAD src0_sel:WORD_1 src1_sel:WORD_1
	v_sub_u16_sdwa v105, v105, v48 dst_sel:BYTE_1 dst_unused:UNUSED_PAD src0_sel:DWORD src1_sel:BYTE_3
	v_sub_u16_e32 v111, v114, v48
	v_sub_u16_sdwa v112, v114, v48 dst_sel:BYTE_1 dst_unused:UNUSED_PAD src0_sel:BYTE_1 src1_sel:BYTE_1
	v_sub_u16_sdwa v48, v114, v48 dst_sel:DWORD dst_unused:UNUSED_PAD src0_sel:WORD_1 src1_sel:WORD_1
	v_or_b32_sdwa v100, v100, v106 dst_sel:DWORD dst_unused:UNUSED_PAD src0_sel:BYTE_0 src1_sel:DWORD
	v_or_b32_sdwa v43, v44, v43 dst_sel:WORD_1 dst_unused:UNUSED_PAD src0_sel:BYTE_0 src1_sel:DWORD
	v_or_b32_sdwa v44, v107, v108 dst_sel:DWORD dst_unused:UNUSED_PAD src0_sel:BYTE_0 src1_sel:DWORD
	v_or_b32_sdwa v45, v109, v45 dst_sel:WORD_1 dst_unused:UNUSED_PAD src0_sel:BYTE_0 src1_sel:DWORD
	;; [unrolled: 2-line block ×4, first 2 shown]
	v_or_b32_sdwa v71, v74, v71 dst_sel:DWORD dst_unused:UNUSED_PAD src0_sel:WORD_0 src1_sel:DWORD
	v_or_b32_sdwa v74, v76, v77 dst_sel:DWORD dst_unused:UNUSED_PAD src0_sel:WORD_0 src1_sel:DWORD
	v_or_b32_sdwa v76, v102, v103 dst_sel:DWORD dst_unused:UNUSED_PAD src0_sel:BYTE_0 src1_sel:DWORD
	v_or_b32_sdwa v42, v42, v101 dst_sel:WORD_1 dst_unused:UNUSED_PAD src0_sel:BYTE_0 src1_sel:DWORD
	v_or_b32_sdwa v77, v111, v112 dst_sel:DWORD dst_unused:UNUSED_PAD src0_sel:BYTE_0 src1_sel:DWORD
	v_or_b32_sdwa v48, v48, v105 dst_sel:WORD_1 dst_unused:UNUSED_PAD src0_sel:BYTE_0 src1_sel:DWORD
	v_or_b32_sdwa v43, v100, v43 dst_sel:DWORD dst_unused:UNUSED_PAD src0_sel:WORD_0 src1_sel:DWORD
	v_or_b32_sdwa v44, v44, v45 dst_sel:DWORD dst_unused:UNUSED_PAD src0_sel:WORD_0 src1_sel:DWORD
	;; [unrolled: 1-line block ×4, first 2 shown]
	v_subrev_u32_e32 v121, 32, v123
	v_subrev_u32_e32 v122, 32, v124
	;; [unrolled: 1-line block ×7, first 2 shown]
	v_dot4_i32_i8 v65, v71, v81, 0
	v_dot4_i32_i8 v66, v74, v81, 0
	s_waitcnt vmcnt(17)
	v_dot4_i32_i8 v81, v71, v52, 0
	v_dot4_i32_i8 v52, v74, v52, 0
	s_waitcnt vmcnt(12)
	;; [unrolled: 3-line block ×4, first 2 shown]
	v_dot4_i32_i8 v71, v71, v61, 0
	v_dot4_i32_i8 v61, v74, v61, 0
	v_or_b32_sdwa v42, v76, v42 dst_sel:DWORD dst_unused:UNUSED_PAD src0_sel:WORD_0 src1_sel:DWORD
	v_or_b32_sdwa v48, v77, v48 dst_sel:DWORD dst_unused:UNUSED_PAD src0_sel:WORD_0 src1_sel:DWORD
	v_dot4_i32_i8 v74, v43, v39, 0
	v_dot4_i32_i8 v39, v45, v39, 0
	;; [unrolled: 1-line block ×12, first 2 shown]
	v_subrev_u32_e32 v70, 32, v70
	v_subrev_u32_e32 v69, 32, v69
	v_dot4_i32_i8 v102, v44, v51, 0
	v_dot4_i32_i8 v51, v64, v51, 0
	;; [unrolled: 1-line block ×8, first 2 shown]
	v_mul_lo_u32 v60, v63, v65
	v_mul_lo_u32 v64, v63, v81
	;; [unrolled: 1-line block ×8, first 2 shown]
	v_dot4_i32_i8 v81, v42, v82, 0
	v_dot4_i32_i8 v82, v48, v82, 0
	;; [unrolled: 1-line block ×8, first 2 shown]
	s_waitcnt vmcnt(0)
	v_dot4_i32_i8 v42, v42, v62, 0
	v_dot4_i32_i8 v48, v48, v62, 0
	v_mul_lo_u32 v62, v121, v74
	v_mul_lo_u32 v39, v122, v39
	;; [unrolled: 1-line block ×12, first 2 shown]
	v_subrev_u32_e32 v104, 32, v104
	v_mul_lo_u32 v80, v73, v102
	v_mul_lo_u32 v51, v70, v51
	;; [unrolled: 1-line block ×8, first 2 shown]
	v_subrev_u32_e32 v9, 32, v9
	v_subrev_u32_e32 v8, 32, v8
	v_mul_lo_u32 v52, v104, v52
	v_mul_lo_u32 v7, v104, v7
	;; [unrolled: 1-line block ×12, first 2 shown]
	v_cvt_f32_i32_e32 v62, v62
	v_cvt_f32_i32_e32 v39, v39
	;; [unrolled: 1-line block ×40, first 2 shown]
	v_fma_mix_f32 v62, v41, v62, 0 op_sel_hi:[1,0,0]
	v_fma_mix_f32 v39, v41, v39, 0 op_sel_hi:[1,0,0]
	v_fma_mix_f32 v41, v83, v75, 0 op_sel_hi:[1,0,0]
	v_fma_mix_f32 v50, v83, v50, 0 op_sel_hi:[1,0,0]
	v_fma_mix_f32 v75, v86, v77, 0 op_sel_hi:[1,0,0]
	v_fma_mix_f32 v55, v86, v55, 0 op_sel_hi:[1,0,0]
	v_fma_mix_f32 v77, v89, v81, 0 op_sel_hi:[1,0,0]
	v_fma_mix_f32 v68, v89, v68, 0 op_sel_hi:[1,0,0]
	v_fma_mix_f32 v43, v92, v43, 0 op_sel_hi:[1,0,0]
	v_fma_mix_f32 v45, v92, v45, 0 op_sel_hi:[1,0,0]
	v_fma_mix_f32 v62, v40, v72, v62 op_sel_hi:[1,0,0]
	v_fma_mix_f32 v39, v40, v74, v39 op_sel_hi:[1,0,0]
	v_fma_mix_f32 v40, v84, v76, v41 op_sel_hi:[1,0,0]
	v_fma_mix_f32 v41, v84, v51, v50 op_sel_hi:[1,0,0]
	v_fma_mix_f32 v50, v87, v80, v75 op_sel_hi:[1,0,0]
	v_fma_mix_f32 v51, v87, v56, v55 op_sel_hi:[1,0,0]
	v_fma_mix_f32 v55, v90, v73, v77 op_sel_hi:[1,0,0]
	v_fma_mix_f32 v6, v90, v6, v68 op_sel_hi:[1,0,0]
	v_fma_mix_f32 v43, v93, v44, v43 op_sel_hi:[1,0,0]
	v_fma_mix_f32 v44, v93, v47, v45 op_sel_hi:[1,0,0]
	v_fma_mix_f32 v45, v78, v60, v62 op_sel_hi:[1,0,0]
	v_fma_mix_f32 v39, v78, v66, v39 op_sel_hi:[1,0,0]
	v_fma_mix_f32 v40, v85, v64, v40 op_sel_hi:[1,0,0]
	v_fma_mix_f32 v41, v85, v52, v41 op_sel_hi:[1,0,0]
	v_fma_mix_f32 v47, v88, v65, v50 op_sel_hi:[1,0,0]
	v_fma_mix_f32 v50, v88, v57, v51 op_sel_hi:[1,0,0]
	v_fma_mix_f32 v51, v91, v63, v55 op_sel_hi:[1,0,0]
	v_fma_mix_f32 v6, v91, v7, v6 op_sel_hi:[1,0,0]
	v_fma_mix_f32 v7, v94, v71, v43 op_sel_hi:[1,0,0]
	v_fma_mix_f32 v43, v94, v61, v44 op_sel_hi:[1,0,0]
	v_fma_mix_f32 v44, v79, v67, v45 op_sel_hi:[1,0,0]
	v_fma_mix_f32 v39, v79, v42, v39 op_sel_hi:[1,0,0]
	v_fma_mix_f32 v40, v54, v69, v40 op_sel_hi:[1,0,0]
	v_fma_mix_f32 v41, v54, v53, v41 op_sel_hi:[1,0,0]
	v_fma_mix_f32 v37, v59, v37, v47 op_sel_hi:[1,0,0]
	v_fma_mix_f32 v42, v59, v58, v50 op_sel_hi:[1,0,0]
	v_fma_mix_f32 v45, v38, v70, v51 op_sel_hi:[1,0,0]
	v_fma_mix_f32 v6, v38, v9, v6 op_sel_hi:[1,0,0]
	v_fma_mix_f32 v7, v95, v8, v7 op_sel_hi:[1,0,0]
	v_fma_mix_f32 v8, v95, v48, v43 op_sel_hi:[1,0,0]
	v_fma_mix_f32 v20, v44, v46, v20 op_sel_hi:[0,1,0]
	v_fma_mix_f32 v16, v40, v46, v16 op_sel_hi:[0,1,0]
	v_fma_mix_f32 v15, v37, v46, v15 op_sel_hi:[0,1,0]
	v_fma_mix_f32 v12, v45, v46, v12 op_sel_hi:[0,1,0]
	v_fma_mix_f32 v11, v7, v46, v11 op_sel_hi:[0,1,0]
	v_fma_mix_f32 v19, v39, v49, v19 op_sel_hi:[0,1,0]
	v_fma_mix_f32 v17, v41, v49, v17 op_sel_hi:[0,1,0]
	v_fma_mix_f32 v14, v42, v49, v14 op_sel_hi:[0,1,0]
	v_fma_mix_f32 v13, v6, v49, v13 op_sel_hi:[0,1,0]
	v_fma_mix_f32 v10, v8, v49, v10 op_sel_hi:[0,1,0]
	s_andn2_b64 exec, exec, s[16:17]
	s_cbranch_execnz .LBB116_2
; %bb.3:
	s_or_b64 exec, exec, s[16:17]
.LBB116_4:
	s_or_b64 exec, exec, s[10:11]
	s_mov_b32 s1, 0
	v_cmp_eq_u32_e32 vcc, 0, v1
	; wave barrier
	s_and_saveexec_b64 s[10:11], vcc
	s_cbranch_execz .LBB116_15
; %bb.5:
	v_mbcnt_lo_u32_b32 v1, -1, 0
	v_mbcnt_hi_u32_b32 v6, -1, v1
	v_and_b32_e32 v1, 64, v6
	v_add_u32_e32 v7, 64, v1
	v_xor_b32_e32 v1, 32, v6
	v_cmp_lt_i32_e32 vcc, v1, v7
	v_cndmask_b32_e32 v1, v6, v1, vcc
	v_lshlrev_b32_e32 v1, 2, v1
	ds_bpermute_b32 v5, v1, v20
	ds_bpermute_b32 v8, v1, v19
	v_xor_b32_e32 v2, 16, v6
	v_cmp_lt_i32_e32 vcc, v2, v7
	v_cndmask_b32_e32 v2, v6, v2, vcc
	v_lshlrev_b32_e32 v2, 2, v2
	s_waitcnt lgkmcnt(1)
	v_add_f32_e32 v5, v20, v5
	s_waitcnt lgkmcnt(0)
	v_add_f32_e32 v8, v19, v8
	ds_bpermute_b32 v18, v2, v5
	ds_bpermute_b32 v19, v2, v8
	v_xor_b32_e32 v3, 8, v6
	v_cmp_lt_i32_e32 vcc, v3, v7
	v_cndmask_b32_e32 v3, v6, v3, vcc
	v_lshlrev_b32_e32 v3, 2, v3
	s_waitcnt lgkmcnt(1)
	v_add_f32_e32 v18, v5, v18
	s_waitcnt lgkmcnt(0)
	v_add_f32_e32 v8, v8, v19
	;; [unrolled: 10-line block ×3, first 2 shown]
	ds_bpermute_b32 v20, v4, v18
	ds_bpermute_b32 v19, v4, v8
	v_xor_b32_e32 v9, 2, v6
	v_cmp_lt_i32_e32 vcc, v9, v7
	v_cndmask_b32_e32 v9, v6, v9, vcc
	v_lshlrev_b32_e32 v5, 2, v9
	v_xor_b32_e32 v9, 1, v6
	v_cmp_lt_i32_e32 vcc, v9, v7
	s_waitcnt lgkmcnt(1)
	v_add_f32_e32 v7, v18, v20
	s_waitcnt lgkmcnt(0)
	v_add_f32_e32 v18, v8, v19
	v_cndmask_b32_e32 v6, v6, v9, vcc
	ds_bpermute_b32 v9, v5, v7
	ds_bpermute_b32 v19, v5, v18
	s_load_dwordx2 s[4:5], s[4:5], 0x38
	s_mul_i32 s2, s2, s7
	v_lshlrev_b32_e32 v8, 2, v6
	s_waitcnt lgkmcnt(0)
	v_add_f32_e32 v6, v7, v9
	v_add_f32_e32 v9, v18, v19
	s_mul_i32 s0, s18, s8
	s_add_i32 s2, s2, s6
	ds_bpermute_b32 v7, v8, v6
	ds_bpermute_b32 v18, v8, v9
	s_add_i32 s0, s2, s0
	s_lshl_b64 s[0:1], s[0:1], 2
	s_add_u32 s2, s4, s0
	v_add_u32_e32 v19, s6, v0
	s_addc_u32 s3, s5, s1
	v_cmp_gt_u32_e32 vcc, 2, v0
	v_cmp_gt_u32_e64 s[0:1], s14, v19
	s_and_b64 s[0:1], vcc, s[0:1]
	s_waitcnt lgkmcnt(1)
	v_add_f32_e32 v6, v6, v7
	s_waitcnt lgkmcnt(0)
	v_add_f32_e32 v7, v9, v18
	s_and_saveexec_b64 s[4:5], s[0:1]
	s_cbranch_execz .LBB116_7
; %bb.6:
	v_cmp_eq_u32_e32 vcc, 1, v0
	v_cndmask_b32_e32 v9, v6, v7, vcc
	v_cmp_eq_u32_e32 vcc, 2, v0
	v_cndmask_b32_e32 v9, v9, v16, vcc
	v_cmp_eq_u32_e32 vcc, 3, v0
	v_cndmask_b32_e32 v9, v9, v17, vcc
	v_cmp_eq_u32_e32 vcc, 4, v0
	v_cndmask_b32_e32 v9, v9, v15, vcc
	v_cmp_eq_u32_e32 vcc, 5, v0
	v_cndmask_b32_e32 v9, v9, v14, vcc
	v_cmp_eq_u32_e32 vcc, 6, v0
	v_cndmask_b32_e32 v9, v9, v12, vcc
	v_cmp_eq_u32_e32 vcc, 7, v0
	v_cndmask_b32_e32 v9, v9, v13, vcc
	v_cmp_eq_u32_e32 vcc, 8, v0
	v_cndmask_b32_e32 v9, v9, v11, vcc
	v_cmp_eq_u32_e32 vcc, 9, v0
	v_cndmask_b32_e32 v9, v9, v10, vcc
	v_lshlrev_b32_e32 v18, 2, v0
	global_store_dword v18, v9, s[2:3]
.LBB116_7:
	s_or_b64 exec, exec, s[4:5]
	ds_bpermute_b32 v9, v1, v16
	ds_bpermute_b32 v18, v1, v17
	s_waitcnt lgkmcnt(1)
	v_add_f32_e32 v9, v16, v9
	s_waitcnt lgkmcnt(0)
	v_add_f32_e32 v16, v17, v18
	ds_bpermute_b32 v17, v2, v9
	ds_bpermute_b32 v18, v2, v16
	s_waitcnt lgkmcnt(1)
	v_add_f32_e32 v9, v9, v17
	s_waitcnt lgkmcnt(0)
	v_add_f32_e32 v16, v16, v18
	;; [unrolled: 6-line block ×6, first 2 shown]
	s_and_saveexec_b64 s[4:5], s[0:1]
	s_cbranch_execz .LBB116_9
; %bb.8:
	v_add_u32_e32 v17, 2, v0
	v_cmp_eq_u32_e32 vcc, 1, v17
	v_cndmask_b32_e32 v18, v6, v7, vcc
	v_cmp_eq_u32_e32 vcc, 2, v17
	v_cndmask_b32_e32 v18, v18, v16, vcc
	;; [unrolled: 2-line block ×9, first 2 shown]
	v_add_u32_e32 v17, s14, v0
	v_mov_b32_e32 v18, 0
	v_lshlrev_b64 v[17:18], 2, v[17:18]
	v_mov_b32_e32 v20, s3
	v_add_co_u32_e32 v17, vcc, s2, v17
	v_addc_co_u32_e32 v18, vcc, v20, v18, vcc
	global_store_dword v[17:18], v19, off
.LBB116_9:
	s_or_b64 exec, exec, s[4:5]
	ds_bpermute_b32 v17, v1, v15
	ds_bpermute_b32 v18, v1, v14
	s_waitcnt lgkmcnt(1)
	v_add_f32_e32 v15, v15, v17
	s_waitcnt lgkmcnt(0)
	v_add_f32_e32 v14, v14, v18
	ds_bpermute_b32 v17, v2, v15
	ds_bpermute_b32 v18, v2, v14
	s_waitcnt lgkmcnt(1)
	v_add_f32_e32 v15, v15, v17
	s_waitcnt lgkmcnt(0)
	v_add_f32_e32 v14, v14, v18
	;; [unrolled: 6-line block ×6, first 2 shown]
	s_and_saveexec_b64 s[4:5], s[0:1]
	s_cbranch_execz .LBB116_11
; %bb.10:
	v_add_u32_e32 v17, 4, v0
	v_cmp_eq_u32_e32 vcc, 1, v17
	v_cndmask_b32_e32 v18, v6, v7, vcc
	v_cmp_eq_u32_e32 vcc, 2, v17
	v_cndmask_b32_e32 v18, v18, v16, vcc
	v_cmp_eq_u32_e32 vcc, 3, v17
	v_cndmask_b32_e32 v18, v18, v9, vcc
	v_cmp_eq_u32_e32 vcc, 4, v17
	v_cndmask_b32_e32 v18, v18, v15, vcc
	v_cmp_eq_u32_e32 vcc, 5, v17
	v_cndmask_b32_e32 v18, v18, v14, vcc
	v_cmp_eq_u32_e32 vcc, 6, v17
	v_cndmask_b32_e32 v18, v18, v12, vcc
	v_cmp_eq_u32_e32 vcc, 7, v17
	v_cndmask_b32_e32 v18, v18, v13, vcc
	v_cmp_eq_u32_e32 vcc, 8, v17
	v_cndmask_b32_e32 v18, v18, v11, vcc
	v_cmp_eq_u32_e32 vcc, 9, v17
	v_cndmask_b32_e32 v19, v18, v10, vcc
	v_lshl_or_b32 v17, s14, 1, v0
	v_mov_b32_e32 v18, 0
	v_lshlrev_b64 v[17:18], 2, v[17:18]
	v_mov_b32_e32 v20, s3
	v_add_co_u32_e32 v17, vcc, s2, v17
	v_addc_co_u32_e32 v18, vcc, v20, v18, vcc
	global_store_dword v[17:18], v19, off
.LBB116_11:
	s_or_b64 exec, exec, s[4:5]
	ds_bpermute_b32 v17, v1, v12
	ds_bpermute_b32 v18, v1, v13
	s_waitcnt lgkmcnt(1)
	v_add_f32_e32 v12, v12, v17
	s_waitcnt lgkmcnt(0)
	v_add_f32_e32 v13, v13, v18
	ds_bpermute_b32 v17, v2, v12
	ds_bpermute_b32 v18, v2, v13
	s_waitcnt lgkmcnt(1)
	v_add_f32_e32 v12, v12, v17
	s_waitcnt lgkmcnt(0)
	v_add_f32_e32 v13, v13, v18
	;; [unrolled: 6-line block ×6, first 2 shown]
	s_and_saveexec_b64 s[4:5], s[0:1]
	s_cbranch_execz .LBB116_13
; %bb.12:
	v_add_u32_e32 v19, 6, v0
	v_cmp_eq_u32_e32 vcc, 1, v19
	v_cndmask_b32_e32 v17, v6, v7, vcc
	v_cmp_eq_u32_e32 vcc, 2, v19
	v_cndmask_b32_e32 v17, v17, v16, vcc
	;; [unrolled: 2-line block ×8, first 2 shown]
	v_mad_u64_u32 v[17:18], s[6:7], s14, 3, v[0:1]
	v_mov_b32_e32 v18, 0
	v_cmp_eq_u32_e32 vcc, 9, v19
	v_lshlrev_b64 v[17:18], 2, v[17:18]
	v_cndmask_b32_e32 v19, v20, v10, vcc
	v_mov_b32_e32 v20, s3
	v_add_co_u32_e32 v17, vcc, s2, v17
	v_addc_co_u32_e32 v18, vcc, v20, v18, vcc
	global_store_dword v[17:18], v19, off
.LBB116_13:
	s_or_b64 exec, exec, s[4:5]
	ds_bpermute_b32 v17, v1, v11
	ds_bpermute_b32 v1, v1, v10
	s_waitcnt lgkmcnt(1)
	v_add_f32_e32 v11, v11, v17
	s_waitcnt lgkmcnt(0)
	v_add_f32_e32 v1, v10, v1
	ds_bpermute_b32 v10, v2, v11
	ds_bpermute_b32 v2, v2, v1
	s_waitcnt lgkmcnt(1)
	v_add_f32_e32 v10, v11, v10
	s_waitcnt lgkmcnt(0)
	v_add_f32_e32 v1, v1, v2
	;; [unrolled: 6-line block ×5, first 2 shown]
	ds_bpermute_b32 v3, v8, v1
	ds_bpermute_b32 v4, v8, v2
	s_and_b64 exec, exec, s[0:1]
	s_cbranch_execz .LBB116_15
; %bb.14:
	s_waitcnt lgkmcnt(1)
	v_add_f32_e32 v1, v1, v3
	v_add_u32_e32 v3, 8, v0
	v_cmp_eq_u32_e32 vcc, 1, v3
	s_waitcnt lgkmcnt(0)
	v_add_f32_e32 v2, v2, v4
	v_cndmask_b32_e32 v4, v6, v7, vcc
	v_cmp_eq_u32_e32 vcc, 2, v3
	v_cndmask_b32_e32 v4, v4, v16, vcc
	v_cmp_eq_u32_e32 vcc, 3, v3
	;; [unrolled: 2-line block ×8, first 2 shown]
	v_cndmask_b32_e32 v2, v1, v2, vcc
	v_lshl_or_b32 v0, s14, 2, v0
	v_mov_b32_e32 v1, 0
	v_lshlrev_b64 v[0:1], 2, v[0:1]
	v_mov_b32_e32 v3, s3
	v_add_co_u32_e32 v0, vcc, s2, v0
	v_addc_co_u32_e32 v1, vcc, v3, v1, vcc
	global_store_dword v[0:1], v2, off
.LBB116_15:
	s_endpgm
	.section	.rodata,"a",@progbits
	.p2align	6, 0x0
	.amdhsa_kernel _ZL13mul_mat_vec_qIL9ggml_type11ELi5ELb0ELb0EEvPKvS2_PKi31ggml_cuda_mm_fusion_args_devicePfj15HIP_vector_typeIjLj3EEjjjS8_jjjS8_jjjj
		.amdhsa_group_segment_fixed_size 0
		.amdhsa_private_segment_fixed_size 0
		.amdhsa_kernarg_size 144
		.amdhsa_user_sgpr_count 6
		.amdhsa_user_sgpr_private_segment_buffer 1
		.amdhsa_user_sgpr_dispatch_ptr 0
		.amdhsa_user_sgpr_queue_ptr 0
		.amdhsa_user_sgpr_kernarg_segment_ptr 1
		.amdhsa_user_sgpr_dispatch_id 0
		.amdhsa_user_sgpr_flat_scratch_init 0
		.amdhsa_user_sgpr_private_segment_size 0
		.amdhsa_uses_dynamic_stack 0
		.amdhsa_system_sgpr_private_segment_wavefront_offset 0
		.amdhsa_system_sgpr_workgroup_id_x 1
		.amdhsa_system_sgpr_workgroup_id_y 1
		.amdhsa_system_sgpr_workgroup_id_z 1
		.amdhsa_system_sgpr_workgroup_info 0
		.amdhsa_system_vgpr_workitem_id 1
		.amdhsa_next_free_vgpr 125
		.amdhsa_next_free_sgpr 26
		.amdhsa_reserve_vcc 1
		.amdhsa_reserve_flat_scratch 0
		.amdhsa_float_round_mode_32 0
		.amdhsa_float_round_mode_16_64 0
		.amdhsa_float_denorm_mode_32 3
		.amdhsa_float_denorm_mode_16_64 3
		.amdhsa_dx10_clamp 1
		.amdhsa_ieee_mode 1
		.amdhsa_fp16_overflow 0
		.amdhsa_exception_fp_ieee_invalid_op 0
		.amdhsa_exception_fp_denorm_src 0
		.amdhsa_exception_fp_ieee_div_zero 0
		.amdhsa_exception_fp_ieee_overflow 0
		.amdhsa_exception_fp_ieee_underflow 0
		.amdhsa_exception_fp_ieee_inexact 0
		.amdhsa_exception_int_div_zero 0
	.end_amdhsa_kernel
	.section	.text._ZL13mul_mat_vec_qIL9ggml_type11ELi5ELb0ELb0EEvPKvS2_PKi31ggml_cuda_mm_fusion_args_devicePfj15HIP_vector_typeIjLj3EEjjjS8_jjjS8_jjjj,"axG",@progbits,_ZL13mul_mat_vec_qIL9ggml_type11ELi5ELb0ELb0EEvPKvS2_PKi31ggml_cuda_mm_fusion_args_devicePfj15HIP_vector_typeIjLj3EEjjjS8_jjjS8_jjjj,comdat
.Lfunc_end116:
	.size	_ZL13mul_mat_vec_qIL9ggml_type11ELi5ELb0ELb0EEvPKvS2_PKi31ggml_cuda_mm_fusion_args_devicePfj15HIP_vector_typeIjLj3EEjjjS8_jjjS8_jjjj, .Lfunc_end116-_ZL13mul_mat_vec_qIL9ggml_type11ELi5ELb0ELb0EEvPKvS2_PKi31ggml_cuda_mm_fusion_args_devicePfj15HIP_vector_typeIjLj3EEjjjS8_jjjS8_jjjj
                                        ; -- End function
	.set _ZL13mul_mat_vec_qIL9ggml_type11ELi5ELb0ELb0EEvPKvS2_PKi31ggml_cuda_mm_fusion_args_devicePfj15HIP_vector_typeIjLj3EEjjjS8_jjjS8_jjjj.num_vgpr, 125
	.set _ZL13mul_mat_vec_qIL9ggml_type11ELi5ELb0ELb0EEvPKvS2_PKi31ggml_cuda_mm_fusion_args_devicePfj15HIP_vector_typeIjLj3EEjjjS8_jjjS8_jjjj.num_agpr, 0
	.set _ZL13mul_mat_vec_qIL9ggml_type11ELi5ELb0ELb0EEvPKvS2_PKi31ggml_cuda_mm_fusion_args_devicePfj15HIP_vector_typeIjLj3EEjjjS8_jjjS8_jjjj.numbered_sgpr, 26
	.set _ZL13mul_mat_vec_qIL9ggml_type11ELi5ELb0ELb0EEvPKvS2_PKi31ggml_cuda_mm_fusion_args_devicePfj15HIP_vector_typeIjLj3EEjjjS8_jjjS8_jjjj.num_named_barrier, 0
	.set _ZL13mul_mat_vec_qIL9ggml_type11ELi5ELb0ELb0EEvPKvS2_PKi31ggml_cuda_mm_fusion_args_devicePfj15HIP_vector_typeIjLj3EEjjjS8_jjjS8_jjjj.private_seg_size, 0
	.set _ZL13mul_mat_vec_qIL9ggml_type11ELi5ELb0ELb0EEvPKvS2_PKi31ggml_cuda_mm_fusion_args_devicePfj15HIP_vector_typeIjLj3EEjjjS8_jjjS8_jjjj.uses_vcc, 1
	.set _ZL13mul_mat_vec_qIL9ggml_type11ELi5ELb0ELb0EEvPKvS2_PKi31ggml_cuda_mm_fusion_args_devicePfj15HIP_vector_typeIjLj3EEjjjS8_jjjS8_jjjj.uses_flat_scratch, 0
	.set _ZL13mul_mat_vec_qIL9ggml_type11ELi5ELb0ELb0EEvPKvS2_PKi31ggml_cuda_mm_fusion_args_devicePfj15HIP_vector_typeIjLj3EEjjjS8_jjjS8_jjjj.has_dyn_sized_stack, 0
	.set _ZL13mul_mat_vec_qIL9ggml_type11ELi5ELb0ELb0EEvPKvS2_PKi31ggml_cuda_mm_fusion_args_devicePfj15HIP_vector_typeIjLj3EEjjjS8_jjjS8_jjjj.has_recursion, 0
	.set _ZL13mul_mat_vec_qIL9ggml_type11ELi5ELb0ELb0EEvPKvS2_PKi31ggml_cuda_mm_fusion_args_devicePfj15HIP_vector_typeIjLj3EEjjjS8_jjjS8_jjjj.has_indirect_call, 0
	.section	.AMDGPU.csdata,"",@progbits
; Kernel info:
; codeLenInByte = 5296
; TotalNumSgprs: 30
; NumVgprs: 125
; ScratchSize: 0
; MemoryBound: 0
; FloatMode: 240
; IeeeMode: 1
; LDSByteSize: 0 bytes/workgroup (compile time only)
; SGPRBlocks: 3
; VGPRBlocks: 31
; NumSGPRsForWavesPerEU: 30
; NumVGPRsForWavesPerEU: 125
; Occupancy: 2
; WaveLimiterHint : 0
; COMPUTE_PGM_RSRC2:SCRATCH_EN: 0
; COMPUTE_PGM_RSRC2:USER_SGPR: 6
; COMPUTE_PGM_RSRC2:TRAP_HANDLER: 0
; COMPUTE_PGM_RSRC2:TGID_X_EN: 1
; COMPUTE_PGM_RSRC2:TGID_Y_EN: 1
; COMPUTE_PGM_RSRC2:TGID_Z_EN: 1
; COMPUTE_PGM_RSRC2:TIDIG_COMP_CNT: 1
	.section	.text._ZL13mul_mat_vec_qIL9ggml_type11ELi6ELb0ELb0EEvPKvS2_PKi31ggml_cuda_mm_fusion_args_devicePfj15HIP_vector_typeIjLj3EEjjjS8_jjjS8_jjjj,"axG",@progbits,_ZL13mul_mat_vec_qIL9ggml_type11ELi6ELb0ELb0EEvPKvS2_PKi31ggml_cuda_mm_fusion_args_devicePfj15HIP_vector_typeIjLj3EEjjjS8_jjjS8_jjjj,comdat
	.globl	_ZL13mul_mat_vec_qIL9ggml_type11ELi6ELb0ELb0EEvPKvS2_PKi31ggml_cuda_mm_fusion_args_devicePfj15HIP_vector_typeIjLj3EEjjjS8_jjjS8_jjjj ; -- Begin function _ZL13mul_mat_vec_qIL9ggml_type11ELi6ELb0ELb0EEvPKvS2_PKi31ggml_cuda_mm_fusion_args_devicePfj15HIP_vector_typeIjLj3EEjjjS8_jjjS8_jjjj
	.p2align	8
	.type	_ZL13mul_mat_vec_qIL9ggml_type11ELi6ELb0ELb0EEvPKvS2_PKi31ggml_cuda_mm_fusion_args_devicePfj15HIP_vector_typeIjLj3EEjjjS8_jjjS8_jjjj,@function
_ZL13mul_mat_vec_qIL9ggml_type11ELi6ELb0ELb0EEvPKvS2_PKi31ggml_cuda_mm_fusion_args_devicePfj15HIP_vector_typeIjLj3EEjjjS8_jjjS8_jjjj: ; @_ZL13mul_mat_vec_qIL9ggml_type11ELi6ELb0ELb0EEvPKvS2_PKi31ggml_cuda_mm_fusion_args_devicePfj15HIP_vector_typeIjLj3EEjjjS8_jjjS8_jjjj
; %bb.0:
	s_load_dword s9, s[4:5], 0x40
	s_load_dwordx4 s[12:15], s[4:5], 0x50
	s_load_dword s25, s[4:5], 0x60
	s_load_dwordx4 s[0:3], s[4:5], 0x68
	;; [unrolled: 2-line block ×3, first 2 shown]
	v_lshl_or_b32 v2, v1, 6, v0
	s_waitcnt lgkmcnt(0)
	s_lshr_b32 s9, s9, 8
	v_lshrrev_b32_e32 v20, 4, v2
	v_mov_b32_e32 v10, 0
	s_lshl_b32 s6, s6, 1
	v_cmp_gt_u32_e32 vcc, s9, v20
	v_mov_b32_e32 v11, v10
	v_mov_b32_e32 v13, v10
	;; [unrolled: 1-line block ×11, first 2 shown]
	s_and_saveexec_b64 s[10:11], vcc
	s_cbranch_execz .LBB117_4
; %bb.1:
	s_mul_hi_u32 s15, s15, s7
	s_add_i32 s15, s7, s15
	s_lshr_b32 s15, s15, s25
	s_load_dwordx4 s[20:23], s[4:5], 0x0
	s_mul_i32 s15, s15, s0
	s_mul_hi_u32 s0, s3, s8
	v_lshrrev_b32_e32 v2, 1, v0
	s_add_i32 s0, s8, s0
	v_and_b32_e32 v23, 4, v2
	v_lshlrev_b32_e32 v2, 1, v0
	s_lshr_b32 s0, s0, s24
	v_and_b32_e32 v5, 30, v2
	v_and_b32_e32 v2, 8, v0
	v_bfe_u32 v24, v0, 2, 1
	s_mul_i32 s3, s0, s16
	s_mul_i32 s0, s17, s8
	v_or_b32_e32 v3, v24, v2
	s_mul_hi_u32 s16, s0, 36
	s_mul_i32 s0, s0, 36
	v_lshrrev_b32_e32 v25, 1, v2
	v_or_b32_e32 v2, 4, v3
	s_waitcnt lgkmcnt(0)
	s_add_u32 s0, s22, s0
	s_mul_i32 s1, s1, s7
	v_and_b32_e32 v26, 5, v2
	v_lshrrev_b32_e32 v27, 1, v2
	v_or_b32_e32 v2, 6, v3
	s_addc_u32 s16, s23, s16
	s_mul_hi_u32 s17, s1, 36
	s_mul_i32 s1, s1, 36
	v_and_b32_e32 v28, 7, v2
	v_and_b32_e32 v29, 3, v2
	v_lshrrev_b32_e32 v2, 1, v2
	s_add_u32 s0, s0, s1
	v_and_b32_e32 v30, 6, v2
	v_bfe_u32 v2, v0, 3, 1
	s_addc_u32 s1, s16, s17
	s_add_i32 s15, s3, s15
	v_mul_hi_u32_u24_e32 v3, 0x90, v2
	v_mul_u32_u24_e32 v2, 0x90, v2
	s_movk_i32 s3, 0x120
	v_mad_u64_u32 v[2:3], s[16:17], v20, s3, v[2:3]
	v_and_b32_e32 v4, 7, v0
	v_lshlrev_b32_e32 v6, 1, v4
	v_mov_b32_e32 v7, s1
	v_add_co_u32_e32 v2, vcc, s0, v2
	v_lshlrev_b32_e32 v33, 2, v4
	v_lshlrev_b32_e32 v34, 1, v5
	;; [unrolled: 1-line block ×3, first 2 shown]
	v_mad_u64_u32 v[4:5], s[0:1], v23, 36, s[0:1]
	s_add_i32 s16, s6, 1
	v_mov_b32_e32 v10, 0
	s_mul_i32 s3, s6, s12
	s_mul_i32 s12, s12, s16
	v_addc_co_u32_e32 v3, vcc, v7, v3, vcc
	v_mov_b32_e32 v31, v25
	v_mov_b32_e32 v32, v27
	s_add_i32 s3, s15, s3
	s_add_i32 s12, s15, s12
	s_mul_i32 s15, s13, 5
	s_lshl_b32 s19, s13, 1
	s_mul_i32 s22, s13, 3
	s_lshl_b32 s23, s13, 2
	s_mov_b64 s[16:17], 0
	s_movk_i32 s24, 0x6e
	v_lshlrev_b32_e32 v35, 1, v6
	v_mov_b32_e32 v37, v30
	v_lshlrev_b32_e32 v38, 3, v20
	v_mov_b32_e32 v12, v10
	v_mov_b32_e32 v14, v10
	;; [unrolled: 1-line block ×11, first 2 shown]
.LBB117_2:                              ; =>This Inner Loop Header: Depth=1
	v_add_co_u32_e32 v6, vcc, v2, v33
	v_mov_b32_e32 v8, s20
	v_addc_co_u32_e32 v7, vcc, 0, v3, vcc
	v_add_u32_e32 v39, s3, v20
	v_mov_b32_e32 v9, s21
	global_load_dword v56, v[6:7], off offset:4
	global_load_dword v55, v[6:7], off offset:40
	;; [unrolled: 1-line block ×4, first 2 shown]
	v_mad_i64_i32 v[6:7], s[0:1], v39, s24, v[8:9]
	v_add_u32_e32 v40, s12, v20
	v_mad_i64_i32 v[61:62], s[0:1], v40, s24, v[8:9]
	v_add_co_u32_e32 v58, vcc, v6, v34
	v_addc_co_u32_e32 v59, vcc, 0, v7, vcc
	v_add_co_u32_e32 v63, vcc, v6, v35
	v_addc_co_u32_e32 v64, vcc, 0, v7, vcc
	;; [unrolled: 2-line block ×7, first 2 shown]
	v_add_co_u32_e32 v80, vcc, v61, v26
	v_add_u32_e32 v41, s13, v38
	v_addc_co_u32_e32 v81, vcc, 0, v62, vcc
	v_mad_u64_u32 v[66:67], s[0:1], v41, 36, v[4:5]
	v_add_co_u32_e32 v82, vcc, v61, v28
	v_add_u32_e32 v42, s19, v38
	v_addc_co_u32_e32 v83, vcc, 0, v62, vcc
	v_mad_u64_u32 v[74:75], s[0:1], v42, 36, v[4:5]
	;; [unrolled: 4-line block ×5, first 2 shown]
	v_add_co_u32_e32 v95, vcc, v8, v36
	v_addc_co_u32_e32 v96, vcc, 0, v9, vcc
	v_add_co_u32_e32 v97, vcc, v85, v36
	v_addc_co_u32_e32 v98, vcc, 0, v86, vcc
	;; [unrolled: 2-line block ×4, first 2 shown]
	v_add_co_u32_e32 v103, vcc, v6, v28
	global_load_dword v48, v[66:67], off
	global_load_dword v43, v[66:67], off offset:36
	global_load_dword v39, v[66:67], off offset:72
	global_load_dword v49, v[74:75], off
	global_load_dword v44, v[74:75], off offset:36
	global_load_dword v40, v[74:75], off offset:72
	;; [unrolled: 3-line block ×5, first 2 shown]
	v_addc_co_u32_e32 v104, vcc, 0, v7, vcc
	global_load_ubyte v105, v[72:73], off offset:106
	global_load_ubyte v106, v[72:73], off offset:98
	global_load_dword v107, v[63:64], off
	global_load_dword v108, v[58:59], off offset:32
	global_load_dword v109, v[70:71], off
	global_load_dword v110, v[68:69], off offset:32
	global_load_ubyte v111, v[78:79], off offset:96
	global_load_ubyte v112, v[72:73], off offset:104
	;; [unrolled: 1-line block ×9, first 2 shown]
                                        ; kill: killed $vgpr70 killed $vgpr71
                                        ; kill: killed $vgpr68 killed $vgpr69
                                        ; kill: killed $vgpr101 killed $vgpr102
                                        ; kill: killed $vgpr78 killed $vgpr79
                                        ; kill: killed $vgpr58 killed $vgpr59
                                        ; kill: killed $vgpr72 killed $vgpr73
                                        ; kill: killed $vgpr80 killed $vgpr81
                                        ; kill: killed $vgpr63 killed $vgpr64
                                        ; kill: killed $vgpr76 killed $vgpr77
	global_load_ushort v58, v[61:62], off offset:108
	s_nop 0
	global_load_ubyte v101, v[103:104], off offset:96
	global_load_ubyte v102, v[82:83], off offset:96
	;; [unrolled: 1-line block ×3, first 2 shown]
	global_load_dword v70, v[91:92], off offset:4
	global_load_dword v69, v[91:92], off offset:40
	;; [unrolled: 1-line block ×11, first 2 shown]
                                        ; kill: killed $vgpr103 killed $vgpr104
                                        ; kill: killed $vgpr74 killed $vgpr75
                                        ; kill: killed $vgpr66 killed $vgpr67
                                        ; kill: killed $vgpr89 killed $vgpr90
                                        ; kill: killed $vgpr91 killed $vgpr92
                                        ; kill: killed $vgpr61 killed $vgpr62
                                        ; kill: killed $vgpr82 killed $vgpr83
                                        ; kill: killed $vgpr93 killed $vgpr94
	s_nop 0
	global_load_dword v74, v[95:96], off offset:40
	global_load_dword v81, v[95:96], off offset:76
	;; [unrolled: 1-line block ×14, first 2 shown]
	global_load_ushort v84, v[6:7], off offset:108
	v_add_u32_e32 v20, 4, v20
	v_cmp_le_u32_e64 s[0:1], s9, v20
	v_add_u32_e32 v38, 32, v38
	s_or_b64 s[16:17], s[0:1], s[16:17]
	s_waitcnt vmcnt(44)
	v_lshrrev_b32_e32 v6, v25, v105
	s_waitcnt vmcnt(43)
	v_lshrrev_b32_e32 v7, v25, v106
	s_waitcnt vmcnt(42)
	v_ashrrev_i32_e32 v8, v23, v107
	v_bfe_u32 v97, v106, v25, 4
	s_waitcnt vmcnt(40)
	v_ashrrev_i32_e32 v87, v23, v109
	v_lshrrev_b32_e32 v103, 4, v108
	s_waitcnt vmcnt(38)
	v_bfe_u32 v91, v111, v25, 4
	s_waitcnt vmcnt(37)
	v_lshrrev_b32_e32 v109, v27, v112
	s_waitcnt vmcnt(36)
	v_bfe_u32 v92, v113, v25, 4
	s_waitcnt vmcnt(35)
	v_lshrrev_b32_e32 v93, v25, v114
	s_waitcnt vmcnt(34)
	v_lshrrev_b32_e32 v95, v25, v115
	v_lshrrev_b32_e32 v99, v27, v114
	s_waitcnt vmcnt(32)
	v_bfe_u32 v100, v117, v25, 4
	v_lshrrev_b32_e32 v111, v31, v117
	v_lshrrev_b32_e32 v94, v25, v112
	v_bfe_u32 v96, v116, v25, 4
	v_lshrrev_b32_e32 v98, v25, v116
	s_waitcnt vmcnt(31)
	v_lshrrev_b32_e32 v105, v25, v118
	v_lshrrev_b32_e32 v106, v27, v112
	v_bfe_u32 v107, v118, v25, 4
	v_lshrrev_b32_e32 v112, v32, v114
	s_waitcnt vmcnt(30)
	v_lshrrev_b32_e32 v113, v30, v119
	v_lshrrev_b32_e32 v118, v37, v119
	v_lshlrev_b32_e32 v6, 4, v6
	v_not_b32_e32 v8, v8
	v_not_b32_e32 v87, v87
	s_waitcnt vmcnt(27)
	v_lshrrev_b32_e32 v115, v25, v102
	s_waitcnt vmcnt(26)
	v_lshrrev_b32_e32 v117, v30, v120
	v_lshrrev_b32_e32 v116, v30, v120
	v_bfe_u32 v102, v102, v25, 4
	v_lshlrev_b32_e32 v93, 4, v93
	v_lshlrev_b32_e32 v95, 4, v95
	;; [unrolled: 1-line block ×5, first 2 shown]
	v_lshrrev_b32_e32 v86, 2, v108
	v_lshrrev_b32_e32 v90, 2, v110
	;; [unrolled: 1-line block ×3, first 2 shown]
	v_bfe_u32 v114, v101, v25, 4
	v_lshrrev_b32_e32 v101, v31, v101
	v_and_b32_e32 v7, 15, v7
	v_lshlrev_b32_e32 v94, 4, v94
	v_and_b32_e32 v98, 15, v98
	v_and_b32_e32 v121, 0x3030303, v103
	v_bfe_u32 v103, v103, 24, 2
	v_lshlrev_b32_e32 v106, 4, v106
	v_lshlrev_b32_e32 v112, 4, v112
	;; [unrolled: 1-line block ×5, first 2 shown]
	v_and_b32_e32 v123, 48, v6
	v_lshlrev_b32_e32 v124, 2, v8
	v_lshlrev_b32_e32 v125, 1, v8
	v_and_or_b32 v6, v6, 48, v97
	v_lshlrev_b32_e32 v97, 2, v87
	v_and_or_b32 v99, v99, 48, v100
	;; [unrolled: 2-line block ×3, first 2 shown]
	v_and_or_b32 v109, v93, 48, v91
	v_and_or_b32 v96, v95, 48, v96
	v_and_b32_e32 v93, 48, v93
	v_and_b32_e32 v95, 48, v95
	v_and_or_b32 v102, v117, 48, v102
	v_and_b32_e32 v117, 0x4040404, v8
	v_bfe_u32 v9, v108, 24, 2
	v_and_b32_e32 v85, 0x3030303, v108
	v_bfe_u32 v88, v110, 24, 2
	v_and_b32_e32 v89, 0x3030303, v110
	v_and_b32_e32 v119, 0x3030303, v86
	v_bfe_u32 v86, v86, 24, 2
	v_and_b32_e32 v120, 0x3030303, v90
	v_bfe_u32 v90, v90, 24, 2
	;; [unrolled: 2-line block ×3, first 2 shown]
	v_and_b32_e32 v105, 15, v105
	v_and_b32_e32 v111, 15, v111
	;; [unrolled: 1-line block ×4, first 2 shown]
	v_and_or_b32 v113, v113, 48, v114
	v_and_b32_e32 v114, 48, v94
	v_or_b32_e32 v7, v123, v7
	v_and_b32_e32 v123, 0x4040404, v87
	v_and_b32_e32 v106, 48, v106
	;; [unrolled: 1-line block ×9, first 2 shown]
	v_or_b32_e32 v91, v93, v91
	v_or_b32_e32 v93, v95, v98
	v_sub_u16_sdwa v95, v103, v117 dst_sel:BYTE_1 dst_unused:UNUSED_PAD src0_sel:DWORD src1_sel:BYTE_3
	v_sub_u16_e32 v98, v121, v117
	v_sub_u16_sdwa v103, v121, v117 dst_sel:BYTE_1 dst_unused:UNUSED_PAD src0_sel:BYTE_1 src1_sel:BYTE_1
	v_and_or_b32 v94, v94, 48, v92
	v_or_b32_e32 v92, v114, v92
	v_sub_u16_sdwa v114, v121, v117 dst_sel:DWORD dst_unused:UNUSED_PAD src0_sel:WORD_1 src1_sel:WORD_1
	v_sub_u16_sdwa v104, v104, v123 dst_sel:BYTE_1 dst_unused:UNUSED_PAD src0_sel:DWORD src1_sel:BYTE_3
	v_sub_u16_e32 v117, v122, v123
	v_sub_u16_sdwa v121, v122, v123 dst_sel:BYTE_1 dst_unused:UNUSED_PAD src0_sel:BYTE_1 src1_sel:BYTE_1
	v_sub_u16_sdwa v122, v122, v123 dst_sel:DWORD dst_unused:UNUSED_PAD src0_sel:WORD_1 src1_sel:WORD_1
	v_or_b32_e32 v105, v106, v105
	v_or_b32_e32 v106, v112, v111
	;; [unrolled: 1-line block ×4, first 2 shown]
	v_sub_u16_sdwa v9, v9, v124 dst_sel:BYTE_1 dst_unused:UNUSED_PAD src0_sel:DWORD src1_sel:BYTE_3
	v_sub_u16_e32 v112, v85, v124
	v_sub_u16_sdwa v115, v85, v124 dst_sel:BYTE_1 dst_unused:UNUSED_PAD src0_sel:BYTE_1 src1_sel:BYTE_1
	v_sub_u16_sdwa v85, v85, v124 dst_sel:DWORD dst_unused:UNUSED_PAD src0_sel:WORD_1 src1_sel:WORD_1
	v_sub_u16_sdwa v86, v86, v125 dst_sel:BYTE_1 dst_unused:UNUSED_PAD src0_sel:DWORD src1_sel:BYTE_3
	v_sub_u16_e32 v116, v119, v125
	v_sub_u16_sdwa v118, v119, v125 dst_sel:BYTE_1 dst_unused:UNUSED_PAD src0_sel:BYTE_1 src1_sel:BYTE_1
	v_sub_u16_sdwa v119, v119, v125 dst_sel:DWORD dst_unused:UNUSED_PAD src0_sel:WORD_1 src1_sel:WORD_1
	;; [unrolled: 4-line block ×4, first 2 shown]
	v_lshrrev_b32_e32 v120, 6, v108
	v_or_b32_sdwa v98, v98, v103 dst_sel:DWORD dst_unused:UNUSED_PAD src0_sel:BYTE_0 src1_sel:DWORD
	v_lshrrev_b32_e32 v103, 6, v110
	v_lshrrev_b32_e32 v8, 1, v8
	;; [unrolled: 1-line block ×5, first 2 shown]
	v_and_b32_e32 v120, 0x3030303, v120
	v_and_b32_e32 v103, 0x3030303, v103
	;; [unrolled: 1-line block ×4, first 2 shown]
	v_or_b32_sdwa v95, v114, v95 dst_sel:WORD_1 dst_unused:UNUSED_PAD src0_sel:BYTE_0 src1_sel:DWORD
	v_or_b32_sdwa v114, v117, v121 dst_sel:DWORD dst_unused:UNUSED_PAD src0_sel:BYTE_0 src1_sel:DWORD
	v_or_b32_sdwa v104, v122, v104 dst_sel:WORD_1 dst_unused:UNUSED_PAD src0_sel:BYTE_0 src1_sel:DWORD
	v_sub_u16_sdwa v108, v108, v8 dst_sel:BYTE_1 dst_unused:UNUSED_PAD src0_sel:DWORD src1_sel:BYTE_3
	v_sub_u16_e32 v117, v120, v8
	v_sub_u16_sdwa v121, v120, v8 dst_sel:BYTE_1 dst_unused:UNUSED_PAD src0_sel:BYTE_1 src1_sel:BYTE_1
	v_sub_u16_sdwa v8, v120, v8 dst_sel:DWORD dst_unused:UNUSED_PAD src0_sel:WORD_1 src1_sel:WORD_1
	v_sub_u16_sdwa v110, v110, v87 dst_sel:BYTE_1 dst_unused:UNUSED_PAD src0_sel:DWORD src1_sel:BYTE_3
	v_sub_u16_e32 v120, v103, v87
	v_sub_u16_sdwa v122, v103, v87 dst_sel:BYTE_1 dst_unused:UNUSED_PAD src0_sel:BYTE_1 src1_sel:BYTE_1
	v_sub_u16_sdwa v87, v103, v87 dst_sel:DWORD dst_unused:UNUSED_PAD src0_sel:WORD_1 src1_sel:WORD_1
	global_load_dword v103, v[2:3], off
	v_or_b32_sdwa v112, v112, v115 dst_sel:DWORD dst_unused:UNUSED_PAD src0_sel:BYTE_0 src1_sel:DWORD
	global_load_dword v115, v[2:3], off offset:36
	v_or_b32_sdwa v9, v85, v9 dst_sel:WORD_1 dst_unused:UNUSED_PAD src0_sel:BYTE_0 src1_sel:DWORD
	global_load_dword v85, v[2:3], off offset:72
	v_or_b32_sdwa v116, v116, v118 dst_sel:DWORD dst_unused:UNUSED_PAD src0_sel:BYTE_0 src1_sel:DWORD
	global_load_dword v118, v[2:3], off offset:108
	v_or_b32_sdwa v86, v119, v86 dst_sel:WORD_1 dst_unused:UNUSED_PAD src0_sel:BYTE_0 src1_sel:DWORD
	v_or_b32_sdwa v119, v123, v124 dst_sel:DWORD dst_unused:UNUSED_PAD src0_sel:BYTE_0 src1_sel:DWORD
	v_or_b32_sdwa v88, v89, v88 dst_sel:WORD_1 dst_unused:UNUSED_PAD src0_sel:BYTE_0 src1_sel:DWORD
	v_or_b32_sdwa v89, v97, v125 dst_sel:DWORD dst_unused:UNUSED_PAD src0_sel:BYTE_0 src1_sel:DWORD
	v_or_b32_sdwa v90, v100, v90 dst_sel:WORD_1 dst_unused:UNUSED_PAD src0_sel:BYTE_0 src1_sel:DWORD
	v_or_b32_sdwa v95, v98, v95 dst_sel:DWORD dst_unused:UNUSED_PAD src0_sel:WORD_0 src1_sel:DWORD
	v_or_b32_sdwa v97, v114, v104 dst_sel:DWORD dst_unused:UNUSED_PAD src0_sel:WORD_0 src1_sel:DWORD
	v_or_b32_sdwa v98, v117, v121 dst_sel:DWORD dst_unused:UNUSED_PAD src0_sel:BYTE_0 src1_sel:DWORD
	v_or_b32_sdwa v8, v8, v108 dst_sel:WORD_1 dst_unused:UNUSED_PAD src0_sel:BYTE_0 src1_sel:DWORD
	v_or_b32_sdwa v100, v120, v122 dst_sel:DWORD dst_unused:UNUSED_PAD src0_sel:BYTE_0 src1_sel:DWORD
	v_or_b32_sdwa v87, v87, v110 dst_sel:WORD_1 dst_unused:UNUSED_PAD src0_sel:BYTE_0 src1_sel:DWORD
	v_or_b32_sdwa v9, v112, v9 dst_sel:DWORD dst_unused:UNUSED_PAD src0_sel:WORD_0 src1_sel:DWORD
	v_or_b32_sdwa v86, v116, v86 dst_sel:DWORD dst_unused:UNUSED_PAD src0_sel:WORD_0 src1_sel:DWORD
	;; [unrolled: 1-line block ×4, first 2 shown]
	v_subrev_u32_e32 v109, 32, v109
	v_subrev_u32_e32 v96, 32, v96
	;; [unrolled: 1-line block ×10, first 2 shown]
	v_dot4_i32_i8 v90, v95, v57, 0
	v_dot4_i32_i8 v57, v97, v57, 0
	s_waitcnt vmcnt(27)
	v_dot4_i32_i8 v104, v95, v79, 0
	v_dot4_i32_i8 v79, v97, v79, 0
	s_waitcnt vmcnt(22)
	;; [unrolled: 3-line block ×5, first 2 shown]
	v_dot4_i32_i8 v95, v95, v83, 0
	v_dot4_i32_i8 v83, v97, v83, 0
	v_or_b32_sdwa v8, v98, v8 dst_sel:DWORD dst_unused:UNUSED_PAD src0_sel:WORD_0 src1_sel:DWORD
	v_or_b32_sdwa v87, v100, v87 dst_sel:DWORD dst_unused:UNUSED_PAD src0_sel:WORD_0 src1_sel:DWORD
	v_dot4_i32_i8 v97, v9, v56, 0
	v_dot4_i32_i8 v56, v88, v56, 0
	v_dot4_i32_i8 v98, v86, v55, 0
	v_dot4_i32_i8 v55, v89, v55, 0
	v_dot4_i32_i8 v100, v9, v70, 0
	v_dot4_i32_i8 v70, v88, v70, 0
	v_dot4_i32_i8 v116, v9, v72, 0
	v_dot4_i32_i8 v72, v88, v72, 0
	v_dot4_i32_i8 v117, v86, v71, 0
	v_dot4_i32_i8 v71, v89, v71, 0
	v_dot4_i32_i8 v119, v9, v73, 0
	v_dot4_i32_i8 v73, v88, v73, 0
	v_dot4_i32_i8 v121, v9, v75, 0
	v_dot4_i32_i8 v122, v86, v76, 0
	v_dot4_i32_i8 v75, v88, v75, 0
	v_dot4_i32_i8 v76, v89, v76, 0
	v_dot4_i32_i8 v9, v9, v78, 0
	v_dot4_i32_i8 v78, v88, v78, 0
	v_subrev_u32_e32 v6, 32, v6
	v_subrev_u32_e32 v93, 32, v93
	v_dot4_i32_i8 v114, v86, v69, 0
	v_dot4_i32_i8 v69, v89, v69, 0
	;; [unrolled: 1-line block ×6, first 2 shown]
	v_mul_lo_u32 v88, v99, v90
	v_mul_lo_u32 v57, v105, v57
	;; [unrolled: 1-line block ×12, first 2 shown]
	v_dot4_i32_i8 v105, v8, v54, 0
	v_dot4_i32_i8 v54, v87, v54, 0
	;; [unrolled: 1-line block ×10, first 2 shown]
	s_waitcnt vmcnt(6)
	v_dot4_i32_i8 v8, v8, v68, 0
	v_dot4_i32_i8 v68, v87, v68, 0
	v_mul_lo_u32 v87, v109, v97
	v_mul_lo_u32 v56, v92, v56
	;; [unrolled: 1-line block ×24, first 2 shown]
	v_subrev_u32_e32 v113, 32, v113
	v_subrev_u32_e32 v102, 32, v102
	;; [unrolled: 1-line block ×4, first 2 shown]
	v_mul_lo_u32 v77, v113, v105
	v_mul_lo_u32 v54, v111, v54
	;; [unrolled: 1-line block ×12, first 2 shown]
	v_cvt_f32_i32_e32 v94, v104
	v_cvt_f32_i32_e32 v87, v87
	;; [unrolled: 1-line block ×48, first 2 shown]
	s_waitcnt vmcnt(3)
	v_fma_mix_f32 v87, v103, v87, 0 op_sel_hi:[1,0,0]
	v_fma_mix_f32 v56, v103, v56, 0 op_sel_hi:[1,0,0]
	v_fma_mix_f32 v98, v48, v98, 0 op_sel_hi:[1,0,0]
	v_fma_mix_f32 v48, v48, v70, 0 op_sel_hi:[1,0,0]
	v_fma_mix_f32 v70, v49, v101, 0 op_sel_hi:[1,0,0]
	v_fma_mix_f32 v49, v49, v72, 0 op_sel_hi:[1,0,0]
	v_fma_mix_f32 v72, v51, v104, 0 op_sel_hi:[1,0,0]
	v_fma_mix_f32 v51, v51, v73, 0 op_sel_hi:[1,0,0]
	v_fma_mix_f32 v73, v52, v106, 0 op_sel_hi:[1,0,0]
	v_fma_mix_f32 v52, v52, v75, 0 op_sel_hi:[1,0,0]
	v_fma_mix_f32 v9, v53, v9, 0 op_sel_hi:[1,0,0]
	v_fma_mix_f32 v53, v53, v76, 0 op_sel_hi:[1,0,0]
	s_waitcnt vmcnt(2)
	v_fma_mix_f32 v75, v115, v97, v87 op_sel_hi:[1,0,0]
	v_fma_mix_f32 v55, v115, v55, v56 op_sel_hi:[1,0,0]
	v_fma_mix_f32 v56, v43, v100, v98 op_sel_hi:[1,0,0]
	v_fma_mix_f32 v43, v43, v69, v48 op_sel_hi:[1,0,0]
	v_fma_mix_f32 v48, v44, v102, v70 op_sel_hi:[1,0,0]
	v_fma_mix_f32 v44, v44, v71, v49 op_sel_hi:[1,0,0]
	v_fma_mix_f32 v49, v46, v105, v72 op_sel_hi:[1,0,0]
	v_fma_mix_f32 v46, v46, v74, v51 op_sel_hi:[1,0,0]
	v_fma_mix_f32 v51, v47, v96, v73 op_sel_hi:[1,0,0]
	v_fma_mix_f32 v7, v47, v7, v52 op_sel_hi:[1,0,0]
	v_fma_mix_f32 v9, v50, v78, v9 op_sel_hi:[1,0,0]
	v_fma_mix_f32 v6, v50, v6, v53 op_sel_hi:[1,0,0]
	;; [unrolled: 13-line block ×3, first 2 shown]
	v_add_co_u32_e32 v2, vcc, 0x480, v2
	s_waitcnt vmcnt(0)
	v_fma_mix_f32 v42, v118, v77, v47 op_sel_hi:[1,0,0]
	v_fma_mix_f32 v45, v118, v54, v50 op_sel_hi:[1,0,0]
	;; [unrolled: 1-line block ×12, first 2 shown]
	v_addc_co_u32_e32 v3, vcc, 0, v3, vcc
	v_fma_mix_f32 v21, v42, v84, v21 op_sel_hi:[0,1,0]
	v_fma_mix_f32 v19, v47, v84, v19 op_sel_hi:[0,1,0]
	v_fma_mix_f32 v16, v43, v84, v16 op_sel_hi:[0,1,0]
	v_fma_mix_f32 v15, v44, v84, v15 op_sel_hi:[0,1,0]
	v_fma_mix_f32 v12, v46, v84, v12 op_sel_hi:[0,1,0]
	v_fma_mix_f32 v11, v8, v84, v11 op_sel_hi:[0,1,0]
	v_fma_mix_f32 v22, v45, v58, v22 op_sel_hi:[0,1,0]
	v_fma_mix_f32 v18, v39, v58, v18 op_sel_hi:[0,1,0]
	v_fma_mix_f32 v17, v40, v58, v17 op_sel_hi:[0,1,0]
	v_fma_mix_f32 v14, v41, v58, v14 op_sel_hi:[0,1,0]
	v_fma_mix_f32 v13, v7, v58, v13 op_sel_hi:[0,1,0]
	v_fma_mix_f32 v10, v6, v58, v10 op_sel_hi:[0,1,0]
	s_andn2_b64 exec, exec, s[16:17]
	s_cbranch_execnz .LBB117_2
; %bb.3:
	s_or_b64 exec, exec, s[16:17]
.LBB117_4:
	s_or_b64 exec, exec, s[10:11]
	s_mov_b32 s1, 0
	v_cmp_eq_u32_e32 vcc, 0, v1
	; wave barrier
	s_and_saveexec_b64 s[10:11], vcc
	s_cbranch_execz .LBB117_17
; %bb.5:
	v_mbcnt_lo_u32_b32 v1, -1, 0
	v_mbcnt_hi_u32_b32 v6, -1, v1
	v_and_b32_e32 v1, 64, v6
	v_add_u32_e32 v7, 64, v1
	v_xor_b32_e32 v1, 32, v6
	v_cmp_lt_i32_e32 vcc, v1, v7
	v_cndmask_b32_e32 v1, v6, v1, vcc
	v_lshlrev_b32_e32 v1, 2, v1
	ds_bpermute_b32 v5, v1, v21
	ds_bpermute_b32 v8, v1, v22
	v_xor_b32_e32 v2, 16, v6
	v_cmp_lt_i32_e32 vcc, v2, v7
	v_cndmask_b32_e32 v2, v6, v2, vcc
	v_lshlrev_b32_e32 v2, 2, v2
	s_waitcnt lgkmcnt(1)
	v_add_f32_e32 v5, v21, v5
	s_waitcnt lgkmcnt(0)
	v_add_f32_e32 v8, v22, v8
	ds_bpermute_b32 v20, v2, v5
	ds_bpermute_b32 v21, v2, v8
	v_xor_b32_e32 v3, 8, v6
	v_cmp_lt_i32_e32 vcc, v3, v7
	v_cndmask_b32_e32 v3, v6, v3, vcc
	v_lshlrev_b32_e32 v3, 2, v3
	s_waitcnt lgkmcnt(1)
	v_add_f32_e32 v20, v5, v20
	s_waitcnt lgkmcnt(0)
	v_add_f32_e32 v8, v8, v21
	;; [unrolled: 10-line block ×3, first 2 shown]
	ds_bpermute_b32 v22, v4, v20
	ds_bpermute_b32 v21, v4, v8
	v_xor_b32_e32 v9, 2, v6
	v_cmp_lt_i32_e32 vcc, v9, v7
	v_cndmask_b32_e32 v9, v6, v9, vcc
	v_lshlrev_b32_e32 v5, 2, v9
	v_xor_b32_e32 v9, 1, v6
	v_cmp_lt_i32_e32 vcc, v9, v7
	s_waitcnt lgkmcnt(1)
	v_add_f32_e32 v7, v20, v22
	s_waitcnt lgkmcnt(0)
	v_add_f32_e32 v20, v8, v21
	v_cndmask_b32_e32 v6, v6, v9, vcc
	ds_bpermute_b32 v9, v5, v7
	ds_bpermute_b32 v21, v5, v20
	s_load_dwordx2 s[4:5], s[4:5], 0x38
	s_mul_i32 s2, s2, s7
	v_lshlrev_b32_e32 v8, 2, v6
	s_waitcnt lgkmcnt(0)
	v_add_f32_e32 v6, v7, v9
	v_add_f32_e32 v9, v20, v21
	s_mul_i32 s0, s18, s8
	s_add_i32 s2, s2, s6
	ds_bpermute_b32 v7, v8, v6
	ds_bpermute_b32 v20, v8, v9
	s_add_i32 s0, s2, s0
	s_lshl_b64 s[0:1], s[0:1], 2
	s_add_u32 s2, s4, s0
	v_add_u32_e32 v21, s6, v0
	s_addc_u32 s3, s5, s1
	v_cmp_gt_u32_e32 vcc, 2, v0
	v_cmp_gt_u32_e64 s[0:1], s14, v21
	s_and_b64 s[0:1], vcc, s[0:1]
	s_waitcnt lgkmcnt(1)
	v_add_f32_e32 v6, v6, v7
	s_waitcnt lgkmcnt(0)
	v_add_f32_e32 v7, v9, v20
	s_and_saveexec_b64 s[4:5], s[0:1]
	s_cbranch_execz .LBB117_7
; %bb.6:
	v_cmp_eq_u32_e32 vcc, 1, v0
	v_cndmask_b32_e32 v9, v6, v7, vcc
	v_cmp_eq_u32_e32 vcc, 2, v0
	v_cndmask_b32_e32 v9, v9, v19, vcc
	;; [unrolled: 2-line block ×11, first 2 shown]
	v_lshlrev_b32_e32 v20, 2, v0
	global_store_dword v20, v9, s[2:3]
.LBB117_7:
	s_or_b64 exec, exec, s[4:5]
	ds_bpermute_b32 v9, v1, v19
	ds_bpermute_b32 v20, v1, v18
	s_waitcnt lgkmcnt(1)
	v_add_f32_e32 v9, v19, v9
	s_waitcnt lgkmcnt(0)
	v_add_f32_e32 v18, v18, v20
	ds_bpermute_b32 v19, v2, v9
	ds_bpermute_b32 v20, v2, v18
	s_waitcnt lgkmcnt(1)
	v_add_f32_e32 v9, v9, v19
	s_waitcnt lgkmcnt(0)
	v_add_f32_e32 v18, v18, v20
	;; [unrolled: 6-line block ×6, first 2 shown]
	s_and_saveexec_b64 s[4:5], s[0:1]
	s_cbranch_execz .LBB117_9
; %bb.8:
	v_add_u32_e32 v19, 2, v0
	v_cmp_eq_u32_e32 vcc, 1, v19
	v_cndmask_b32_e32 v20, v6, v7, vcc
	v_cmp_eq_u32_e32 vcc, 2, v19
	v_cndmask_b32_e32 v20, v20, v18, vcc
	;; [unrolled: 2-line block ×11, first 2 shown]
	v_add_u32_e32 v19, s14, v0
	v_mov_b32_e32 v20, 0
	v_lshlrev_b64 v[19:20], 2, v[19:20]
	v_mov_b32_e32 v22, s3
	v_add_co_u32_e32 v19, vcc, s2, v19
	v_addc_co_u32_e32 v20, vcc, v22, v20, vcc
	global_store_dword v[19:20], v21, off
.LBB117_9:
	s_or_b64 exec, exec, s[4:5]
	ds_bpermute_b32 v19, v1, v16
	ds_bpermute_b32 v20, v1, v17
	s_waitcnt lgkmcnt(1)
	v_add_f32_e32 v16, v16, v19
	s_waitcnt lgkmcnt(0)
	v_add_f32_e32 v17, v17, v20
	ds_bpermute_b32 v19, v2, v16
	ds_bpermute_b32 v20, v2, v17
	s_waitcnt lgkmcnt(1)
	v_add_f32_e32 v16, v16, v19
	s_waitcnt lgkmcnt(0)
	v_add_f32_e32 v17, v17, v20
	;; [unrolled: 6-line block ×6, first 2 shown]
	s_and_saveexec_b64 s[4:5], s[0:1]
	s_cbranch_execz .LBB117_11
; %bb.10:
	v_add_u32_e32 v19, 4, v0
	v_cmp_eq_u32_e32 vcc, 1, v19
	v_cndmask_b32_e32 v20, v6, v7, vcc
	v_cmp_eq_u32_e32 vcc, 2, v19
	v_cndmask_b32_e32 v20, v20, v18, vcc
	;; [unrolled: 2-line block ×11, first 2 shown]
	v_lshl_or_b32 v19, s14, 1, v0
	v_mov_b32_e32 v20, 0
	v_lshlrev_b64 v[19:20], 2, v[19:20]
	v_mov_b32_e32 v22, s3
	v_add_co_u32_e32 v19, vcc, s2, v19
	v_addc_co_u32_e32 v20, vcc, v22, v20, vcc
	global_store_dword v[19:20], v21, off
.LBB117_11:
	s_or_b64 exec, exec, s[4:5]
	ds_bpermute_b32 v19, v1, v15
	ds_bpermute_b32 v20, v1, v14
	s_waitcnt lgkmcnt(1)
	v_add_f32_e32 v15, v15, v19
	s_waitcnt lgkmcnt(0)
	v_add_f32_e32 v14, v14, v20
	ds_bpermute_b32 v19, v2, v15
	ds_bpermute_b32 v20, v2, v14
	s_waitcnt lgkmcnt(1)
	v_add_f32_e32 v15, v15, v19
	s_waitcnt lgkmcnt(0)
	v_add_f32_e32 v14, v14, v20
	;; [unrolled: 6-line block ×6, first 2 shown]
	s_and_saveexec_b64 s[4:5], s[0:1]
	s_cbranch_execz .LBB117_13
; %bb.12:
	v_add_u32_e32 v21, 6, v0
	v_cmp_eq_u32_e32 vcc, 1, v21
	v_cndmask_b32_e32 v19, v6, v7, vcc
	v_cmp_eq_u32_e32 vcc, 2, v21
	v_cndmask_b32_e32 v19, v19, v18, vcc
	;; [unrolled: 2-line block ×10, first 2 shown]
	v_mad_u64_u32 v[19:20], s[6:7], s14, 3, v[0:1]
	v_mov_b32_e32 v20, 0
	v_cmp_eq_u32_e32 vcc, 11, v21
	v_lshlrev_b64 v[19:20], 2, v[19:20]
	v_cndmask_b32_e32 v21, v22, v10, vcc
	v_mov_b32_e32 v22, s3
	v_add_co_u32_e32 v19, vcc, s2, v19
	v_addc_co_u32_e32 v20, vcc, v22, v20, vcc
	global_store_dword v[19:20], v21, off
.LBB117_13:
	s_or_b64 exec, exec, s[4:5]
	ds_bpermute_b32 v19, v1, v12
	ds_bpermute_b32 v20, v1, v13
	s_waitcnt lgkmcnt(1)
	v_add_f32_e32 v12, v12, v19
	s_waitcnt lgkmcnt(0)
	v_add_f32_e32 v13, v13, v20
	ds_bpermute_b32 v19, v2, v12
	ds_bpermute_b32 v20, v2, v13
	s_waitcnt lgkmcnt(1)
	v_add_f32_e32 v12, v12, v19
	s_waitcnt lgkmcnt(0)
	v_add_f32_e32 v13, v13, v20
	;; [unrolled: 6-line block ×6, first 2 shown]
	s_and_saveexec_b64 s[4:5], s[0:1]
	s_cbranch_execz .LBB117_15
; %bb.14:
	v_add_u32_e32 v19, 8, v0
	v_cmp_eq_u32_e32 vcc, 1, v19
	v_cndmask_b32_e32 v20, v6, v7, vcc
	v_cmp_eq_u32_e32 vcc, 2, v19
	v_cndmask_b32_e32 v20, v20, v18, vcc
	;; [unrolled: 2-line block ×11, first 2 shown]
	v_lshl_or_b32 v19, s14, 2, v0
	v_mov_b32_e32 v20, 0
	v_lshlrev_b64 v[19:20], 2, v[19:20]
	v_mov_b32_e32 v22, s3
	v_add_co_u32_e32 v19, vcc, s2, v19
	v_addc_co_u32_e32 v20, vcc, v22, v20, vcc
	global_store_dword v[19:20], v21, off
.LBB117_15:
	s_or_b64 exec, exec, s[4:5]
	ds_bpermute_b32 v19, v1, v11
	ds_bpermute_b32 v1, v1, v10
	s_waitcnt lgkmcnt(1)
	v_add_f32_e32 v11, v11, v19
	s_waitcnt lgkmcnt(0)
	v_add_f32_e32 v1, v10, v1
	ds_bpermute_b32 v10, v2, v11
	ds_bpermute_b32 v2, v2, v1
	s_waitcnt lgkmcnt(1)
	v_add_f32_e32 v10, v11, v10
	s_waitcnt lgkmcnt(0)
	v_add_f32_e32 v1, v1, v2
	;; [unrolled: 6-line block ×5, first 2 shown]
	ds_bpermute_b32 v3, v8, v1
	ds_bpermute_b32 v4, v8, v2
	s_and_b64 exec, exec, s[0:1]
	s_cbranch_execz .LBB117_17
; %bb.16:
	s_waitcnt lgkmcnt(1)
	v_add_f32_e32 v1, v1, v3
	v_add_u32_e32 v3, 10, v0
	v_cmp_eq_u32_e32 vcc, 1, v3
	s_waitcnt lgkmcnt(0)
	v_add_f32_e32 v2, v2, v4
	v_cndmask_b32_e32 v4, v6, v7, vcc
	v_cmp_eq_u32_e32 vcc, 2, v3
	v_cndmask_b32_e32 v4, v4, v18, vcc
	v_cmp_eq_u32_e32 vcc, 3, v3
	;; [unrolled: 2-line block ×9, first 2 shown]
	v_cndmask_b32_e32 v4, v4, v1, vcc
	v_mad_u64_u32 v[0:1], s[0:1], s14, 5, v[0:1]
	v_mov_b32_e32 v1, 0
	v_cmp_eq_u32_e32 vcc, 11, v3
	v_lshlrev_b64 v[0:1], 2, v[0:1]
	v_cndmask_b32_e32 v2, v4, v2, vcc
	v_mov_b32_e32 v3, s3
	v_add_co_u32_e32 v0, vcc, s2, v0
	v_addc_co_u32_e32 v1, vcc, v3, v1, vcc
	global_store_dword v[0:1], v2, off
.LBB117_17:
	s_endpgm
	.section	.rodata,"a",@progbits
	.p2align	6, 0x0
	.amdhsa_kernel _ZL13mul_mat_vec_qIL9ggml_type11ELi6ELb0ELb0EEvPKvS2_PKi31ggml_cuda_mm_fusion_args_devicePfj15HIP_vector_typeIjLj3EEjjjS8_jjjS8_jjjj
		.amdhsa_group_segment_fixed_size 0
		.amdhsa_private_segment_fixed_size 0
		.amdhsa_kernarg_size 144
		.amdhsa_user_sgpr_count 6
		.amdhsa_user_sgpr_private_segment_buffer 1
		.amdhsa_user_sgpr_dispatch_ptr 0
		.amdhsa_user_sgpr_queue_ptr 0
		.amdhsa_user_sgpr_kernarg_segment_ptr 1
		.amdhsa_user_sgpr_dispatch_id 0
		.amdhsa_user_sgpr_flat_scratch_init 0
		.amdhsa_user_sgpr_private_segment_size 0
		.amdhsa_uses_dynamic_stack 0
		.amdhsa_system_sgpr_private_segment_wavefront_offset 0
		.amdhsa_system_sgpr_workgroup_id_x 1
		.amdhsa_system_sgpr_workgroup_id_y 1
		.amdhsa_system_sgpr_workgroup_id_z 1
		.amdhsa_system_sgpr_workgroup_info 0
		.amdhsa_system_vgpr_workitem_id 1
		.amdhsa_next_free_vgpr 126
		.amdhsa_next_free_sgpr 26
		.amdhsa_reserve_vcc 1
		.amdhsa_reserve_flat_scratch 0
		.amdhsa_float_round_mode_32 0
		.amdhsa_float_round_mode_16_64 0
		.amdhsa_float_denorm_mode_32 3
		.amdhsa_float_denorm_mode_16_64 3
		.amdhsa_dx10_clamp 1
		.amdhsa_ieee_mode 1
		.amdhsa_fp16_overflow 0
		.amdhsa_exception_fp_ieee_invalid_op 0
		.amdhsa_exception_fp_denorm_src 0
		.amdhsa_exception_fp_ieee_div_zero 0
		.amdhsa_exception_fp_ieee_overflow 0
		.amdhsa_exception_fp_ieee_underflow 0
		.amdhsa_exception_fp_ieee_inexact 0
		.amdhsa_exception_int_div_zero 0
	.end_amdhsa_kernel
	.section	.text._ZL13mul_mat_vec_qIL9ggml_type11ELi6ELb0ELb0EEvPKvS2_PKi31ggml_cuda_mm_fusion_args_devicePfj15HIP_vector_typeIjLj3EEjjjS8_jjjS8_jjjj,"axG",@progbits,_ZL13mul_mat_vec_qIL9ggml_type11ELi6ELb0ELb0EEvPKvS2_PKi31ggml_cuda_mm_fusion_args_devicePfj15HIP_vector_typeIjLj3EEjjjS8_jjjS8_jjjj,comdat
.Lfunc_end117:
	.size	_ZL13mul_mat_vec_qIL9ggml_type11ELi6ELb0ELb0EEvPKvS2_PKi31ggml_cuda_mm_fusion_args_devicePfj15HIP_vector_typeIjLj3EEjjjS8_jjjS8_jjjj, .Lfunc_end117-_ZL13mul_mat_vec_qIL9ggml_type11ELi6ELb0ELb0EEvPKvS2_PKi31ggml_cuda_mm_fusion_args_devicePfj15HIP_vector_typeIjLj3EEjjjS8_jjjS8_jjjj
                                        ; -- End function
	.set _ZL13mul_mat_vec_qIL9ggml_type11ELi6ELb0ELb0EEvPKvS2_PKi31ggml_cuda_mm_fusion_args_devicePfj15HIP_vector_typeIjLj3EEjjjS8_jjjS8_jjjj.num_vgpr, 126
	.set _ZL13mul_mat_vec_qIL9ggml_type11ELi6ELb0ELb0EEvPKvS2_PKi31ggml_cuda_mm_fusion_args_devicePfj15HIP_vector_typeIjLj3EEjjjS8_jjjS8_jjjj.num_agpr, 0
	.set _ZL13mul_mat_vec_qIL9ggml_type11ELi6ELb0ELb0EEvPKvS2_PKi31ggml_cuda_mm_fusion_args_devicePfj15HIP_vector_typeIjLj3EEjjjS8_jjjS8_jjjj.numbered_sgpr, 26
	.set _ZL13mul_mat_vec_qIL9ggml_type11ELi6ELb0ELb0EEvPKvS2_PKi31ggml_cuda_mm_fusion_args_devicePfj15HIP_vector_typeIjLj3EEjjjS8_jjjS8_jjjj.num_named_barrier, 0
	.set _ZL13mul_mat_vec_qIL9ggml_type11ELi6ELb0ELb0EEvPKvS2_PKi31ggml_cuda_mm_fusion_args_devicePfj15HIP_vector_typeIjLj3EEjjjS8_jjjS8_jjjj.private_seg_size, 0
	.set _ZL13mul_mat_vec_qIL9ggml_type11ELi6ELb0ELb0EEvPKvS2_PKi31ggml_cuda_mm_fusion_args_devicePfj15HIP_vector_typeIjLj3EEjjjS8_jjjS8_jjjj.uses_vcc, 1
	.set _ZL13mul_mat_vec_qIL9ggml_type11ELi6ELb0ELb0EEvPKvS2_PKi31ggml_cuda_mm_fusion_args_devicePfj15HIP_vector_typeIjLj3EEjjjS8_jjjS8_jjjj.uses_flat_scratch, 0
	.set _ZL13mul_mat_vec_qIL9ggml_type11ELi6ELb0ELb0EEvPKvS2_PKi31ggml_cuda_mm_fusion_args_devicePfj15HIP_vector_typeIjLj3EEjjjS8_jjjS8_jjjj.has_dyn_sized_stack, 0
	.set _ZL13mul_mat_vec_qIL9ggml_type11ELi6ELb0ELb0EEvPKvS2_PKi31ggml_cuda_mm_fusion_args_devicePfj15HIP_vector_typeIjLj3EEjjjS8_jjjS8_jjjj.has_recursion, 0
	.set _ZL13mul_mat_vec_qIL9ggml_type11ELi6ELb0ELb0EEvPKvS2_PKi31ggml_cuda_mm_fusion_args_devicePfj15HIP_vector_typeIjLj3EEjjjS8_jjjS8_jjjj.has_indirect_call, 0
	.section	.AMDGPU.csdata,"",@progbits
; Kernel info:
; codeLenInByte = 6080
; TotalNumSgprs: 30
; NumVgprs: 126
; ScratchSize: 0
; MemoryBound: 0
; FloatMode: 240
; IeeeMode: 1
; LDSByteSize: 0 bytes/workgroup (compile time only)
; SGPRBlocks: 3
; VGPRBlocks: 31
; NumSGPRsForWavesPerEU: 30
; NumVGPRsForWavesPerEU: 126
; Occupancy: 2
; WaveLimiterHint : 0
; COMPUTE_PGM_RSRC2:SCRATCH_EN: 0
; COMPUTE_PGM_RSRC2:USER_SGPR: 6
; COMPUTE_PGM_RSRC2:TRAP_HANDLER: 0
; COMPUTE_PGM_RSRC2:TGID_X_EN: 1
; COMPUTE_PGM_RSRC2:TGID_Y_EN: 1
; COMPUTE_PGM_RSRC2:TGID_Z_EN: 1
; COMPUTE_PGM_RSRC2:TIDIG_COMP_CNT: 1
	.section	.text._ZL13mul_mat_vec_qIL9ggml_type11ELi7ELb0ELb0EEvPKvS2_PKi31ggml_cuda_mm_fusion_args_devicePfj15HIP_vector_typeIjLj3EEjjjS8_jjjS8_jjjj,"axG",@progbits,_ZL13mul_mat_vec_qIL9ggml_type11ELi7ELb0ELb0EEvPKvS2_PKi31ggml_cuda_mm_fusion_args_devicePfj15HIP_vector_typeIjLj3EEjjjS8_jjjS8_jjjj,comdat
	.globl	_ZL13mul_mat_vec_qIL9ggml_type11ELi7ELb0ELb0EEvPKvS2_PKi31ggml_cuda_mm_fusion_args_devicePfj15HIP_vector_typeIjLj3EEjjjS8_jjjS8_jjjj ; -- Begin function _ZL13mul_mat_vec_qIL9ggml_type11ELi7ELb0ELb0EEvPKvS2_PKi31ggml_cuda_mm_fusion_args_devicePfj15HIP_vector_typeIjLj3EEjjjS8_jjjS8_jjjj
	.p2align	8
	.type	_ZL13mul_mat_vec_qIL9ggml_type11ELi7ELb0ELb0EEvPKvS2_PKi31ggml_cuda_mm_fusion_args_devicePfj15HIP_vector_typeIjLj3EEjjjS8_jjjS8_jjjj,@function
_ZL13mul_mat_vec_qIL9ggml_type11ELi7ELb0ELb0EEvPKvS2_PKi31ggml_cuda_mm_fusion_args_devicePfj15HIP_vector_typeIjLj3EEjjjS8_jjjS8_jjjj: ; @_ZL13mul_mat_vec_qIL9ggml_type11ELi7ELb0ELb0EEvPKvS2_PKi31ggml_cuda_mm_fusion_args_devicePfj15HIP_vector_typeIjLj3EEjjjS8_jjjS8_jjjj
; %bb.0:
	s_load_dword s9, s[4:5], 0x40
	s_load_dwordx4 s[12:15], s[4:5], 0x50
	s_load_dword s25, s[4:5], 0x60
	s_load_dwordx4 s[0:3], s[4:5], 0x68
	s_load_dword s24, s[4:5], 0x78
	s_load_dwordx4 s[16:19], s[4:5], 0x80
	v_lshl_or_b32 v2, v1, 6, v0
	s_waitcnt lgkmcnt(0)
	s_lshr_b32 s9, s9, 8
	v_lshrrev_b32_e32 v22, 4, v2
	s_lshl_b32 s6, s6, 1
	v_cmp_gt_u32_e32 vcc, s9, v22
	v_mov_b32_e32 v10, 0
	v_mov_b32_e32 v11, 0
	;; [unrolled: 1-line block ×14, first 2 shown]
	s_and_saveexec_b64 s[10:11], vcc
	s_cbranch_execz .LBB118_4
; %bb.1:
	s_mul_hi_u32 s15, s15, s7
	s_add_i32 s15, s7, s15
	s_lshr_b32 s15, s15, s25
	s_load_dwordx4 s[20:23], s[4:5], 0x0
	s_mul_i32 s15, s15, s0
	s_mul_hi_u32 s0, s3, s8
	v_lshrrev_b32_e32 v2, 1, v0
	s_add_i32 s0, s8, s0
	v_and_b32_e32 v25, 4, v2
	v_lshlrev_b32_e32 v2, 1, v0
	s_lshr_b32 s0, s0, s24
	v_and_b32_e32 v5, 30, v2
	v_and_b32_e32 v2, 8, v0
	v_bfe_u32 v26, v0, 2, 1
	s_mul_i32 s3, s0, s16
	s_mul_i32 s0, s17, s8
	v_or_b32_e32 v3, v26, v2
	s_mul_hi_u32 s16, s0, 36
	s_mul_i32 s0, s0, 36
	v_lshrrev_b32_e32 v27, 1, v2
	v_or_b32_e32 v2, 4, v3
	s_waitcnt lgkmcnt(0)
	s_add_u32 s0, s22, s0
	s_mul_i32 s1, s1, s7
	v_and_b32_e32 v28, 5, v2
	v_lshrrev_b32_e32 v29, 1, v2
	v_or_b32_e32 v2, 6, v3
	s_addc_u32 s16, s23, s16
	s_mul_hi_u32 s17, s1, 36
	s_mul_i32 s1, s1, 36
	v_and_b32_e32 v30, 7, v2
	v_and_b32_e32 v31, 3, v2
	v_lshrrev_b32_e32 v2, 1, v2
	s_add_u32 s0, s0, s1
	v_and_b32_e32 v32, 6, v2
	v_bfe_u32 v2, v0, 3, 1
	s_addc_u32 s1, s16, s17
	s_add_i32 s15, s3, s15
	v_mul_hi_u32_u24_e32 v3, 0x90, v2
	v_mul_u32_u24_e32 v2, 0x90, v2
	s_movk_i32 s3, 0x120
	v_mad_u64_u32 v[2:3], s[16:17], v22, s3, v[2:3]
	v_and_b32_e32 v4, 7, v0
	v_lshlrev_b32_e32 v6, 1, v4
	v_mov_b32_e32 v7, s1
	v_add_co_u32_e32 v2, vcc, s0, v2
	v_lshlrev_b32_e32 v35, 2, v4
	v_lshlrev_b32_e32 v36, 1, v5
	;; [unrolled: 1-line block ×3, first 2 shown]
	v_mad_u64_u32 v[4:5], s[0:1], v25, 36, s[0:1]
	s_add_i32 s16, s6, 1
	s_mul_i32 s3, s6, s12
	s_mul_i32 s12, s12, s16
	v_mov_b32_e32 v10, 0
	v_addc_co_u32_e32 v3, vcc, v7, v3, vcc
	v_mov_b32_e32 v33, v27
	v_mov_b32_e32 v34, v29
	s_add_i32 s3, s15, s3
	s_add_i32 s12, s15, s12
	s_mul_i32 s15, s13, 6
	s_lshl_b32 s19, s13, 1
	s_mul_i32 s22, s13, 3
	s_lshl_b32 s23, s13, 2
	s_mul_i32 s24, s13, 5
	s_mov_b64 s[16:17], 0
	s_movk_i32 s25, 0x6e
	v_lshlrev_b32_e32 v37, 1, v6
	v_mov_b32_e32 v39, v32
	v_lshlrev_b32_e32 v40, 3, v22
	v_mov_b32_e32 v12, 0
	v_mov_b32_e32 v14, 0
	;; [unrolled: 1-line block ×13, first 2 shown]
.LBB118_2:                              ; =>This Inner Loop Header: Depth=1
	v_add_co_u32_e32 v6, vcc, v2, v35
	v_addc_co_u32_e32 v7, vcc, 0, v3, vcc
	v_mov_b32_e32 v8, s20
	global_load_dword v48, v[6:7], off offset:4
	global_load_dword v56, v[6:7], off offset:40
	;; [unrolled: 1-line block ×4, first 2 shown]
	v_add_u32_e32 v6, s3, v22
	v_mov_b32_e32 v9, s21
	v_mad_i64_i32 v[6:7], s[0:1], v6, s25, v[8:9]
	v_add_u32_e32 v42, s12, v22
	v_mad_i64_i32 v[8:9], s[0:1], v42, s25, v[8:9]
	v_add_co_u32_e32 v42, vcc, v6, v37
	v_addc_co_u32_e32 v43, vcc, 0, v7, vcc
	global_load_dword v54, v[42:43], off
	v_add_co_u32_e32 v42, vcc, v6, v36
	v_addc_co_u32_e32 v43, vcc, 0, v7, vcc
	global_load_dword v45, v[42:43], off offset:32
	v_add_co_u32_e32 v42, vcc, v8, v37
	v_addc_co_u32_e32 v43, vcc, 0, v9, vcc
	global_load_dword v55, v[42:43], off
	v_add_co_u32_e32 v42, vcc, v8, v36
	v_addc_co_u32_e32 v43, vcc, 0, v9, vcc
	global_load_dword v43, v[42:43], off offset:32
	v_add_co_u32_e32 v46, vcc, v6, v28
	v_addc_co_u32_e32 v47, vcc, 0, v7, vcc
	global_load_ubyte v50, v[46:47], off offset:96
	v_add_co_u32_e32 v46, vcc, v6, v26
	v_addc_co_u32_e32 v47, vcc, 0, v7, vcc
	global_load_ubyte v51, v[46:47], off offset:104
	global_load_ubyte v62, v[46:47], off offset:106
	;; [unrolled: 1-line block ×4, first 2 shown]
	v_add_co_u32_e32 v46, vcc, v8, v26
	v_addc_co_u32_e32 v47, vcc, 0, v9, vcc
	global_load_ubyte v63, v[46:47], off offset:96
	global_load_ubyte v52, v[46:47], off offset:104
	global_load_ubyte v76, v[46:47], off offset:98
	global_load_ubyte v64, v[46:47], off offset:106
	v_add_co_u32_e32 v46, vcc, v8, v28
	v_addc_co_u32_e32 v47, vcc, 0, v9, vcc
	global_load_ubyte v53, v[46:47], off offset:96
	v_add_co_u32_e32 v46, vcc, v8, v30
	v_addc_co_u32_e32 v47, vcc, 0, v9, vcc
	global_load_ubyte v42, v[46:47], off offset:96
	;; [unrolled: 3-line block ×3, first 2 shown]
	v_add_u32_e32 v22, 4, v22
	s_waitcnt vmcnt(15)
	v_ashrrev_i32_e32 v46, v25, v54
	v_not_b32_e32 v46, v46
	v_lshlrev_b32_e32 v47, 2, v46
	v_and_b32_e32 v47, 0x4040404, v47
	v_lshlrev_b32_e32 v65, 1, v46
	s_waitcnt vmcnt(14)
	v_bfe_u32 v54, v45, 24, 2
	v_and_b32_e32 v57, 0x3030303, v45
	v_sub_u16_sdwa v54, v54, v47 dst_sel:BYTE_1 dst_unused:UNUSED_PAD src0_sel:DWORD src1_sel:BYTE_3
	v_sub_u16_e32 v58, v57, v47
	v_sub_u16_sdwa v59, v57, v47 dst_sel:BYTE_1 dst_unused:UNUSED_PAD src0_sel:BYTE_1 src1_sel:BYTE_1
	v_sub_u16_sdwa v57, v57, v47 dst_sel:DWORD dst_unused:UNUSED_PAD src0_sel:WORD_1 src1_sel:WORD_1
	v_lshrrev_b32_e32 v47, 2, v45
	v_and_b32_e32 v60, 0x3030303, v47
	v_bfe_u32 v47, v47, 24, 2
	v_and_b32_e32 v65, 0x4040404, v65
	v_sub_u16_sdwa v66, v47, v65 dst_sel:BYTE_1 dst_unused:UNUSED_PAD src0_sel:DWORD src1_sel:BYTE_3
	s_waitcnt vmcnt(13)
	v_ashrrev_i32_e32 v47, v25, v55
	v_not_b32_e32 v47, v47
	v_lshlrev_b32_e32 v55, 2, v47
	v_sub_u16_e32 v67, v60, v65
	v_sub_u16_sdwa v68, v60, v65 dst_sel:BYTE_1 dst_unused:UNUSED_PAD src0_sel:BYTE_1 src1_sel:BYTE_1
	v_sub_u16_sdwa v60, v60, v65 dst_sel:DWORD dst_unused:UNUSED_PAD src0_sel:WORD_1 src1_sel:WORD_1
	v_and_b32_e32 v55, 0x4040404, v55
	s_waitcnt vmcnt(12)
	v_bfe_u32 v65, v43, 24, 2
	v_and_b32_e32 v69, 0x3030303, v43
	v_sub_u16_sdwa v65, v65, v55 dst_sel:BYTE_1 dst_unused:UNUSED_PAD src0_sel:DWORD src1_sel:BYTE_3
	v_sub_u16_e32 v70, v69, v55
	v_sub_u16_sdwa v71, v69, v55 dst_sel:BYTE_1 dst_unused:UNUSED_PAD src0_sel:BYTE_1 src1_sel:BYTE_1
	v_sub_u16_sdwa v55, v69, v55 dst_sel:DWORD dst_unused:UNUSED_PAD src0_sel:WORD_1 src1_sel:WORD_1
	v_lshrrev_b32_e32 v69, 2, v43
	v_lshlrev_b32_e32 v74, 1, v47
	v_and_b32_e32 v72, 0x3030303, v69
	v_and_b32_e32 v74, 0x4040404, v74
	v_or_b32_sdwa v58, v58, v59 dst_sel:DWORD dst_unused:UNUSED_PAD src0_sel:BYTE_0 src1_sel:DWORD
	v_or_b32_sdwa v54, v57, v54 dst_sel:WORD_1 dst_unused:UNUSED_PAD src0_sel:BYTE_0 src1_sel:DWORD
	v_bfe_u32 v69, v69, 24, 2
	v_sub_u16_e32 v75, v72, v74
	v_sub_u16_sdwa v77, v72, v74 dst_sel:BYTE_1 dst_unused:UNUSED_PAD src0_sel:BYTE_1 src1_sel:BYTE_1
	v_or_b32_sdwa v58, v58, v54 dst_sel:DWORD dst_unused:UNUSED_PAD src0_sel:WORD_0 src1_sel:DWORD
	s_waitcnt vmcnt(10)
	v_lshrrev_b32_e32 v54, v27, v51
	v_sub_u16_sdwa v69, v69, v74 dst_sel:BYTE_1 dst_unused:UNUSED_PAD src0_sel:DWORD src1_sel:BYTE_3
	v_sub_u16_sdwa v72, v72, v74 dst_sel:DWORD dst_unused:UNUSED_PAD src0_sel:WORD_1 src1_sel:WORD_1
	v_or_b32_sdwa v55, v55, v65 dst_sel:WORD_1 dst_unused:UNUSED_PAD src0_sel:BYTE_0 src1_sel:DWORD
	v_or_b32_sdwa v65, v75, v77 dst_sel:DWORD dst_unused:UNUSED_PAD src0_sel:BYTE_0 src1_sel:DWORD
	s_waitcnt vmcnt(8)
	v_bfe_u32 v74, v61, v27, 4
	v_lshlrev_b32_e32 v75, 4, v54
	s_waitcnt vmcnt(5)
	v_lshrrev_b32_e32 v54, v27, v52
	v_or_b32_sdwa v57, v67, v68 dst_sel:DWORD dst_unused:UNUSED_PAD src0_sel:BYTE_0 src1_sel:DWORD
	v_or_b32_sdwa v59, v60, v66 dst_sel:WORD_1 dst_unused:UNUSED_PAD src0_sel:BYTE_0 src1_sel:DWORD
	v_or_b32_sdwa v60, v70, v71 dst_sel:DWORD dst_unused:UNUSED_PAD src0_sel:BYTE_0 src1_sel:DWORD
	v_or_b32_sdwa v66, v72, v69 dst_sel:WORD_1 dst_unused:UNUSED_PAD src0_sel:BYTE_0 src1_sel:DWORD
	v_bfe_u32 v78, v63, v27, 4
	v_lshlrev_b32_e32 v79, 4, v54
	v_and_or_b32 v54, v75, 48, v74
	v_or_b32_sdwa v57, v57, v59 dst_sel:DWORD dst_unused:UNUSED_PAD src0_sel:WORD_0 src1_sel:DWORD
	v_or_b32_sdwa v60, v60, v55 dst_sel:DWORD dst_unused:UNUSED_PAD src0_sel:WORD_0 src1_sel:DWORD
	;; [unrolled: 1-line block ×3, first 2 shown]
	v_subrev_u32_e32 v65, 32, v54
	v_and_or_b32 v54, v79, 48, v78
	v_subrev_u32_e32 v61, 32, v54
	v_dot4_i32_i8 v54, v58, v48, 0
	v_dot4_i32_i8 v48, v60, v48, 0
	v_mul_lo_u32 v54, v65, v54
	v_mul_lo_u32 v48, v61, v48
	v_lshrrev_b32_e32 v62, v27, v62
	v_lshlrev_b32_e32 v77, 4, v62
	v_cvt_f32_i32_e32 v55, v54
	v_cvt_f32_i32_e32 v63, v48
	global_load_dword v66, v[2:3], off
	global_load_dword v67, v[2:3], off offset:36
	global_load_dword v54, v[2:3], off offset:72
	;; [unrolled: 1-line block ×3, first 2 shown]
	v_bfe_u32 v62, v73, v27, 4
	v_and_or_b32 v62, v77, 48, v62
	v_and_b32_e32 v75, 48, v75
	v_lshrrev_b32_e32 v73, v27, v73
	v_or_b32_e32 v74, v75, v74
	v_and_b32_e32 v73, 15, v73
	v_and_b32_e32 v75, 48, v77
	v_or_b32_e32 v73, v75, v73
	s_waitcnt vmcnt(3)
	v_fma_mix_f32 v55, v66, v55, 0 op_sel_hi:[1,0,0]
	v_fma_mix_f32 v63, v66, v63, 0 op_sel_hi:[1,0,0]
	v_subrev_u32_e32 v66, 32, v62
	v_dot4_i32_i8 v62, v57, v56, 0
	v_mul_lo_u32 v62, v66, v62
	v_dot4_i32_i8 v56, v59, v56, 0
	v_cvt_f32_i32_e32 v62, v62
	s_waitcnt vmcnt(2)
	v_fma_mix_f32 v55, v67, v62, v55 op_sel_hi:[1,0,0]
	v_lshrrev_b32_e32 v62, v27, v64
	v_lshlrev_b32_e32 v80, 4, v62
	v_bfe_u32 v62, v76, v27, 4
	v_and_or_b32 v62, v80, 48, v62
	v_subrev_u32_e32 v64, 32, v62
	v_mul_lo_u32 v56, v64, v56
	v_add_u32_e32 v62, s13, v40
	v_cvt_f32_i32_e32 v56, v56
	v_fma_mix_f32 v56, v67, v56, v63 op_sel_hi:[1,0,0]
	v_mad_u64_u32 v[67:68], s[0:1], v62, 36, v[4:5]
	v_add_co_u32_e32 v71, vcc, v67, v38
	v_addc_co_u32_e32 v72, vcc, 0, v68, vcc
	global_load_dword v82, v[71:72], off offset:4
	global_load_dword v83, v[71:72], off offset:40
	;; [unrolled: 1-line block ×4, first 2 shown]
	global_load_dword v84, v[67:68], off
	global_load_dword v85, v[67:68], off offset:36
	global_load_dword v70, v[67:68], off offset:72
	;; [unrolled: 1-line block ×3, first 2 shown]
	v_and_b32_e32 v67, 48, v79
	v_lshrrev_b32_e32 v68, v27, v76
	v_or_b32_e32 v67, v67, v78
	v_and_b32_e32 v68, 15, v68
	v_and_b32_e32 v71, 48, v80
	v_or_b32_e32 v68, v71, v68
	v_subrev_u32_e32 v81, 32, v67
	s_waitcnt vmcnt(7)
	v_dot4_i32_i8 v71, v60, v82, 0
	v_mul_lo_u32 v71, v81, v71
	v_dot4_i32_i8 v67, v58, v82, 0
	v_mul_lo_u32 v67, v65, v67
	v_subrev_u32_e32 v82, 32, v68
	v_cvt_f32_i32_e32 v71, v71
	v_cvt_f32_i32_e32 v67, v67
	s_waitcnt vmcnt(3)
	v_fma_mix_f32 v72, v84, v71, 0 op_sel_hi:[1,0,0]
	v_dot4_i32_i8 v71, v57, v83, 0
	v_mul_lo_u32 v71, v66, v71
	v_fma_mix_f32 v67, v84, v67, 0 op_sel_hi:[1,0,0]
	v_cvt_f32_i32_e32 v71, v71
	s_waitcnt vmcnt(2)
	v_fma_mix_f32 v71, v85, v71, v67 op_sel_hi:[1,0,0]
	v_dot4_i32_i8 v67, v59, v83, 0
	v_mul_lo_u32 v67, v82, v67
	v_cvt_f32_i32_e32 v67, v67
	v_fma_mix_f32 v72, v85, v67, v72 op_sel_hi:[1,0,0]
	v_add_u32_e32 v67, s19, v40
	v_mad_u64_u32 v[79:80], s[0:1], v67, 36, v[4:5]
	v_subrev_u32_e32 v85, 32, v74
	v_add_co_u32_e32 v83, vcc, v79, v38
	v_addc_co_u32_e32 v84, vcc, 0, v80, vcc
	global_load_dword v86, v[83:84], off offset:4
	global_load_dword v87, v[83:84], off offset:40
	;; [unrolled: 1-line block ×4, first 2 shown]
	global_load_dword v88, v[79:80], off
	global_load_dword v89, v[79:80], off offset:36
	global_load_dword v78, v[79:80], off offset:72
	;; [unrolled: 1-line block ×3, first 2 shown]
	s_waitcnt vmcnt(7)
	v_dot4_i32_i8 v74, v58, v86, 0
	v_dot4_i32_i8 v75, v60, v86, 0
	v_mul_lo_u32 v74, v85, v74
	v_subrev_u32_e32 v86, 32, v73
	s_waitcnt vmcnt(6)
	v_dot4_i32_i8 v73, v57, v87, 0
	v_mul_lo_u32 v73, v86, v73
	v_cvt_f32_i32_e32 v74, v74
	v_mul_lo_u32 v75, v61, v75
	v_cvt_f32_i32_e32 v73, v73
	s_waitcnt vmcnt(3)
	v_fma_mix_f32 v74, v88, v74, 0 op_sel_hi:[1,0,0]
	v_cvt_f32_i32_e32 v75, v75
	s_waitcnt vmcnt(2)
	v_fma_mix_f32 v79, v89, v73, v74 op_sel_hi:[1,0,0]
	v_dot4_i32_i8 v73, v59, v87, 0
	v_mul_lo_u32 v73, v64, v73
	v_fma_mix_f32 v75, v88, v75, 0 op_sel_hi:[1,0,0]
	v_cvt_f32_i32_e32 v73, v73
	v_fma_mix_f32 v80, v89, v73, v75 op_sel_hi:[1,0,0]
	v_add_u32_e32 v73, s22, v40
	v_mad_u64_u32 v[83:84], s[0:1], v73, 36, v[4:5]
	v_add_co_u32_e32 v87, vcc, v83, v38
	v_addc_co_u32_e32 v88, vcc, 0, v84, vcc
	global_load_dword v75, v[87:88], off offset:4
	global_load_dword v77, v[87:88], off offset:40
	;; [unrolled: 1-line block ×4, first 2 shown]
	global_load_dword v89, v[83:84], off
	global_load_dword v90, v[83:84], off offset:36
	global_load_dword v92, v[83:84], off offset:72
	;; [unrolled: 1-line block ×3, first 2 shown]
	s_waitcnt vmcnt(7)
	v_dot4_i32_i8 v83, v58, v75, 0
	v_dot4_i32_i8 v75, v60, v75, 0
	v_mul_lo_u32 v75, v81, v75
	s_waitcnt vmcnt(6)
	v_dot4_i32_i8 v84, v57, v77, 0
	v_dot4_i32_i8 v77, v59, v77, 0
	v_mul_lo_u32 v83, v65, v83
	v_mul_lo_u32 v77, v82, v77
	;; [unrolled: 1-line block ×3, first 2 shown]
	v_cvt_f32_i32_e32 v75, v75
	v_cvt_f32_i32_e32 v83, v83
	;; [unrolled: 1-line block ×4, first 2 shown]
	s_waitcnt vmcnt(3)
	v_fma_mix_f32 v75, v89, v75, 0 op_sel_hi:[1,0,0]
	v_fma_mix_f32 v83, v89, v83, 0 op_sel_hi:[1,0,0]
	s_waitcnt vmcnt(2)
	v_fma_mix_f32 v94, v90, v77, v75 op_sel_hi:[1,0,0]
	v_add_u32_e32 v75, s23, v40
	v_fma_mix_f32 v93, v90, v84, v83 op_sel_hi:[1,0,0]
	v_mad_u64_u32 v[83:84], s[0:1], v75, 36, v[4:5]
	v_add_co_u32_e32 v87, vcc, v83, v38
	v_addc_co_u32_e32 v88, vcc, 0, v84, vcc
	global_load_dword v89, v[87:88], off offset:4
	global_load_dword v90, v[87:88], off offset:40
	;; [unrolled: 1-line block ×4, first 2 shown]
	global_load_dword v96, v[83:84], off
	global_load_dword v97, v[83:84], off offset:36
	global_load_dword v98, v[83:84], off offset:72
	global_load_dword v77, v[83:84], off offset:108
	s_waitcnt vmcnt(7)
	v_dot4_i32_i8 v83, v58, v89, 0
	v_dot4_i32_i8 v84, v60, v89, 0
	v_mul_lo_u32 v83, v85, v83
	s_waitcnt vmcnt(6)
	v_dot4_i32_i8 v87, v57, v90, 0
	v_mul_lo_u32 v84, v61, v84
	v_mul_lo_u32 v87, v86, v87
	v_cvt_f32_i32_e32 v83, v83
	v_cvt_f32_i32_e32 v84, v84
	v_cvt_f32_i32_e32 v87, v87
	s_waitcnt vmcnt(3)
	v_fma_mix_f32 v83, v96, v83, 0 op_sel_hi:[1,0,0]
	v_fma_mix_f32 v84, v96, v84, 0 op_sel_hi:[1,0,0]
	s_waitcnt vmcnt(2)
	v_fma_mix_f32 v96, v97, v87, v83 op_sel_hi:[1,0,0]
	v_dot4_i32_i8 v83, v59, v90, 0
	v_mul_lo_u32 v83, v64, v83
	v_cvt_f32_i32_e32 v83, v83
	v_fma_mix_f32 v97, v97, v83, v84 op_sel_hi:[1,0,0]
	v_add_u32_e32 v83, s24, v40
	v_mad_u64_u32 v[87:88], s[0:1], v83, 36, v[4:5]
	v_add_co_u32_e32 v89, vcc, v87, v38
	v_addc_co_u32_e32 v90, vcc, 0, v88, vcc
	global_load_dword v99, v[89:90], off offset:4
	global_load_dword v100, v[89:90], off offset:40
	;; [unrolled: 1-line block ×4, first 2 shown]
	global_load_dword v102, v[87:88], off
	global_load_dword v103, v[87:88], off offset:36
	global_load_dword v104, v[87:88], off offset:72
	;; [unrolled: 1-line block ×3, first 2 shown]
	s_waitcnt vmcnt(7)
	v_dot4_i32_i8 v87, v58, v99, 0
	v_mul_lo_u32 v65, v65, v87
	s_waitcnt vmcnt(6)
	v_dot4_i32_i8 v87, v57, v100, 0
	v_mul_lo_u32 v66, v66, v87
	v_dot4_i32_i8 v87, v60, v99, 0
	v_mul_lo_u32 v81, v81, v87
	v_dot4_i32_i8 v87, v59, v100, 0
	v_cvt_f32_i32_e32 v65, v65
	v_mul_lo_u32 v82, v82, v87
	v_cvt_f32_i32_e32 v66, v66
	v_cvt_f32_i32_e32 v81, v81
	s_waitcnt vmcnt(3)
	v_fma_mix_f32 v65, v102, v65, 0 op_sel_hi:[1,0,0]
	s_waitcnt vmcnt(2)
	v_fma_mix_f32 v87, v103, v66, v65 op_sel_hi:[1,0,0]
	v_cvt_f32_i32_e32 v65, v82
	v_fma_mix_f32 v81, v102, v81, 0 op_sel_hi:[1,0,0]
	v_fma_mix_f32 v88, v103, v65, v81 op_sel_hi:[1,0,0]
	v_add_u32_e32 v65, s15, v40
	v_mad_u64_u32 v[65:66], s[0:1], v65, 36, v[4:5]
	v_cmp_le_u32_e64 s[0:1], s9, v22
	v_add_u32_e32 v40, 32, v40
	v_add_co_u32_e32 v81, vcc, v65, v38
	v_addc_co_u32_e32 v82, vcc, 0, v66, vcc
	global_load_dword v89, v[81:82], off offset:4
	global_load_dword v90, v[81:82], off offset:40
	;; [unrolled: 1-line block ×4, first 2 shown]
	global_load_dword v102, v[65:66], off
	global_load_dword v103, v[65:66], off offset:36
	global_load_dword v105, v[65:66], off offset:72
	;; [unrolled: 1-line block ×3, first 2 shown]
	v_and_b32_e32 v65, 0x4040404, v46
	v_lshrrev_b32_e32 v46, 1, v46
	v_and_b32_e32 v46, 0x4040404, v46
	s_or_b64 s[16:17], s[0:1], s[16:17]
	s_waitcnt vmcnt(7)
	v_dot4_i32_i8 v58, v58, v89, 0
	s_waitcnt vmcnt(6)
	v_dot4_i32_i8 v57, v57, v90, 0
	v_mul_lo_u32 v58, v85, v58
	v_mul_lo_u32 v57, v86, v57
	v_dot4_i32_i8 v60, v60, v89, 0
	v_dot4_i32_i8 v59, v59, v90, 0
	v_mul_lo_u32 v60, v61, v60
	v_cvt_f32_i32_e32 v58, v58
	v_mul_lo_u32 v59, v64, v59
	v_cvt_f32_i32_e32 v57, v57
	v_cvt_f32_i32_e32 v60, v60
	s_waitcnt vmcnt(3)
	v_fma_mix_f32 v58, v102, v58, 0 op_sel_hi:[1,0,0]
	v_bfe_u32 v61, v53, v27, 4
	s_waitcnt vmcnt(2)
	v_fma_mix_f32 v57, v103, v57, v58 op_sel_hi:[1,0,0]
	v_cvt_f32_i32_e32 v58, v59
	v_fma_mix_f32 v60, v102, v60, 0 op_sel_hi:[1,0,0]
	v_lshrrev_b32_e32 v59, v29, v51
	v_lshlrev_b32_e32 v59, 4, v59
	v_fma_mix_f32 v58, v103, v58, v60 op_sel_hi:[1,0,0]
	v_bfe_u32 v60, v50, v27, 4
	v_and_or_b32 v59, v59, 48, v60
	v_lshrrev_b32_e32 v60, v29, v52
	v_lshlrev_b32_e32 v60, 4, v60
	v_and_or_b32 v60, v60, 48, v61
	v_lshrrev_b32_e32 v61, 4, v45
	v_and_b32_e32 v64, 0x3030303, v61
	v_bfe_u32 v61, v61, 24, 2
	v_sub_u16_sdwa v61, v61, v65 dst_sel:BYTE_1 dst_unused:UNUSED_PAD src0_sel:DWORD src1_sel:BYTE_3
	v_sub_u16_e32 v66, v64, v65
	v_sub_u16_sdwa v81, v64, v65 dst_sel:BYTE_1 dst_unused:UNUSED_PAD src0_sel:BYTE_1 src1_sel:BYTE_1
	v_sub_u16_sdwa v64, v64, v65 dst_sel:DWORD dst_unused:UNUSED_PAD src0_sel:WORD_1 src1_sel:WORD_1
	v_lshrrev_b32_e32 v65, 4, v43
	v_and_b32_e32 v82, 0x3030303, v65
	v_bfe_u32 v65, v65, 24, 2
	v_and_b32_e32 v85, 0x4040404, v47
	v_sub_u16_sdwa v65, v65, v85 dst_sel:BYTE_1 dst_unused:UNUSED_PAD src0_sel:DWORD src1_sel:BYTE_3
	v_sub_u16_e32 v86, v82, v85
	v_sub_u16_sdwa v89, v82, v85 dst_sel:BYTE_1 dst_unused:UNUSED_PAD src0_sel:BYTE_1 src1_sel:BYTE_1
	v_sub_u16_sdwa v82, v82, v85 dst_sel:DWORD dst_unused:UNUSED_PAD src0_sel:WORD_1 src1_sel:WORD_1
	v_or_b32_sdwa v66, v66, v81 dst_sel:DWORD dst_unused:UNUSED_PAD src0_sel:BYTE_0 src1_sel:DWORD
	v_or_b32_sdwa v61, v64, v61 dst_sel:WORD_1 dst_unused:UNUSED_PAD src0_sel:BYTE_0 src1_sel:DWORD
	v_or_b32_sdwa v64, v86, v89 dst_sel:DWORD dst_unused:UNUSED_PAD src0_sel:BYTE_0 src1_sel:DWORD
	v_or_b32_sdwa v65, v82, v65 dst_sel:WORD_1 dst_unused:UNUSED_PAD src0_sel:BYTE_0 src1_sel:DWORD
	v_or_b32_sdwa v61, v66, v61 dst_sel:DWORD dst_unused:UNUSED_PAD src0_sel:WORD_0 src1_sel:DWORD
	v_or_b32_sdwa v64, v64, v65 dst_sel:DWORD dst_unused:UNUSED_PAD src0_sel:WORD_0 src1_sel:DWORD
	v_subrev_u32_e32 v59, 32, v59
	v_dot4_i32_i8 v65, v61, v49, 0
	v_subrev_u32_e32 v60, 32, v60
	v_dot4_i32_i8 v49, v64, v49, 0
	v_mul_lo_u32 v65, v59, v65
	v_mul_lo_u32 v49, v60, v49
	v_lshrrev_b32_e32 v52, v29, v52
	v_lshlrev_b32_e32 v52, 4, v52
	v_cvt_f32_i32_e32 v65, v65
	v_cvt_f32_i32_e32 v49, v49
	v_and_b32_e32 v52, 48, v52
	v_dot4_i32_i8 v66, v64, v91, 0
	v_fma_mix_f32 v55, v54, v65, v55 op_sel_hi:[1,0,0]
	v_fma_mix_f32 v54, v54, v49, v56 op_sel_hi:[1,0,0]
	v_lshrrev_b32_e32 v49, v27, v53
	v_and_b32_e32 v49, 15, v49
	v_or_b32_e32 v49, v52, v49
	v_dot4_i32_i8 v52, v61, v69, 0
	v_mul_lo_u32 v52, v59, v52
	v_dot4_i32_i8 v65, v61, v91, 0
	v_subrev_u32_e32 v49, 32, v49
	v_dot4_i32_i8 v53, v64, v69, 0
	v_cvt_f32_i32_e32 v52, v52
	v_mul_lo_u32 v65, v59, v65
	v_mul_lo_u32 v53, v49, v53
	;; [unrolled: 1-line block ×3, first 2 shown]
	v_fma_mix_f32 v52, v70, v52, v71 op_sel_hi:[1,0,0]
	v_dot4_i32_i8 v71, v61, v101, 0
	v_mul_lo_u32 v59, v59, v71
	v_dot4_i32_i8 v71, v64, v101, 0
	v_mul_lo_u32 v49, v49, v71
	v_lshrrev_b32_e32 v51, v34, v51
	v_lshrrev_b32_e32 v50, v33, v50
	v_lshlrev_b32_e32 v51, 4, v51
	v_cvt_f32_i32_e32 v49, v49
	v_and_b32_e32 v50, 15, v50
	v_and_b32_e32 v51, 48, v51
	v_or_b32_e32 v50, v51, v50
	v_subrev_u32_e32 v50, 32, v50
	v_fma_mix_f32 v71, v104, v49, v88 op_sel_hi:[1,0,0]
	v_dot4_i32_i8 v49, v61, v99, 0
	v_mul_lo_u32 v49, v50, v49
	v_dot4_i32_i8 v51, v61, v76, 0
	v_dot4_i32_i8 v69, v61, v95, 0
	;; [unrolled: 1-line block ×3, first 2 shown]
	v_mul_lo_u32 v51, v50, v51
	v_mul_lo_u32 v69, v50, v69
	v_mul_lo_u32 v50, v60, v61
	v_cvt_f32_i32_e32 v49, v49
	v_cvt_f32_i32_e32 v53, v53
	v_dot4_i32_i8 v56, v64, v76, 0
	v_mul_lo_u32 v56, v60, v56
	s_waitcnt vmcnt(1)
	v_fma_mix_f32 v57, v105, v49, v57 op_sel_hi:[1,0,0]
	v_cvt_f32_i32_e32 v49, v50
	v_fma_mix_f32 v53, v70, v53, v72 op_sel_hi:[1,0,0]
	v_dot4_i32_i8 v70, v64, v95, 0
	v_mul_lo_u32 v70, v60, v70
	v_fma_mix_f32 v58, v105, v49, v58 op_sel_hi:[1,0,0]
	v_add_co_u32_e32 v49, vcc, v6, v31
	v_addc_co_u32_e32 v50, vcc, 0, v7, vcc
	global_load_ubyte v60, v[49:50], off offset:104
	v_add_co_u32_e32 v49, vcc, v6, v30
	v_addc_co_u32_e32 v50, vcc, 0, v7, vcc
	global_load_ubyte v61, v[49:50], off offset:96
	global_load_ushort v64, v[8:9], off offset:108
	v_bfe_u32 v49, v42, v27, 4
	global_load_ushort v6, v[6:7], off offset:108
	v_cvt_f32_i32_e32 v51, v51
	v_cvt_f32_i32_e32 v56, v56
	v_lshrrev_b32_e32 v47, 1, v47
	v_and_b32_e32 v47, 0x4040404, v47
	v_fma_mix_f32 v51, v78, v51, v79 op_sel_hi:[1,0,0]
	v_fma_mix_f32 v56, v78, v56, v80 op_sel_hi:[1,0,0]
	v_lshrrev_b32_e32 v42, v27, v42
	v_and_b32_e32 v42, 15, v42
	v_cvt_f32_i32_e32 v65, v65
	v_cvt_f32_i32_e32 v66, v66
	;; [unrolled: 1-line block ×5, first 2 shown]
	v_fma_mix_f32 v65, v92, v65, v93 op_sel_hi:[1,0,0]
	v_fma_mix_f32 v66, v92, v66, v94 op_sel_hi:[1,0,0]
	;; [unrolled: 1-line block ×5, first 2 shown]
	v_add_co_u32_e32 v2, vcc, 0x480, v2
	v_addc_co_u32_e32 v3, vcc, 0, v3, vcc
	s_waitcnt vmcnt(3)
	v_lshrrev_b32_e32 v8, v32, v60
	v_lshlrev_b32_e32 v8, 4, v8
	s_waitcnt vmcnt(2)
	v_bfe_u32 v9, v61, v27, 4
	v_and_or_b32 v8, v8, 48, v9
	v_lshrrev_b32_e32 v9, v32, v44
	v_lshlrev_b32_e32 v9, 4, v9
	v_and_or_b32 v9, v9, 48, v49
	v_lshrrev_b32_e32 v49, 6, v45
	v_lshrrev_b32_e32 v45, 30, v45
	v_and_b32_e32 v49, 0x3030303, v49
	v_sub_u16_sdwa v45, v45, v46 dst_sel:BYTE_1 dst_unused:UNUSED_PAD src0_sel:DWORD src1_sel:BYTE_3
	v_sub_u16_e32 v50, v49, v46
	v_sub_u16_sdwa v72, v49, v46 dst_sel:BYTE_1 dst_unused:UNUSED_PAD src0_sel:BYTE_1 src1_sel:BYTE_1
	v_sub_u16_sdwa v46, v49, v46 dst_sel:DWORD dst_unused:UNUSED_PAD src0_sel:WORD_1 src1_sel:WORD_1
	v_lshrrev_b32_e32 v49, 6, v43
	v_lshrrev_b32_e32 v43, 30, v43
	v_and_b32_e32 v49, 0x3030303, v49
	v_sub_u16_sdwa v43, v43, v47 dst_sel:BYTE_1 dst_unused:UNUSED_PAD src0_sel:DWORD src1_sel:BYTE_3
	v_sub_u16_e32 v76, v49, v47
	v_sub_u16_sdwa v78, v49, v47 dst_sel:BYTE_1 dst_unused:UNUSED_PAD src0_sel:BYTE_1 src1_sel:BYTE_1
	v_sub_u16_sdwa v47, v49, v47 dst_sel:DWORD dst_unused:UNUSED_PAD src0_sel:WORD_1 src1_sel:WORD_1
	v_or_b32_sdwa v49, v50, v72 dst_sel:DWORD dst_unused:UNUSED_PAD src0_sel:BYTE_0 src1_sel:DWORD
	v_or_b32_sdwa v45, v46, v45 dst_sel:WORD_1 dst_unused:UNUSED_PAD src0_sel:BYTE_0 src1_sel:DWORD
	v_or_b32_sdwa v46, v76, v78 dst_sel:DWORD dst_unused:UNUSED_PAD src0_sel:BYTE_0 src1_sel:DWORD
	v_or_b32_sdwa v43, v47, v43 dst_sel:WORD_1 dst_unused:UNUSED_PAD src0_sel:BYTE_0 src1_sel:DWORD
	v_or_b32_sdwa v45, v49, v45 dst_sel:DWORD dst_unused:UNUSED_PAD src0_sel:WORD_0 src1_sel:DWORD
	v_or_b32_sdwa v43, v46, v43 dst_sel:DWORD dst_unused:UNUSED_PAD src0_sel:WORD_0 src1_sel:DWORD
	v_subrev_u32_e32 v8, 32, v8
	v_dot4_i32_i8 v46, v45, v41, 0
	v_subrev_u32_e32 v9, 32, v9
	v_dot4_i32_i8 v41, v43, v41, 0
	v_mul_lo_u32 v46, v8, v46
	v_mul_lo_u32 v41, v9, v41
	v_lshrrev_b32_e32 v49, v39, v60
	v_lshrrev_b32_e32 v44, v32, v44
	v_cvt_f32_i32_e32 v46, v46
	v_cvt_f32_i32_e32 v41, v41
	v_lshlrev_b32_e32 v49, 4, v49
	v_lshlrev_b32_e32 v44, 4, v44
	v_fma_mix_f32 v46, v48, v46, v55 op_sel_hi:[1,0,0]
	v_fma_mix_f32 v41, v48, v41, v54 op_sel_hi:[1,0,0]
	v_lshrrev_b32_e32 v48, v33, v61
	v_and_b32_e32 v48, 15, v48
	v_and_b32_e32 v49, 48, v49
	;; [unrolled: 1-line block ×3, first 2 shown]
	v_or_b32_e32 v48, v49, v48
	v_or_b32_e32 v42, v44, v42
	v_subrev_u32_e32 v48, 32, v48
	v_dot4_i32_i8 v49, v45, v67, 0
	v_dot4_i32_i8 v44, v45, v62, 0
	v_subrev_u32_e32 v42, 32, v42
	v_dot4_i32_i8 v47, v43, v62, 0
	v_mul_lo_u32 v49, v48, v49
	v_mul_lo_u32 v44, v8, v44
	;; [unrolled: 1-line block ×3, first 2 shown]
	v_dot4_i32_i8 v55, v45, v84, 0
	v_cvt_f32_i32_e32 v49, v49
	v_cvt_f32_i32_e32 v44, v44
	;; [unrolled: 1-line block ×3, first 2 shown]
	v_dot4_i32_i8 v50, v43, v67, 0
	v_fma_mix_f32 v49, v68, v49, v51 op_sel_hi:[1,0,0]
	v_dot4_i32_i8 v51, v45, v73, 0
	v_fma_mix_f32 v44, v63, v44, v52 op_sel_hi:[1,0,0]
	v_fma_mix_f32 v47, v63, v47, v53 op_sel_hi:[1,0,0]
	v_mul_lo_u32 v51, v8, v51
	v_dot4_i32_i8 v52, v43, v73, 0
	v_dot4_i32_i8 v53, v45, v75, 0
	;; [unrolled: 1-line block ×3, first 2 shown]
	v_mul_lo_u32 v8, v8, v55
	v_dot4_i32_i8 v55, v43, v84, 0
	v_dot4_i32_i8 v45, v45, v100, 0
	;; [unrolled: 1-line block ×3, first 2 shown]
	v_mul_lo_u32 v50, v9, v50
	v_mul_lo_u32 v52, v42, v52
	;; [unrolled: 1-line block ×7, first 2 shown]
	v_cvt_f32_i32_e32 v50, v50
	v_cvt_f32_i32_e32 v51, v51
	;; [unrolled: 1-line block ×9, first 2 shown]
	v_fma_mix_f32 v50, v68, v50, v56 op_sel_hi:[1,0,0]
	v_fma_mix_f32 v51, v74, v51, v65 op_sel_hi:[1,0,0]
	;; [unrolled: 1-line block ×9, first 2 shown]
	s_waitcnt vmcnt(0)
	v_fma_mix_f32 v24, v46, v6, v24 op_sel_hi:[0,1,0]
	v_fma_mix_f32 v20, v44, v6, v20 op_sel_hi:[0,1,0]
	;; [unrolled: 1-line block ×14, first 2 shown]
	s_andn2_b64 exec, exec, s[16:17]
	s_cbranch_execnz .LBB118_2
; %bb.3:
	s_or_b64 exec, exec, s[16:17]
.LBB118_4:
	s_or_b64 exec, exec, s[10:11]
	s_mov_b32 s1, 0
	v_cmp_eq_u32_e32 vcc, 0, v1
	; wave barrier
	s_and_saveexec_b64 s[10:11], vcc
	s_cbranch_execz .LBB118_19
; %bb.5:
	v_mbcnt_lo_u32_b32 v1, -1, 0
	v_mbcnt_hi_u32_b32 v6, -1, v1
	v_and_b32_e32 v1, 64, v6
	v_add_u32_e32 v7, 64, v1
	v_xor_b32_e32 v1, 32, v6
	v_cmp_lt_i32_e32 vcc, v1, v7
	v_cndmask_b32_e32 v1, v6, v1, vcc
	v_lshlrev_b32_e32 v1, 2, v1
	ds_bpermute_b32 v5, v1, v24
	ds_bpermute_b32 v8, v1, v23
	v_xor_b32_e32 v2, 16, v6
	v_cmp_lt_i32_e32 vcc, v2, v7
	v_cndmask_b32_e32 v2, v6, v2, vcc
	v_lshlrev_b32_e32 v2, 2, v2
	s_waitcnt lgkmcnt(1)
	v_add_f32_e32 v5, v24, v5
	s_waitcnt lgkmcnt(0)
	v_add_f32_e32 v8, v23, v8
	ds_bpermute_b32 v22, v2, v5
	ds_bpermute_b32 v23, v2, v8
	v_xor_b32_e32 v3, 8, v6
	v_cmp_lt_i32_e32 vcc, v3, v7
	v_cndmask_b32_e32 v3, v6, v3, vcc
	v_lshlrev_b32_e32 v3, 2, v3
	s_waitcnt lgkmcnt(1)
	v_add_f32_e32 v22, v5, v22
	s_waitcnt lgkmcnt(0)
	v_add_f32_e32 v8, v8, v23
	;; [unrolled: 10-line block ×3, first 2 shown]
	ds_bpermute_b32 v24, v4, v22
	ds_bpermute_b32 v23, v4, v8
	v_xor_b32_e32 v9, 2, v6
	v_cmp_lt_i32_e32 vcc, v9, v7
	v_cndmask_b32_e32 v9, v6, v9, vcc
	v_lshlrev_b32_e32 v5, 2, v9
	v_xor_b32_e32 v9, 1, v6
	v_cmp_lt_i32_e32 vcc, v9, v7
	s_waitcnt lgkmcnt(1)
	v_add_f32_e32 v7, v22, v24
	s_waitcnt lgkmcnt(0)
	v_add_f32_e32 v22, v8, v23
	v_cndmask_b32_e32 v6, v6, v9, vcc
	ds_bpermute_b32 v9, v5, v7
	ds_bpermute_b32 v23, v5, v22
	s_load_dwordx2 s[4:5], s[4:5], 0x38
	s_mul_i32 s2, s2, s7
	v_lshlrev_b32_e32 v8, 2, v6
	s_waitcnt lgkmcnt(0)
	v_add_f32_e32 v6, v7, v9
	v_add_f32_e32 v9, v22, v23
	s_mul_i32 s0, s18, s8
	s_add_i32 s2, s2, s6
	ds_bpermute_b32 v7, v8, v6
	ds_bpermute_b32 v22, v8, v9
	s_add_i32 s0, s2, s0
	s_lshl_b64 s[0:1], s[0:1], 2
	s_add_u32 s2, s4, s0
	v_add_u32_e32 v23, s6, v0
	s_addc_u32 s3, s5, s1
	v_cmp_gt_u32_e32 vcc, 2, v0
	v_cmp_gt_u32_e64 s[0:1], s14, v23
	s_and_b64 s[0:1], vcc, s[0:1]
	s_waitcnt lgkmcnt(1)
	v_add_f32_e32 v6, v6, v7
	s_waitcnt lgkmcnt(0)
	v_add_f32_e32 v7, v9, v22
	s_and_saveexec_b64 s[4:5], s[0:1]
	s_cbranch_execz .LBB118_7
; %bb.6:
	v_cmp_eq_u32_e32 vcc, 1, v0
	v_cndmask_b32_e32 v9, v6, v7, vcc
	v_cmp_eq_u32_e32 vcc, 2, v0
	v_cndmask_b32_e32 v9, v9, v20, vcc
	;; [unrolled: 2-line block ×13, first 2 shown]
	v_lshlrev_b32_e32 v22, 2, v0
	global_store_dword v22, v9, s[2:3]
.LBB118_7:
	s_or_b64 exec, exec, s[4:5]
	ds_bpermute_b32 v9, v1, v20
	ds_bpermute_b32 v22, v1, v21
	s_waitcnt lgkmcnt(1)
	v_add_f32_e32 v9, v20, v9
	s_waitcnt lgkmcnt(0)
	v_add_f32_e32 v20, v21, v22
	ds_bpermute_b32 v21, v2, v9
	ds_bpermute_b32 v22, v2, v20
	s_waitcnt lgkmcnt(1)
	v_add_f32_e32 v9, v9, v21
	s_waitcnt lgkmcnt(0)
	v_add_f32_e32 v20, v20, v22
	;; [unrolled: 6-line block ×6, first 2 shown]
	s_and_saveexec_b64 s[4:5], s[0:1]
	s_cbranch_execz .LBB118_9
; %bb.8:
	v_add_u32_e32 v21, 2, v0
	v_cmp_eq_u32_e32 vcc, 1, v21
	v_cndmask_b32_e32 v22, v6, v7, vcc
	v_cmp_eq_u32_e32 vcc, 2, v21
	v_cndmask_b32_e32 v22, v22, v20, vcc
	;; [unrolled: 2-line block ×13, first 2 shown]
	v_add_u32_e32 v21, s14, v0
	v_mov_b32_e32 v22, 0
	v_lshlrev_b64 v[21:22], 2, v[21:22]
	v_mov_b32_e32 v24, s3
	v_add_co_u32_e32 v21, vcc, s2, v21
	v_addc_co_u32_e32 v22, vcc, v24, v22, vcc
	global_store_dword v[21:22], v23, off
.LBB118_9:
	s_or_b64 exec, exec, s[4:5]
	ds_bpermute_b32 v21, v1, v19
	ds_bpermute_b32 v22, v1, v18
	s_waitcnt lgkmcnt(1)
	v_add_f32_e32 v19, v19, v21
	s_waitcnt lgkmcnt(0)
	v_add_f32_e32 v18, v18, v22
	ds_bpermute_b32 v21, v2, v19
	ds_bpermute_b32 v22, v2, v18
	s_waitcnt lgkmcnt(1)
	v_add_f32_e32 v19, v19, v21
	s_waitcnt lgkmcnt(0)
	v_add_f32_e32 v18, v18, v22
	;; [unrolled: 6-line block ×6, first 2 shown]
	s_and_saveexec_b64 s[4:5], s[0:1]
	s_cbranch_execz .LBB118_11
; %bb.10:
	v_add_u32_e32 v21, 4, v0
	v_cmp_eq_u32_e32 vcc, 1, v21
	v_cndmask_b32_e32 v22, v6, v7, vcc
	v_cmp_eq_u32_e32 vcc, 2, v21
	v_cndmask_b32_e32 v22, v22, v20, vcc
	;; [unrolled: 2-line block ×13, first 2 shown]
	v_lshl_or_b32 v21, s14, 1, v0
	v_mov_b32_e32 v22, 0
	v_lshlrev_b64 v[21:22], 2, v[21:22]
	v_mov_b32_e32 v24, s3
	v_add_co_u32_e32 v21, vcc, s2, v21
	v_addc_co_u32_e32 v22, vcc, v24, v22, vcc
	global_store_dword v[21:22], v23, off
.LBB118_11:
	s_or_b64 exec, exec, s[4:5]
	ds_bpermute_b32 v21, v1, v16
	ds_bpermute_b32 v22, v1, v17
	s_waitcnt lgkmcnt(1)
	v_add_f32_e32 v16, v16, v21
	s_waitcnt lgkmcnt(0)
	v_add_f32_e32 v17, v17, v22
	ds_bpermute_b32 v21, v2, v16
	ds_bpermute_b32 v22, v2, v17
	s_waitcnt lgkmcnt(1)
	v_add_f32_e32 v16, v16, v21
	s_waitcnt lgkmcnt(0)
	v_add_f32_e32 v17, v17, v22
	;; [unrolled: 6-line block ×6, first 2 shown]
	s_and_saveexec_b64 s[4:5], s[0:1]
	s_cbranch_execz .LBB118_13
; %bb.12:
	v_add_u32_e32 v23, 6, v0
	v_cmp_eq_u32_e32 vcc, 1, v23
	v_cndmask_b32_e32 v21, v6, v7, vcc
	v_cmp_eq_u32_e32 vcc, 2, v23
	v_cndmask_b32_e32 v21, v21, v20, vcc
	;; [unrolled: 2-line block ×12, first 2 shown]
	v_mad_u64_u32 v[21:22], s[6:7], s14, 3, v[0:1]
	v_mov_b32_e32 v22, 0
	v_cmp_eq_u32_e32 vcc, 13, v23
	v_lshlrev_b64 v[21:22], 2, v[21:22]
	v_cndmask_b32_e32 v23, v24, v10, vcc
	v_mov_b32_e32 v24, s3
	v_add_co_u32_e32 v21, vcc, s2, v21
	v_addc_co_u32_e32 v22, vcc, v24, v22, vcc
	global_store_dword v[21:22], v23, off
.LBB118_13:
	s_or_b64 exec, exec, s[4:5]
	ds_bpermute_b32 v21, v1, v15
	ds_bpermute_b32 v22, v1, v14
	s_waitcnt lgkmcnt(1)
	v_add_f32_e32 v15, v15, v21
	s_waitcnt lgkmcnt(0)
	v_add_f32_e32 v14, v14, v22
	ds_bpermute_b32 v21, v2, v15
	ds_bpermute_b32 v22, v2, v14
	s_waitcnt lgkmcnt(1)
	v_add_f32_e32 v15, v15, v21
	s_waitcnt lgkmcnt(0)
	v_add_f32_e32 v14, v14, v22
	;; [unrolled: 6-line block ×6, first 2 shown]
	s_and_saveexec_b64 s[4:5], s[0:1]
	s_cbranch_execz .LBB118_15
; %bb.14:
	v_add_u32_e32 v21, 8, v0
	v_cmp_eq_u32_e32 vcc, 1, v21
	v_cndmask_b32_e32 v22, v6, v7, vcc
	v_cmp_eq_u32_e32 vcc, 2, v21
	v_cndmask_b32_e32 v22, v22, v20, vcc
	;; [unrolled: 2-line block ×13, first 2 shown]
	v_lshl_or_b32 v21, s14, 2, v0
	v_mov_b32_e32 v22, 0
	v_lshlrev_b64 v[21:22], 2, v[21:22]
	v_mov_b32_e32 v24, s3
	v_add_co_u32_e32 v21, vcc, s2, v21
	v_addc_co_u32_e32 v22, vcc, v24, v22, vcc
	global_store_dword v[21:22], v23, off
.LBB118_15:
	s_or_b64 exec, exec, s[4:5]
	ds_bpermute_b32 v21, v1, v12
	ds_bpermute_b32 v22, v1, v13
	s_waitcnt lgkmcnt(1)
	v_add_f32_e32 v12, v12, v21
	s_waitcnt lgkmcnt(0)
	v_add_f32_e32 v13, v13, v22
	ds_bpermute_b32 v21, v2, v12
	ds_bpermute_b32 v22, v2, v13
	s_waitcnt lgkmcnt(1)
	v_add_f32_e32 v12, v12, v21
	s_waitcnt lgkmcnt(0)
	v_add_f32_e32 v13, v13, v22
	;; [unrolled: 6-line block ×6, first 2 shown]
	s_and_saveexec_b64 s[4:5], s[0:1]
	s_cbranch_execz .LBB118_17
; %bb.16:
	v_add_u32_e32 v23, 10, v0
	v_cmp_eq_u32_e32 vcc, 1, v23
	v_cndmask_b32_e32 v21, v6, v7, vcc
	v_cmp_eq_u32_e32 vcc, 2, v23
	v_cndmask_b32_e32 v21, v21, v20, vcc
	;; [unrolled: 2-line block ×12, first 2 shown]
	v_mad_u64_u32 v[21:22], s[6:7], s14, 5, v[0:1]
	v_mov_b32_e32 v22, 0
	v_cmp_eq_u32_e32 vcc, 13, v23
	v_lshlrev_b64 v[21:22], 2, v[21:22]
	v_cndmask_b32_e32 v23, v24, v10, vcc
	v_mov_b32_e32 v24, s3
	v_add_co_u32_e32 v21, vcc, s2, v21
	v_addc_co_u32_e32 v22, vcc, v24, v22, vcc
	global_store_dword v[21:22], v23, off
.LBB118_17:
	s_or_b64 exec, exec, s[4:5]
	ds_bpermute_b32 v21, v1, v11
	ds_bpermute_b32 v1, v1, v10
	s_waitcnt lgkmcnt(1)
	v_add_f32_e32 v11, v11, v21
	s_waitcnt lgkmcnt(0)
	v_add_f32_e32 v1, v10, v1
	ds_bpermute_b32 v10, v2, v11
	ds_bpermute_b32 v2, v2, v1
	s_waitcnt lgkmcnt(1)
	v_add_f32_e32 v10, v11, v10
	s_waitcnt lgkmcnt(0)
	v_add_f32_e32 v1, v1, v2
	;; [unrolled: 6-line block ×5, first 2 shown]
	ds_bpermute_b32 v3, v8, v1
	ds_bpermute_b32 v4, v8, v2
	s_and_b64 exec, exec, s[0:1]
	s_cbranch_execz .LBB118_19
; %bb.18:
	s_waitcnt lgkmcnt(1)
	v_add_f32_e32 v1, v1, v3
	v_add_u32_e32 v3, 12, v0
	v_cmp_eq_u32_e32 vcc, 1, v3
	s_waitcnt lgkmcnt(0)
	v_add_f32_e32 v2, v2, v4
	v_cndmask_b32_e32 v4, v6, v7, vcc
	v_cmp_eq_u32_e32 vcc, 2, v3
	v_cndmask_b32_e32 v4, v4, v20, vcc
	v_cmp_eq_u32_e32 vcc, 3, v3
	v_cndmask_b32_e32 v4, v4, v9, vcc
	v_cmp_eq_u32_e32 vcc, 4, v3
	v_cndmask_b32_e32 v4, v4, v19, vcc
	v_cmp_eq_u32_e32 vcc, 5, v3
	v_cndmask_b32_e32 v4, v4, v18, vcc
	v_cmp_eq_u32_e32 vcc, 6, v3
	v_cndmask_b32_e32 v4, v4, v17, vcc
	v_cmp_eq_u32_e32 vcc, 7, v3
	v_cndmask_b32_e32 v4, v4, v16, vcc
	v_cmp_eq_u32_e32 vcc, 8, v3
	v_cndmask_b32_e32 v4, v4, v15, vcc
	v_cmp_eq_u32_e32 vcc, 9, v3
	v_cndmask_b32_e32 v4, v4, v14, vcc
	v_cmp_eq_u32_e32 vcc, 10, v3
	v_cndmask_b32_e32 v4, v4, v13, vcc
	v_cmp_eq_u32_e32 vcc, 11, v3
	v_cndmask_b32_e32 v4, v4, v12, vcc
	v_cmp_eq_u32_e32 vcc, 12, v3
	v_cndmask_b32_e32 v1, v4, v1, vcc
	v_cmp_eq_u32_e32 vcc, 13, v3
	s_mul_i32 s0, s14, 6
	v_cndmask_b32_e32 v2, v1, v2, vcc
	v_or_b32_e32 v0, s0, v0
	v_mov_b32_e32 v1, 0
	v_lshlrev_b64 v[0:1], 2, v[0:1]
	v_mov_b32_e32 v3, s3
	v_add_co_u32_e32 v0, vcc, s2, v0
	v_addc_co_u32_e32 v1, vcc, v3, v1, vcc
	global_store_dword v[0:1], v2, off
.LBB118_19:
	s_endpgm
	.section	.rodata,"a",@progbits
	.p2align	6, 0x0
	.amdhsa_kernel _ZL13mul_mat_vec_qIL9ggml_type11ELi7ELb0ELb0EEvPKvS2_PKi31ggml_cuda_mm_fusion_args_devicePfj15HIP_vector_typeIjLj3EEjjjS8_jjjS8_jjjj
		.amdhsa_group_segment_fixed_size 0
		.amdhsa_private_segment_fixed_size 0
		.amdhsa_kernarg_size 144
		.amdhsa_user_sgpr_count 6
		.amdhsa_user_sgpr_private_segment_buffer 1
		.amdhsa_user_sgpr_dispatch_ptr 0
		.amdhsa_user_sgpr_queue_ptr 0
		.amdhsa_user_sgpr_kernarg_segment_ptr 1
		.amdhsa_user_sgpr_dispatch_id 0
		.amdhsa_user_sgpr_flat_scratch_init 0
		.amdhsa_user_sgpr_private_segment_size 0
		.amdhsa_uses_dynamic_stack 0
		.amdhsa_system_sgpr_private_segment_wavefront_offset 0
		.amdhsa_system_sgpr_workgroup_id_x 1
		.amdhsa_system_sgpr_workgroup_id_y 1
		.amdhsa_system_sgpr_workgroup_id_z 1
		.amdhsa_system_sgpr_workgroup_info 0
		.amdhsa_system_vgpr_workitem_id 1
		.amdhsa_next_free_vgpr 107
		.amdhsa_next_free_sgpr 26
		.amdhsa_reserve_vcc 1
		.amdhsa_reserve_flat_scratch 0
		.amdhsa_float_round_mode_32 0
		.amdhsa_float_round_mode_16_64 0
		.amdhsa_float_denorm_mode_32 3
		.amdhsa_float_denorm_mode_16_64 3
		.amdhsa_dx10_clamp 1
		.amdhsa_ieee_mode 1
		.amdhsa_fp16_overflow 0
		.amdhsa_exception_fp_ieee_invalid_op 0
		.amdhsa_exception_fp_denorm_src 0
		.amdhsa_exception_fp_ieee_div_zero 0
		.amdhsa_exception_fp_ieee_overflow 0
		.amdhsa_exception_fp_ieee_underflow 0
		.amdhsa_exception_fp_ieee_inexact 0
		.amdhsa_exception_int_div_zero 0
	.end_amdhsa_kernel
	.section	.text._ZL13mul_mat_vec_qIL9ggml_type11ELi7ELb0ELb0EEvPKvS2_PKi31ggml_cuda_mm_fusion_args_devicePfj15HIP_vector_typeIjLj3EEjjjS8_jjjS8_jjjj,"axG",@progbits,_ZL13mul_mat_vec_qIL9ggml_type11ELi7ELb0ELb0EEvPKvS2_PKi31ggml_cuda_mm_fusion_args_devicePfj15HIP_vector_typeIjLj3EEjjjS8_jjjS8_jjjj,comdat
.Lfunc_end118:
	.size	_ZL13mul_mat_vec_qIL9ggml_type11ELi7ELb0ELb0EEvPKvS2_PKi31ggml_cuda_mm_fusion_args_devicePfj15HIP_vector_typeIjLj3EEjjjS8_jjjS8_jjjj, .Lfunc_end118-_ZL13mul_mat_vec_qIL9ggml_type11ELi7ELb0ELb0EEvPKvS2_PKi31ggml_cuda_mm_fusion_args_devicePfj15HIP_vector_typeIjLj3EEjjjS8_jjjS8_jjjj
                                        ; -- End function
	.set _ZL13mul_mat_vec_qIL9ggml_type11ELi7ELb0ELb0EEvPKvS2_PKi31ggml_cuda_mm_fusion_args_devicePfj15HIP_vector_typeIjLj3EEjjjS8_jjjS8_jjjj.num_vgpr, 107
	.set _ZL13mul_mat_vec_qIL9ggml_type11ELi7ELb0ELb0EEvPKvS2_PKi31ggml_cuda_mm_fusion_args_devicePfj15HIP_vector_typeIjLj3EEjjjS8_jjjS8_jjjj.num_agpr, 0
	.set _ZL13mul_mat_vec_qIL9ggml_type11ELi7ELb0ELb0EEvPKvS2_PKi31ggml_cuda_mm_fusion_args_devicePfj15HIP_vector_typeIjLj3EEjjjS8_jjjS8_jjjj.numbered_sgpr, 26
	.set _ZL13mul_mat_vec_qIL9ggml_type11ELi7ELb0ELb0EEvPKvS2_PKi31ggml_cuda_mm_fusion_args_devicePfj15HIP_vector_typeIjLj3EEjjjS8_jjjS8_jjjj.num_named_barrier, 0
	.set _ZL13mul_mat_vec_qIL9ggml_type11ELi7ELb0ELb0EEvPKvS2_PKi31ggml_cuda_mm_fusion_args_devicePfj15HIP_vector_typeIjLj3EEjjjS8_jjjS8_jjjj.private_seg_size, 0
	.set _ZL13mul_mat_vec_qIL9ggml_type11ELi7ELb0ELb0EEvPKvS2_PKi31ggml_cuda_mm_fusion_args_devicePfj15HIP_vector_typeIjLj3EEjjjS8_jjjS8_jjjj.uses_vcc, 1
	.set _ZL13mul_mat_vec_qIL9ggml_type11ELi7ELb0ELb0EEvPKvS2_PKi31ggml_cuda_mm_fusion_args_devicePfj15HIP_vector_typeIjLj3EEjjjS8_jjjS8_jjjj.uses_flat_scratch, 0
	.set _ZL13mul_mat_vec_qIL9ggml_type11ELi7ELb0ELb0EEvPKvS2_PKi31ggml_cuda_mm_fusion_args_devicePfj15HIP_vector_typeIjLj3EEjjjS8_jjjS8_jjjj.has_dyn_sized_stack, 0
	.set _ZL13mul_mat_vec_qIL9ggml_type11ELi7ELb0ELb0EEvPKvS2_PKi31ggml_cuda_mm_fusion_args_devicePfj15HIP_vector_typeIjLj3EEjjjS8_jjjS8_jjjj.has_recursion, 0
	.set _ZL13mul_mat_vec_qIL9ggml_type11ELi7ELb0ELb0EEvPKvS2_PKi31ggml_cuda_mm_fusion_args_devicePfj15HIP_vector_typeIjLj3EEjjjS8_jjjS8_jjjj.has_indirect_call, 0
	.section	.AMDGPU.csdata,"",@progbits
; Kernel info:
; codeLenInByte = 6912
; TotalNumSgprs: 30
; NumVgprs: 107
; ScratchSize: 0
; MemoryBound: 0
; FloatMode: 240
; IeeeMode: 1
; LDSByteSize: 0 bytes/workgroup (compile time only)
; SGPRBlocks: 3
; VGPRBlocks: 26
; NumSGPRsForWavesPerEU: 30
; NumVGPRsForWavesPerEU: 107
; Occupancy: 2
; WaveLimiterHint : 0
; COMPUTE_PGM_RSRC2:SCRATCH_EN: 0
; COMPUTE_PGM_RSRC2:USER_SGPR: 6
; COMPUTE_PGM_RSRC2:TRAP_HANDLER: 0
; COMPUTE_PGM_RSRC2:TGID_X_EN: 1
; COMPUTE_PGM_RSRC2:TGID_Y_EN: 1
; COMPUTE_PGM_RSRC2:TGID_Z_EN: 1
; COMPUTE_PGM_RSRC2:TIDIG_COMP_CNT: 1
	.section	.text._ZL13mul_mat_vec_qIL9ggml_type11ELi8ELb0ELb0EEvPKvS2_PKi31ggml_cuda_mm_fusion_args_devicePfj15HIP_vector_typeIjLj3EEjjjS8_jjjS8_jjjj,"axG",@progbits,_ZL13mul_mat_vec_qIL9ggml_type11ELi8ELb0ELb0EEvPKvS2_PKi31ggml_cuda_mm_fusion_args_devicePfj15HIP_vector_typeIjLj3EEjjjS8_jjjS8_jjjj,comdat
	.globl	_ZL13mul_mat_vec_qIL9ggml_type11ELi8ELb0ELb0EEvPKvS2_PKi31ggml_cuda_mm_fusion_args_devicePfj15HIP_vector_typeIjLj3EEjjjS8_jjjS8_jjjj ; -- Begin function _ZL13mul_mat_vec_qIL9ggml_type11ELi8ELb0ELb0EEvPKvS2_PKi31ggml_cuda_mm_fusion_args_devicePfj15HIP_vector_typeIjLj3EEjjjS8_jjjS8_jjjj
	.p2align	8
	.type	_ZL13mul_mat_vec_qIL9ggml_type11ELi8ELb0ELb0EEvPKvS2_PKi31ggml_cuda_mm_fusion_args_devicePfj15HIP_vector_typeIjLj3EEjjjS8_jjjS8_jjjj,@function
_ZL13mul_mat_vec_qIL9ggml_type11ELi8ELb0ELb0EEvPKvS2_PKi31ggml_cuda_mm_fusion_args_devicePfj15HIP_vector_typeIjLj3EEjjjS8_jjjS8_jjjj: ; @_ZL13mul_mat_vec_qIL9ggml_type11ELi8ELb0ELb0EEvPKvS2_PKi31ggml_cuda_mm_fusion_args_devicePfj15HIP_vector_typeIjLj3EEjjjS8_jjjS8_jjjj
; %bb.0:
	s_load_dword s9, s[4:5], 0x40
	s_load_dwordx4 s[0:3], s[4:5], 0x50
	s_load_dword s25, s[4:5], 0x60
	s_load_dwordx4 s[12:15], s[4:5], 0x68
	;; [unrolled: 2-line block ×3, first 2 shown]
	v_lshl_or_b32 v2, v1, 6, v0
	s_waitcnt lgkmcnt(0)
	s_lshr_b32 s9, s9, 8
	v_lshrrev_b32_e32 v22, 4, v2
	v_mov_b32_e32 v6, 0
	s_lshl_b32 s6, s6, 1
	v_cmp_gt_u32_e32 vcc, s9, v22
	v_mov_b32_e32 v7, v6
	v_mov_b32_e32 v9, v6
	v_mov_b32_e32 v8, v6
	v_mov_b32_e32 v10, v6
	v_mov_b32_e32 v11, v6
	v_mov_b32_e32 v12, v6
	v_mov_b32_e32 v13, v6
	v_mov_b32_e32 v14, v6
	v_mov_b32_e32 v15, v6
	v_mov_b32_e32 v16, v6
	v_mov_b32_e32 v17, v6
	v_mov_b32_e32 v18, v6
	v_mov_b32_e32 v19, v6
	v_mov_b32_e32 v21, v6
	v_mov_b32_e32 v20, v6
	s_and_saveexec_b64 s[10:11], vcc
	s_cbranch_execz .LBB119_4
; %bb.1:
	s_mul_hi_u32 s3, s3, s7
	s_add_i32 s3, s7, s3
	s_load_dwordx4 s[20:23], s[4:5], 0x0
	s_lshr_b32 s3, s3, s25
	s_mul_i32 s3, s3, s12
	s_mul_hi_u32 s12, s15, s8
	v_lshrrev_b32_e32 v2, 1, v0
	s_add_i32 s12, s8, s12
	v_and_b32_e32 v23, 4, v2
	v_lshlrev_b32_e32 v2, 1, v0
	s_lshr_b32 s12, s12, s24
	s_mul_i32 s15, s17, s8
	v_and_b32_e32 v5, 30, v2
	v_and_b32_e32 v2, 8, v0
	v_bfe_u32 v24, v0, 2, 1
	s_mul_i32 s12, s12, s16
	s_mul_hi_u32 s16, s15, 36
	s_mul_i32 s15, s15, 36
	v_or_b32_e32 v3, v24, v2
	s_waitcnt lgkmcnt(0)
	s_add_u32 s15, s22, s15
	s_mul_i32 s13, s13, s7
	v_lshrrev_b32_e32 v25, 1, v2
	v_or_b32_e32 v2, 4, v3
	s_addc_u32 s16, s23, s16
	s_mul_hi_u32 s17, s13, 36
	s_mul_i32 s13, s13, 36
	v_and_b32_e32 v26, 5, v2
	v_lshrrev_b32_e32 v27, 1, v2
	v_or_b32_e32 v2, 6, v3
	s_add_u32 s26, s15, s13
	v_and_b32_e32 v28, 7, v2
	v_and_b32_e32 v29, 3, v2
	v_lshrrev_b32_e32 v2, 1, v2
	s_addc_u32 s27, s16, s17
	s_add_i32 s15, s12, s3
	v_and_b32_e32 v30, 6, v2
	s_add_i32 s12, s6, 1
	v_bfe_u32 v2, v0, 3, 1
	s_mul_i32 s3, s6, s0
	s_mul_i32 s0, s0, s12
	v_mul_hi_u32_u24_e32 v3, 0x90, v2
	v_mul_u32_u24_e32 v2, 0x90, v2
	s_movk_i32 s12, 0x120
	v_mad_u64_u32 v[2:3], s[12:13], v22, s12, v[2:3]
	v_and_b32_e32 v4, 7, v0
	v_lshlrev_b32_e32 v6, 1, v4
	v_mov_b32_e32 v7, s27
	v_add_co_u32_e32 v2, vcc, s26, v2
	v_lshlrev_b32_e32 v31, 2, v4
	v_lshlrev_b32_e32 v33, 1, v5
	;; [unrolled: 1-line block ×3, first 2 shown]
	v_mad_u64_u32 v[4:5], s[26:27], v23, 36, s[26:27]
	v_mov_b32_e32 v20, 0
	s_add_i32 s3, s15, s3
	s_add_i32 s0, s15, s0
	v_addc_co_u32_e32 v3, vcc, v7, v3, vcc
	v_lshlrev_b32_e32 v32, 3, v22
	s_mul_i32 s15, s1, 7
	s_lshl_b32 s16, s1, 1
	s_mul_i32 s17, s1, 3
	s_lshl_b32 s19, s1, 2
	s_mul_i32 s22, s1, 5
	s_mul_i32 s23, s1, 6
	s_mov_b64 s[12:13], 0
	s_movk_i32 s24, 0x6e
	v_lshlrev_b32_e32 v34, 1, v6
	v_mov_b32_e32 v21, 0
	v_mov_b32_e32 v19, 0
	;; [unrolled: 1-line block ×15, first 2 shown]
.LBB119_2:                              ; =>This Inner Loop Header: Depth=1
	v_mov_b32_e32 v52, s21
	v_add_u32_e32 v36, s3, v22
	v_mov_b32_e32 v51, s20
	v_mad_i64_i32 v[56:57], s[26:27], v36, s24, v[51:52]
	v_add_co_u32_e32 v39, vcc, v2, v31
	v_addc_co_u32_e32 v40, vcc, 0, v3, vcc
	global_load_dword v53, v[39:40], off offset:4
	global_load_dword v50, v[2:3], off
	global_load_dword v48, v[39:40], off offset:40
	global_load_dword v45, v[2:3], off offset:36
	;; [unrolled: 1-line block ×6, first 2 shown]
	v_add_co_u32_e32 v40, vcc, v56, v33
	v_addc_co_u32_e32 v41, vcc, 0, v57, vcc
	global_load_ushort v39, v[56:57], off offset:108
	global_load_dword v36, v[40:41], off offset:32
	v_add_co_u32_e32 v40, vcc, v56, v34
	v_addc_co_u32_e32 v41, vcc, 0, v57, vcc
	global_load_dword v40, v[40:41], off
	v_add_co_u32_e32 v42, vcc, v56, v24
	v_addc_co_u32_e32 v43, vcc, 0, v57, vcc
	global_load_ubyte v44, v[42:43], off offset:104
	s_waitcnt vmcnt(2)
	v_bfe_u32 v46, v36, 24, 2
	s_waitcnt vmcnt(1)
	v_ashrrev_i32_e32 v40, v23, v40
	v_not_b32_e32 v49, v40
	global_load_ubyte v40, v[42:43], off offset:96
	v_lshlrev_b32_e32 v47, 2, v49
	v_and_b32_e32 v47, 0x4040404, v47
	s_waitcnt vmcnt(1)
	v_lshrrev_b32_e32 v41, v25, v44
	v_lshlrev_b32_e32 v41, 4, v41
	v_sub_u16_sdwa v46, v46, v47 dst_sel:BYTE_1 dst_unused:UNUSED_PAD src0_sel:DWORD src1_sel:BYTE_3
	v_lshrrev_b32_e32 v44, v27, v44
	v_lshlrev_b32_e32 v44, 4, v44
	s_waitcnt vmcnt(0)
	v_bfe_u32 v40, v40, v25, 4
	v_and_or_b32 v40, v41, 48, v40
	v_and_b32_e32 v41, 0x3030303, v36
	v_sub_u16_e32 v58, v41, v47
	v_sub_u16_sdwa v59, v41, v47 dst_sel:BYTE_1 dst_unused:UNUSED_PAD src0_sel:BYTE_1 src1_sel:BYTE_1
	v_sub_u16_sdwa v41, v41, v47 dst_sel:DWORD dst_unused:UNUSED_PAD src0_sel:WORD_1 src1_sel:WORD_1
	global_load_ubyte v47, v[42:43], off offset:98
	v_or_b32_sdwa v58, v58, v59 dst_sel:DWORD dst_unused:UNUSED_PAD src0_sel:BYTE_0 src1_sel:DWORD
	global_load_ubyte v42, v[42:43], off offset:106
	v_or_b32_sdwa v41, v41, v46 dst_sel:WORD_1 dst_unused:UNUSED_PAD src0_sel:BYTE_0 src1_sel:DWORD
	v_or_b32_sdwa v41, v58, v41 dst_sel:DWORD dst_unused:UNUSED_PAD src0_sel:WORD_0 src1_sel:DWORD
	v_lshrrev_b32_e32 v43, 2, v36
	v_lshlrev_b32_e32 v58, 1, v49
	v_and_b32_e32 v58, 0x4040404, v58
	v_subrev_u32_e32 v40, 32, v40
	v_dot4_i32_i8 v46, v41, v53, 0
	v_mul_lo_u32 v46, v40, v46
	v_cvt_f32_i32_e32 v46, v46
	v_fma_mix_f32 v46, v50, v46, 0 op_sel_hi:[1,0,0]
	s_waitcnt vmcnt(1)
	v_bfe_u32 v47, v47, v25, 4
	s_waitcnt vmcnt(0)
	v_lshrrev_b32_e32 v42, v25, v42
	v_lshlrev_b32_e32 v42, 4, v42
	v_and_or_b32 v42, v42, 48, v47
	v_and_b32_e32 v47, 0x3030303, v43
	v_bfe_u32 v43, v43, 24, 2
	v_sub_u16_e32 v59, v47, v58
	v_sub_u16_sdwa v60, v47, v58 dst_sel:BYTE_1 dst_unused:UNUSED_PAD src0_sel:BYTE_1 src1_sel:BYTE_1
	v_sub_u16_sdwa v43, v43, v58 dst_sel:BYTE_1 dst_unused:UNUSED_PAD src0_sel:DWORD src1_sel:BYTE_3
	v_sub_u16_sdwa v47, v47, v58 dst_sel:DWORD dst_unused:UNUSED_PAD src0_sel:WORD_1 src1_sel:WORD_1
	v_or_b32_sdwa v59, v59, v60 dst_sel:DWORD dst_unused:UNUSED_PAD src0_sel:BYTE_0 src1_sel:DWORD
	v_or_b32_sdwa v43, v47, v43 dst_sel:WORD_1 dst_unused:UNUSED_PAD src0_sel:BYTE_0 src1_sel:DWORD
	v_or_b32_sdwa v43, v59, v43 dst_sel:DWORD dst_unused:UNUSED_PAD src0_sel:WORD_0 src1_sel:DWORD
	v_subrev_u32_e32 v42, 32, v42
	v_dot4_i32_i8 v47, v43, v48, 0
	v_mul_lo_u32 v47, v42, v47
	v_and_b32_e32 v59, 0x4040404, v49
	v_lshrrev_b32_e32 v49, 1, v49
	v_and_b32_e32 v49, 0x4040404, v49
	v_cvt_f32_i32_e32 v47, v47
	v_fma_mix_f32 v58, v45, v47, v46 op_sel_hi:[1,0,0]
	v_add_co_u32_e32 v46, vcc, v56, v26
	v_addc_co_u32_e32 v47, vcc, 0, v57, vcc
	global_load_ubyte v46, v[46:47], off offset:96
	s_waitcnt vmcnt(0)
	v_bfe_u32 v46, v46, v25, 4
	v_and_or_b32 v44, v44, 48, v46
	v_lshrrev_b32_e32 v46, 4, v36
	v_and_b32_e32 v47, 0x3030303, v46
	v_bfe_u32 v46, v46, 24, 2
	v_sub_u16_e32 v60, v47, v59
	v_sub_u16_sdwa v61, v47, v59 dst_sel:BYTE_1 dst_unused:UNUSED_PAD src0_sel:BYTE_1 src1_sel:BYTE_1
	v_sub_u16_sdwa v46, v46, v59 dst_sel:BYTE_1 dst_unused:UNUSED_PAD src0_sel:DWORD src1_sel:BYTE_3
	v_sub_u16_sdwa v47, v47, v59 dst_sel:DWORD dst_unused:UNUSED_PAD src0_sel:WORD_1 src1_sel:WORD_1
	v_or_b32_sdwa v60, v60, v61 dst_sel:DWORD dst_unused:UNUSED_PAD src0_sel:BYTE_0 src1_sel:DWORD
	v_or_b32_sdwa v46, v47, v46 dst_sel:WORD_1 dst_unused:UNUSED_PAD src0_sel:BYTE_0 src1_sel:DWORD
	v_or_b32_sdwa v46, v60, v46 dst_sel:DWORD dst_unused:UNUSED_PAD src0_sel:WORD_0 src1_sel:DWORD
	v_subrev_u32_e32 v44, 32, v44
	v_dot4_i32_i8 v47, v46, v38, 0
	v_mul_lo_u32 v47, v44, v47
	v_cvt_f32_i32_e32 v47, v47
	v_fma_mix_f32 v60, v37, v47, v58 op_sel_hi:[1,0,0]
	v_add_co_u32_e32 v58, vcc, v56, v28
	v_addc_co_u32_e32 v59, vcc, 0, v57, vcc
	v_add_co_u32_e32 v56, vcc, v56, v29
	v_addc_co_u32_e32 v57, vcc, 0, v57, vcc
	global_load_ubyte v47, v[58:59], off offset:96
	s_nop 0
	global_load_ubyte v56, v[56:57], off offset:104
	s_waitcnt vmcnt(1)
	v_bfe_u32 v47, v47, v25, 4
	s_waitcnt vmcnt(0)
	v_lshrrev_b32_e32 v56, v30, v56
	v_lshlrev_b32_e32 v56, 4, v56
	v_and_or_b32 v47, v56, 48, v47
	v_lshrrev_b32_e32 v56, 6, v36
	v_and_b32_e32 v56, 0x3030303, v56
	v_lshrrev_b32_e32 v36, 30, v36
	v_sub_u16_e32 v57, v56, v49
	v_sub_u16_sdwa v58, v56, v49 dst_sel:BYTE_1 dst_unused:UNUSED_PAD src0_sel:BYTE_1 src1_sel:BYTE_1
	v_sub_u16_sdwa v36, v36, v49 dst_sel:BYTE_1 dst_unused:UNUSED_PAD src0_sel:DWORD src1_sel:BYTE_3
	v_sub_u16_sdwa v49, v56, v49 dst_sel:DWORD dst_unused:UNUSED_PAD src0_sel:WORD_1 src1_sel:WORD_1
	v_or_b32_sdwa v57, v57, v58 dst_sel:DWORD dst_unused:UNUSED_PAD src0_sel:BYTE_0 src1_sel:DWORD
	v_or_b32_sdwa v36, v49, v36 dst_sel:WORD_1 dst_unused:UNUSED_PAD src0_sel:BYTE_0 src1_sel:DWORD
	v_or_b32_sdwa v49, v57, v36 dst_sel:DWORD dst_unused:UNUSED_PAD src0_sel:WORD_0 src1_sel:DWORD
	v_subrev_u32_e32 v47, 32, v47
	v_dot4_i32_i8 v36, v49, v55, 0
	v_mul_lo_u32 v36, v47, v36
	v_cvt_f32_i32_e32 v36, v36
	v_fma_mix_f32 v36, v54, v36, v60 op_sel_hi:[1,0,0]
	v_fma_mix_f32 v20, v36, v39, v20 op_sel_hi:[0,1,0]
	v_add_u32_e32 v36, s0, v22
	v_mad_i64_i32 v[56:57], s[26:27], v36, s24, v[51:52]
	v_add_u32_e32 v22, 4, v22
	v_add_co_u32_e32 v51, vcc, v56, v33
	v_addc_co_u32_e32 v52, vcc, 0, v57, vcc
	global_load_dword v60, v[51:52], off offset:32
	v_add_co_u32_e32 v51, vcc, v56, v34
	v_addc_co_u32_e32 v52, vcc, 0, v57, vcc
	global_load_dword v51, v[51:52], off
	v_add_co_u32_e32 v58, vcc, v56, v24
	v_addc_co_u32_e32 v59, vcc, 0, v57, vcc
	global_load_ubyte v62, v[58:59], off offset:104
	global_load_ushort v36, v[56:57], off offset:108
	s_waitcnt vmcnt(3)
	v_bfe_u32 v63, v60, 24, 2
	s_waitcnt vmcnt(2)
	v_ashrrev_i32_e32 v51, v23, v51
	v_not_b32_e32 v61, v51
	global_load_ubyte v51, v[58:59], off offset:96
	v_lshlrev_b32_e32 v64, 2, v61
	v_and_b32_e32 v64, 0x4040404, v64
	s_waitcnt vmcnt(2)
	v_lshrrev_b32_e32 v52, v25, v62
	v_lshlrev_b32_e32 v52, 4, v52
	v_sub_u16_sdwa v63, v63, v64 dst_sel:BYTE_1 dst_unused:UNUSED_PAD src0_sel:DWORD src1_sel:BYTE_3
	s_waitcnt vmcnt(0)
	v_bfe_u32 v51, v51, v25, 4
	v_and_or_b32 v51, v52, 48, v51
	v_and_b32_e32 v52, 0x3030303, v60
	v_sub_u16_e32 v65, v52, v64
	v_sub_u16_sdwa v66, v52, v64 dst_sel:BYTE_1 dst_unused:UNUSED_PAD src0_sel:BYTE_1 src1_sel:BYTE_1
	v_sub_u16_sdwa v52, v52, v64 dst_sel:DWORD dst_unused:UNUSED_PAD src0_sel:WORD_1 src1_sel:WORD_1
	v_or_b32_sdwa v65, v65, v66 dst_sel:DWORD dst_unused:UNUSED_PAD src0_sel:BYTE_0 src1_sel:DWORD
	v_or_b32_sdwa v52, v52, v63 dst_sel:WORD_1 dst_unused:UNUSED_PAD src0_sel:BYTE_0 src1_sel:DWORD
	v_or_b32_sdwa v52, v65, v52 dst_sel:DWORD dst_unused:UNUSED_PAD src0_sel:WORD_0 src1_sel:DWORD
	v_subrev_u32_e32 v51, 32, v51
	v_dot4_i32_i8 v53, v52, v53, 0
	v_mul_lo_u32 v53, v51, v53
	v_cvt_f32_i32_e32 v53, v53
	v_fma_mix_f32 v63, v50, v53, 0 op_sel_hi:[1,0,0]
	global_load_ubyte v50, v[58:59], off offset:98
	global_load_ubyte v53, v[58:59], off offset:106
	v_lshlrev_b32_e32 v59, 1, v61
	v_and_b32_e32 v59, 0x4040404, v59
	s_waitcnt vmcnt(1)
	v_bfe_u32 v50, v50, v25, 4
	s_waitcnt vmcnt(0)
	v_lshrrev_b32_e32 v53, v25, v53
	v_lshlrev_b32_e32 v53, 4, v53
	v_and_or_b32 v50, v53, 48, v50
	v_lshrrev_b32_e32 v53, 2, v60
	v_and_b32_e32 v58, 0x3030303, v53
	v_bfe_u32 v53, v53, 24, 2
	v_sub_u16_e32 v64, v58, v59
	v_sub_u16_sdwa v65, v58, v59 dst_sel:BYTE_1 dst_unused:UNUSED_PAD src0_sel:BYTE_1 src1_sel:BYTE_1
	v_sub_u16_sdwa v53, v53, v59 dst_sel:BYTE_1 dst_unused:UNUSED_PAD src0_sel:DWORD src1_sel:BYTE_3
	v_sub_u16_sdwa v58, v58, v59 dst_sel:DWORD dst_unused:UNUSED_PAD src0_sel:WORD_1 src1_sel:WORD_1
	v_or_b32_sdwa v64, v64, v65 dst_sel:DWORD dst_unused:UNUSED_PAD src0_sel:BYTE_0 src1_sel:DWORD
	v_or_b32_sdwa v53, v58, v53 dst_sel:WORD_1 dst_unused:UNUSED_PAD src0_sel:BYTE_0 src1_sel:DWORD
	v_or_b32_sdwa v53, v64, v53 dst_sel:DWORD dst_unused:UNUSED_PAD src0_sel:WORD_0 src1_sel:DWORD
	v_subrev_u32_e32 v50, 32, v50
	v_dot4_i32_i8 v48, v53, v48, 0
	v_mul_lo_u32 v48, v50, v48
	v_add_co_u32_e32 v58, vcc, v56, v26
	v_addc_co_u32_e32 v59, vcc, 0, v57, vcc
	v_cvt_f32_i32_e32 v48, v48
	v_fma_mix_f32 v63, v45, v48, v63 op_sel_hi:[1,0,0]
	global_load_ubyte v45, v[58:59], off offset:96
	v_lshrrev_b32_e32 v48, v27, v62
	v_lshlrev_b32_e32 v48, 4, v48
	v_and_b32_e32 v59, 0x4040404, v61
	s_waitcnt vmcnt(0)
	v_bfe_u32 v45, v45, v25, 4
	v_and_or_b32 v45, v48, 48, v45
	v_lshrrev_b32_e32 v48, 4, v60
	v_and_b32_e32 v58, 0x3030303, v48
	v_bfe_u32 v48, v48, 24, 2
	v_sub_u16_e32 v62, v58, v59
	v_sub_u16_sdwa v64, v58, v59 dst_sel:BYTE_1 dst_unused:UNUSED_PAD src0_sel:BYTE_1 src1_sel:BYTE_1
	v_sub_u16_sdwa v48, v48, v59 dst_sel:BYTE_1 dst_unused:UNUSED_PAD src0_sel:DWORD src1_sel:BYTE_3
	v_sub_u16_sdwa v58, v58, v59 dst_sel:DWORD dst_unused:UNUSED_PAD src0_sel:WORD_1 src1_sel:WORD_1
	v_or_b32_sdwa v62, v62, v64 dst_sel:DWORD dst_unused:UNUSED_PAD src0_sel:BYTE_0 src1_sel:DWORD
	v_or_b32_sdwa v48, v58, v48 dst_sel:WORD_1 dst_unused:UNUSED_PAD src0_sel:BYTE_0 src1_sel:DWORD
	v_or_b32_sdwa v48, v62, v48 dst_sel:DWORD dst_unused:UNUSED_PAD src0_sel:WORD_0 src1_sel:DWORD
	v_subrev_u32_e32 v45, 32, v45
	v_dot4_i32_i8 v38, v48, v38, 0
	v_mul_lo_u32 v38, v45, v38
	v_cvt_f32_i32_e32 v38, v38
	v_fma_mix_f32 v58, v37, v38, v63 op_sel_hi:[1,0,0]
	v_add_co_u32_e32 v37, vcc, v56, v28
	v_addc_co_u32_e32 v38, vcc, 0, v57, vcc
	global_load_ubyte v37, v[37:38], off offset:96
	s_waitcnt vmcnt(0)
	v_bfe_u32 v59, v37, v25, 4
	v_add_co_u32_e32 v37, vcc, v56, v29
	v_addc_co_u32_e32 v38, vcc, 0, v57, vcc
	global_load_ubyte v37, v[37:38], off offset:104
	v_lshrrev_b32_e32 v38, 6, v60
	v_lshrrev_b32_e32 v57, 1, v61
	v_and_b32_e32 v38, 0x3030303, v38
	v_lshrrev_b32_e32 v56, 30, v60
	v_and_b32_e32 v57, 0x4040404, v57
	v_sub_u16_sdwa v60, v38, v57 dst_sel:BYTE_1 dst_unused:UNUSED_PAD src0_sel:BYTE_1 src1_sel:BYTE_1
	v_sub_u16_sdwa v56, v56, v57 dst_sel:BYTE_1 dst_unused:UNUSED_PAD src0_sel:DWORD src1_sel:BYTE_3
	s_waitcnt vmcnt(0)
	v_lshrrev_b32_e32 v37, v30, v37
	v_lshlrev_b32_e32 v37, 4, v37
	v_and_or_b32 v37, v37, 48, v59
	v_sub_u16_e32 v59, v38, v57
	v_sub_u16_sdwa v38, v38, v57 dst_sel:DWORD dst_unused:UNUSED_PAD src0_sel:WORD_1 src1_sel:WORD_1
	v_or_b32_sdwa v59, v59, v60 dst_sel:DWORD dst_unused:UNUSED_PAD src0_sel:BYTE_0 src1_sel:DWORD
	v_or_b32_sdwa v38, v38, v56 dst_sel:WORD_1 dst_unused:UNUSED_PAD src0_sel:BYTE_0 src1_sel:DWORD
	v_or_b32_sdwa v38, v59, v38 dst_sel:DWORD dst_unused:UNUSED_PAD src0_sel:WORD_0 src1_sel:DWORD
	v_subrev_u32_e32 v37, 32, v37
	v_dot4_i32_i8 v55, v38, v55, 0
	v_mul_lo_u32 v55, v37, v55
	v_cvt_f32_i32_e32 v55, v55
	v_fma_mix_f32 v54, v54, v55, v58 op_sel_hi:[1,0,0]
	v_fma_mix_f32 v21, v54, v36, v21 op_sel_hi:[0,1,0]
	v_add_u32_e32 v54, s1, v32
	v_mad_u64_u32 v[54:55], s[26:27], v54, 36, v[4:5]
	v_add_co_u32_e32 v56, vcc, v54, v35
	v_addc_co_u32_e32 v57, vcc, 0, v55, vcc
	global_load_dword v58, v[56:57], off offset:4
	global_load_dword v59, v[54:55], off
	global_load_dword v60, v[56:57], off offset:40
	global_load_dword v61, v[54:55], off offset:36
	global_load_dword v62, v[56:57], off offset:76
	global_load_dword v63, v[54:55], off offset:72
	global_load_dword v64, v[56:57], off offset:112
	global_load_dword v65, v[54:55], off offset:108
	s_waitcnt vmcnt(7)
	v_dot4_i32_i8 v54, v41, v58, 0
	v_mul_lo_u32 v54, v40, v54
	s_waitcnt vmcnt(5)
	v_dot4_i32_i8 v55, v43, v60, 0
	v_mul_lo_u32 v55, v42, v55
	v_cvt_f32_i32_e32 v54, v54
	v_cvt_f32_i32_e32 v55, v55
	v_fma_mix_f32 v54, v59, v54, 0 op_sel_hi:[1,0,0]
	s_waitcnt vmcnt(4)
	v_fma_mix_f32 v54, v61, v55, v54 op_sel_hi:[1,0,0]
	s_waitcnt vmcnt(3)
	v_dot4_i32_i8 v55, v46, v62, 0
	v_mul_lo_u32 v55, v44, v55
	v_cvt_f32_i32_e32 v55, v55
	s_waitcnt vmcnt(2)
	v_fma_mix_f32 v54, v63, v55, v54 op_sel_hi:[1,0,0]
	s_waitcnt vmcnt(1)
	v_dot4_i32_i8 v55, v49, v64, 0
	v_mul_lo_u32 v55, v47, v55
	v_cvt_f32_i32_e32 v55, v55
	s_waitcnt vmcnt(0)
	v_fma_mix_f32 v54, v65, v55, v54 op_sel_hi:[1,0,0]
	v_fma_mix_f32 v19, v54, v39, v19 op_sel_hi:[0,1,0]
	v_dot4_i32_i8 v54, v52, v58, 0
	v_mul_lo_u32 v54, v51, v54
	v_dot4_i32_i8 v55, v53, v60, 0
	v_mul_lo_u32 v55, v50, v55
	v_cvt_f32_i32_e32 v54, v54
	v_cvt_f32_i32_e32 v55, v55
	v_fma_mix_f32 v54, v59, v54, 0 op_sel_hi:[1,0,0]
	v_fma_mix_f32 v54, v61, v55, v54 op_sel_hi:[1,0,0]
	v_dot4_i32_i8 v55, v48, v62, 0
	v_mul_lo_u32 v55, v45, v55
	v_cvt_f32_i32_e32 v55, v55
	v_fma_mix_f32 v54, v63, v55, v54 op_sel_hi:[1,0,0]
	v_dot4_i32_i8 v55, v38, v64, 0
	v_mul_lo_u32 v55, v37, v55
	v_cvt_f32_i32_e32 v55, v55
	v_fma_mix_f32 v54, v65, v55, v54 op_sel_hi:[1,0,0]
	v_fma_mix_f32 v18, v54, v36, v18 op_sel_hi:[0,1,0]
	v_add_u32_e32 v54, s16, v32
	v_mad_u64_u32 v[54:55], s[26:27], v54, 36, v[4:5]
	v_add_co_u32_e32 v56, vcc, v54, v35
	v_addc_co_u32_e32 v57, vcc, 0, v55, vcc
	global_load_dword v58, v[56:57], off offset:4
	global_load_dword v59, v[54:55], off
	global_load_dword v60, v[56:57], off offset:40
	global_load_dword v61, v[54:55], off offset:36
	global_load_dword v62, v[56:57], off offset:76
	global_load_dword v63, v[54:55], off offset:72
	global_load_dword v64, v[56:57], off offset:112
	global_load_dword v65, v[54:55], off offset:108
	s_waitcnt vmcnt(7)
	v_dot4_i32_i8 v54, v41, v58, 0
	v_mul_lo_u32 v54, v40, v54
	s_waitcnt vmcnt(5)
	v_dot4_i32_i8 v55, v43, v60, 0
	v_mul_lo_u32 v55, v42, v55
	v_cvt_f32_i32_e32 v54, v54
	v_cvt_f32_i32_e32 v55, v55
	v_fma_mix_f32 v54, v59, v54, 0 op_sel_hi:[1,0,0]
	s_waitcnt vmcnt(4)
	v_fma_mix_f32 v54, v61, v55, v54 op_sel_hi:[1,0,0]
	s_waitcnt vmcnt(3)
	v_dot4_i32_i8 v55, v46, v62, 0
	v_mul_lo_u32 v55, v44, v55
	v_cvt_f32_i32_e32 v55, v55
	s_waitcnt vmcnt(2)
	v_fma_mix_f32 v54, v63, v55, v54 op_sel_hi:[1,0,0]
	s_waitcnt vmcnt(1)
	v_dot4_i32_i8 v55, v49, v64, 0
	v_mul_lo_u32 v55, v47, v55
	v_cvt_f32_i32_e32 v55, v55
	s_waitcnt vmcnt(0)
	v_fma_mix_f32 v54, v65, v55, v54 op_sel_hi:[1,0,0]
	v_fma_mix_f32 v17, v54, v39, v17 op_sel_hi:[0,1,0]
	v_dot4_i32_i8 v54, v52, v58, 0
	v_mul_lo_u32 v54, v51, v54
	v_dot4_i32_i8 v55, v53, v60, 0
	v_mul_lo_u32 v55, v50, v55
	v_cvt_f32_i32_e32 v54, v54
	v_cvt_f32_i32_e32 v55, v55
	v_fma_mix_f32 v54, v59, v54, 0 op_sel_hi:[1,0,0]
	v_fma_mix_f32 v54, v61, v55, v54 op_sel_hi:[1,0,0]
	v_dot4_i32_i8 v55, v48, v62, 0
	v_mul_lo_u32 v55, v45, v55
	v_cvt_f32_i32_e32 v55, v55
	v_fma_mix_f32 v54, v63, v55, v54 op_sel_hi:[1,0,0]
	;; [unrolled: 53-line block ×6, first 2 shown]
	v_dot4_i32_i8 v55, v38, v64, 0
	v_mul_lo_u32 v55, v37, v55
	v_cvt_f32_i32_e32 v55, v55
	v_fma_mix_f32 v54, v65, v55, v54 op_sel_hi:[1,0,0]
	v_fma_mix_f32 v9, v54, v36, v9 op_sel_hi:[0,1,0]
	v_add_u32_e32 v54, s15, v32
	v_mad_u64_u32 v[56:57], s[26:27], v54, 36, v[4:5]
	v_add_u32_e32 v32, 32, v32
	v_add_co_u32_e32 v58, vcc, v56, v35
	v_addc_co_u32_e32 v59, vcc, 0, v57, vcc
	global_load_dword v60, v[58:59], off offset:4
	global_load_dword v61, v[56:57], off
	global_load_dword v62, v[58:59], off offset:40
	global_load_dword v63, v[56:57], off offset:36
	;; [unrolled: 1-line block ×6, first 2 shown]
	v_add_co_u32_e32 v2, vcc, 0x480, v2
	v_addc_co_u32_e32 v3, vcc, 0, v3, vcc
	v_cmp_le_u32_e32 vcc, s9, v22
	s_or_b64 s[12:13], vcc, s[12:13]
	s_waitcnt vmcnt(7)
	v_dot4_i32_i8 v41, v41, v60, 0
	v_mul_lo_u32 v40, v40, v41
	s_waitcnt vmcnt(5)
	v_dot4_i32_i8 v41, v43, v62, 0
	v_mul_lo_u32 v41, v42, v41
	v_cvt_f32_i32_e32 v40, v40
	s_waitcnt vmcnt(1)
	v_dot4_i32_i8 v38, v38, v54, 0
	v_cvt_f32_i32_e32 v41, v41
	v_mul_lo_u32 v37, v37, v38
	v_fma_mix_f32 v40, v61, v40, 0 op_sel_hi:[1,0,0]
	v_fma_mix_f32 v40, v63, v41, v40 op_sel_hi:[1,0,0]
	v_dot4_i32_i8 v41, v46, v64, 0
	v_mul_lo_u32 v41, v44, v41
	v_cvt_f32_i32_e32 v37, v37
	v_cvt_f32_i32_e32 v41, v41
	v_fma_mix_f32 v40, v65, v41, v40 op_sel_hi:[1,0,0]
	v_dot4_i32_i8 v41, v49, v54, 0
	v_mul_lo_u32 v41, v47, v41
	v_cvt_f32_i32_e32 v41, v41
	s_waitcnt vmcnt(0)
	v_fma_mix_f32 v40, v55, v41, v40 op_sel_hi:[1,0,0]
	v_fma_mix_f32 v7, v40, v39, v7 op_sel_hi:[0,1,0]
	v_dot4_i32_i8 v39, v52, v60, 0
	v_mul_lo_u32 v39, v51, v39
	v_dot4_i32_i8 v40, v53, v62, 0
	v_mul_lo_u32 v40, v50, v40
	v_cvt_f32_i32_e32 v39, v39
	v_cvt_f32_i32_e32 v40, v40
	v_fma_mix_f32 v39, v61, v39, 0 op_sel_hi:[1,0,0]
	v_fma_mix_f32 v39, v63, v40, v39 op_sel_hi:[1,0,0]
	v_dot4_i32_i8 v40, v48, v64, 0
	v_mul_lo_u32 v40, v45, v40
	v_cvt_f32_i32_e32 v40, v40
	v_fma_mix_f32 v39, v65, v40, v39 op_sel_hi:[1,0,0]
	v_fma_mix_f32 v37, v55, v37, v39 op_sel_hi:[1,0,0]
	v_fma_mix_f32 v6, v37, v36, v6 op_sel_hi:[0,1,0]
	s_andn2_b64 exec, exec, s[12:13]
	s_cbranch_execnz .LBB119_2
; %bb.3:
	s_or_b64 exec, exec, s[12:13]
.LBB119_4:
	s_or_b64 exec, exec, s[10:11]
	s_mov_b32 s1, 0
	v_cmp_eq_u32_e32 vcc, 0, v1
	; wave barrier
	s_and_saveexec_b64 s[10:11], vcc
	s_cbranch_execz .LBB119_21
; %bb.5:
	v_mbcnt_lo_u32_b32 v1, -1, 0
	v_mbcnt_hi_u32_b32 v22, -1, v1
	v_and_b32_e32 v1, 64, v22
	v_add_u32_e32 v23, 64, v1
	v_xor_b32_e32 v1, 32, v22
	v_cmp_lt_i32_e32 vcc, v1, v23
	v_cndmask_b32_e32 v1, v22, v1, vcc
	v_lshlrev_b32_e32 v1, 2, v1
	ds_bpermute_b32 v5, v1, v20
	ds_bpermute_b32 v24, v1, v21
	v_xor_b32_e32 v2, 16, v22
	v_cmp_lt_i32_e32 vcc, v2, v23
	v_cndmask_b32_e32 v2, v22, v2, vcc
	v_lshlrev_b32_e32 v2, 2, v2
	s_waitcnt lgkmcnt(1)
	v_add_f32_e32 v5, v20, v5
	s_waitcnt lgkmcnt(0)
	v_add_f32_e32 v21, v21, v24
	ds_bpermute_b32 v20, v2, v5
	ds_bpermute_b32 v24, v2, v21
	v_xor_b32_e32 v3, 8, v22
	v_cmp_lt_i32_e32 vcc, v3, v23
	v_cndmask_b32_e32 v3, v22, v3, vcc
	v_lshlrev_b32_e32 v3, 2, v3
	s_waitcnt lgkmcnt(1)
	v_add_f32_e32 v20, v5, v20
	s_waitcnt lgkmcnt(0)
	v_add_f32_e32 v21, v21, v24
	;; [unrolled: 10-line block ×3, first 2 shown]
	ds_bpermute_b32 v26, v4, v20
	ds_bpermute_b32 v24, v4, v21
	v_xor_b32_e32 v25, 2, v22
	v_cmp_lt_i32_e32 vcc, v25, v23
	v_cndmask_b32_e32 v25, v22, v25, vcc
	v_lshlrev_b32_e32 v5, 2, v25
	v_xor_b32_e32 v25, 1, v22
	s_waitcnt lgkmcnt(1)
	v_add_f32_e32 v20, v20, v26
	s_waitcnt lgkmcnt(0)
	v_add_f32_e32 v21, v21, v24
	v_cmp_lt_i32_e32 vcc, v25, v23
	ds_bpermute_b32 v23, v5, v20
	ds_bpermute_b32 v24, v5, v21
	s_load_dwordx2 s[4:5], s[4:5], 0x38
	v_cndmask_b32_e32 v22, v22, v25, vcc
	s_mul_i32 s3, s14, s7
	v_lshlrev_b32_e32 v22, 2, v22
	s_waitcnt lgkmcnt(0)
	v_add_f32_e32 v20, v20, v23
	v_add_f32_e32 v21, v21, v24
	s_mul_i32 s0, s18, s8
	s_add_i32 s3, s3, s6
	ds_bpermute_b32 v23, v22, v20
	ds_bpermute_b32 v24, v22, v21
	s_add_i32 s0, s3, s0
	s_lshl_b64 s[0:1], s[0:1], 2
	s_add_u32 s4, s4, s0
	v_add_u32_e32 v25, s6, v0
	s_addc_u32 s5, s5, s1
	v_cmp_gt_u32_e32 vcc, 2, v0
	v_cmp_gt_u32_e64 s[0:1], s2, v25
	s_and_b64 s[0:1], vcc, s[0:1]
	s_waitcnt lgkmcnt(1)
	v_add_f32_e32 v20, v20, v23
	s_waitcnt lgkmcnt(0)
	v_add_f32_e32 v21, v21, v24
	s_and_saveexec_b64 s[6:7], s[0:1]
	s_cbranch_execz .LBB119_7
; %bb.6:
	v_cmp_eq_u32_e32 vcc, 1, v0
	v_cndmask_b32_e32 v23, v20, v21, vcc
	v_cmp_eq_u32_e32 vcc, 2, v0
	v_cndmask_b32_e32 v23, v23, v19, vcc
	;; [unrolled: 2-line block ×15, first 2 shown]
	v_lshlrev_b32_e32 v24, 2, v0
	global_store_dword v24, v23, s[4:5]
.LBB119_7:
	s_or_b64 exec, exec, s[6:7]
	ds_bpermute_b32 v23, v1, v19
	ds_bpermute_b32 v24, v1, v18
	s_waitcnt lgkmcnt(1)
	v_add_f32_e32 v19, v19, v23
	s_waitcnt lgkmcnt(0)
	v_add_f32_e32 v18, v18, v24
	ds_bpermute_b32 v23, v2, v19
	ds_bpermute_b32 v24, v2, v18
	s_waitcnt lgkmcnt(1)
	v_add_f32_e32 v19, v19, v23
	s_waitcnt lgkmcnt(0)
	v_add_f32_e32 v18, v18, v24
	;; [unrolled: 6-line block ×6, first 2 shown]
	s_and_saveexec_b64 s[6:7], s[0:1]
	s_cbranch_execz .LBB119_9
; %bb.8:
	v_add_u32_e32 v23, 2, v0
	v_cmp_eq_u32_e32 vcc, 1, v23
	v_cndmask_b32_e32 v24, v20, v21, vcc
	v_cmp_eq_u32_e32 vcc, 2, v23
	v_cndmask_b32_e32 v24, v24, v19, vcc
	;; [unrolled: 2-line block ×15, first 2 shown]
	v_add_u32_e32 v23, s2, v0
	v_mov_b32_e32 v24, 0
	v_lshlrev_b64 v[23:24], 2, v[23:24]
	v_mov_b32_e32 v26, s5
	v_add_co_u32_e32 v23, vcc, s4, v23
	v_addc_co_u32_e32 v24, vcc, v26, v24, vcc
	global_store_dword v[23:24], v25, off
.LBB119_9:
	s_or_b64 exec, exec, s[6:7]
	ds_bpermute_b32 v23, v1, v17
	ds_bpermute_b32 v24, v1, v16
	s_waitcnt lgkmcnt(1)
	v_add_f32_e32 v17, v17, v23
	s_waitcnt lgkmcnt(0)
	v_add_f32_e32 v16, v16, v24
	ds_bpermute_b32 v23, v2, v17
	ds_bpermute_b32 v24, v2, v16
	s_waitcnt lgkmcnt(1)
	v_add_f32_e32 v17, v17, v23
	s_waitcnt lgkmcnt(0)
	v_add_f32_e32 v16, v16, v24
	;; [unrolled: 6-line block ×6, first 2 shown]
	s_and_saveexec_b64 s[6:7], s[0:1]
	s_cbranch_execz .LBB119_11
; %bb.10:
	v_add_u32_e32 v23, 4, v0
	v_cmp_eq_u32_e32 vcc, 1, v23
	v_cndmask_b32_e32 v24, v20, v21, vcc
	v_cmp_eq_u32_e32 vcc, 2, v23
	v_cndmask_b32_e32 v24, v24, v19, vcc
	;; [unrolled: 2-line block ×15, first 2 shown]
	v_lshl_or_b32 v23, s2, 1, v0
	v_mov_b32_e32 v24, 0
	v_lshlrev_b64 v[23:24], 2, v[23:24]
	v_mov_b32_e32 v26, s5
	v_add_co_u32_e32 v23, vcc, s4, v23
	v_addc_co_u32_e32 v24, vcc, v26, v24, vcc
	global_store_dword v[23:24], v25, off
.LBB119_11:
	s_or_b64 exec, exec, s[6:7]
	ds_bpermute_b32 v23, v1, v15
	ds_bpermute_b32 v24, v1, v14
	s_waitcnt lgkmcnt(1)
	v_add_f32_e32 v15, v15, v23
	s_waitcnt lgkmcnt(0)
	v_add_f32_e32 v14, v14, v24
	ds_bpermute_b32 v23, v2, v15
	ds_bpermute_b32 v24, v2, v14
	s_waitcnt lgkmcnt(1)
	v_add_f32_e32 v15, v15, v23
	s_waitcnt lgkmcnt(0)
	v_add_f32_e32 v14, v14, v24
	;; [unrolled: 6-line block ×6, first 2 shown]
	s_and_saveexec_b64 s[6:7], s[0:1]
	s_cbranch_execz .LBB119_13
; %bb.12:
	v_add_u32_e32 v25, 6, v0
	v_cmp_eq_u32_e32 vcc, 1, v25
	v_cndmask_b32_e32 v23, v20, v21, vcc
	v_cmp_eq_u32_e32 vcc, 2, v25
	v_cndmask_b32_e32 v23, v23, v19, vcc
	;; [unrolled: 2-line block ×14, first 2 shown]
	v_mad_u64_u32 v[23:24], s[8:9], s2, 3, v[0:1]
	v_mov_b32_e32 v24, 0
	v_cmp_eq_u32_e32 vcc, 15, v25
	v_lshlrev_b64 v[23:24], 2, v[23:24]
	v_cndmask_b32_e32 v25, v26, v6, vcc
	v_mov_b32_e32 v26, s5
	v_add_co_u32_e32 v23, vcc, s4, v23
	v_addc_co_u32_e32 v24, vcc, v26, v24, vcc
	global_store_dword v[23:24], v25, off
.LBB119_13:
	s_or_b64 exec, exec, s[6:7]
	ds_bpermute_b32 v23, v1, v13
	ds_bpermute_b32 v24, v1, v12
	s_waitcnt lgkmcnt(1)
	v_add_f32_e32 v13, v13, v23
	s_waitcnt lgkmcnt(0)
	v_add_f32_e32 v12, v12, v24
	ds_bpermute_b32 v23, v2, v13
	ds_bpermute_b32 v24, v2, v12
	s_waitcnt lgkmcnt(1)
	v_add_f32_e32 v13, v13, v23
	s_waitcnt lgkmcnt(0)
	v_add_f32_e32 v12, v12, v24
	;; [unrolled: 6-line block ×6, first 2 shown]
	s_and_saveexec_b64 s[6:7], s[0:1]
	s_cbranch_execz .LBB119_15
; %bb.14:
	v_add_u32_e32 v23, 8, v0
	v_cmp_eq_u32_e32 vcc, 1, v23
	v_cndmask_b32_e32 v24, v20, v21, vcc
	v_cmp_eq_u32_e32 vcc, 2, v23
	v_cndmask_b32_e32 v24, v24, v19, vcc
	;; [unrolled: 2-line block ×15, first 2 shown]
	v_lshl_or_b32 v23, s2, 2, v0
	v_mov_b32_e32 v24, 0
	v_lshlrev_b64 v[23:24], 2, v[23:24]
	v_mov_b32_e32 v26, s5
	v_add_co_u32_e32 v23, vcc, s4, v23
	v_addc_co_u32_e32 v24, vcc, v26, v24, vcc
	global_store_dword v[23:24], v25, off
.LBB119_15:
	s_or_b64 exec, exec, s[6:7]
	ds_bpermute_b32 v23, v1, v11
	ds_bpermute_b32 v24, v1, v10
	s_waitcnt lgkmcnt(1)
	v_add_f32_e32 v11, v11, v23
	s_waitcnt lgkmcnt(0)
	v_add_f32_e32 v10, v10, v24
	ds_bpermute_b32 v23, v2, v11
	ds_bpermute_b32 v24, v2, v10
	s_waitcnt lgkmcnt(1)
	v_add_f32_e32 v11, v11, v23
	s_waitcnt lgkmcnt(0)
	v_add_f32_e32 v10, v10, v24
	ds_bpermute_b32 v23, v3, v11
	ds_bpermute_b32 v24, v3, v10
	s_waitcnt lgkmcnt(1)
	v_add_f32_e32 v11, v11, v23
	s_waitcnt lgkmcnt(0)
	v_add_f32_e32 v10, v10, v24
	ds_bpermute_b32 v23, v4, v11
	ds_bpermute_b32 v24, v4, v10
	s_waitcnt lgkmcnt(1)
	v_add_f32_e32 v11, v11, v23
	s_waitcnt lgkmcnt(0)
	v_add_f32_e32 v10, v10, v24
	ds_bpermute_b32 v23, v5, v11
	ds_bpermute_b32 v24, v5, v10
	s_waitcnt lgkmcnt(1)
	v_add_f32_e32 v11, v11, v23
	s_waitcnt lgkmcnt(0)
	v_add_f32_e32 v10, v10, v24
	ds_bpermute_b32 v23, v22, v11
	ds_bpermute_b32 v24, v22, v10
	s_waitcnt lgkmcnt(1)
	v_add_f32_e32 v11, v11, v23
	s_waitcnt lgkmcnt(0)
	v_add_f32_e32 v10, v10, v24
	s_and_saveexec_b64 s[6:7], s[0:1]
	s_cbranch_execz .LBB119_17
; %bb.16:
	v_add_u32_e32 v25, 10, v0
	v_cmp_eq_u32_e32 vcc, 1, v25
	v_cndmask_b32_e32 v23, v20, v21, vcc
	v_cmp_eq_u32_e32 vcc, 2, v25
	v_cndmask_b32_e32 v23, v23, v19, vcc
	v_cmp_eq_u32_e32 vcc, 3, v25
	v_cndmask_b32_e32 v23, v23, v18, vcc
	v_cmp_eq_u32_e32 vcc, 4, v25
	v_cndmask_b32_e32 v23, v23, v17, vcc
	v_cmp_eq_u32_e32 vcc, 5, v25
	v_cndmask_b32_e32 v23, v23, v16, vcc
	v_cmp_eq_u32_e32 vcc, 6, v25
	v_cndmask_b32_e32 v23, v23, v15, vcc
	v_cmp_eq_u32_e32 vcc, 7, v25
	v_cndmask_b32_e32 v23, v23, v14, vcc
	v_cmp_eq_u32_e32 vcc, 8, v25
	v_cndmask_b32_e32 v23, v23, v13, vcc
	v_cmp_eq_u32_e32 vcc, 9, v25
	v_cndmask_b32_e32 v23, v23, v12, vcc
	v_cmp_eq_u32_e32 vcc, 10, v25
	v_cndmask_b32_e32 v23, v23, v11, vcc
	v_cmp_eq_u32_e32 vcc, 11, v25
	v_cndmask_b32_e32 v23, v23, v10, vcc
	v_cmp_eq_u32_e32 vcc, 12, v25
	v_cndmask_b32_e32 v23, v23, v8, vcc
	v_cmp_eq_u32_e32 vcc, 13, v25
	v_cndmask_b32_e32 v23, v23, v9, vcc
	v_cmp_eq_u32_e32 vcc, 14, v25
	v_cndmask_b32_e32 v26, v23, v7, vcc
	v_mad_u64_u32 v[23:24], s[8:9], s2, 5, v[0:1]
	v_mov_b32_e32 v24, 0
	v_cmp_eq_u32_e32 vcc, 15, v25
	v_lshlrev_b64 v[23:24], 2, v[23:24]
	v_cndmask_b32_e32 v25, v26, v6, vcc
	v_mov_b32_e32 v26, s5
	v_add_co_u32_e32 v23, vcc, s4, v23
	v_addc_co_u32_e32 v24, vcc, v26, v24, vcc
	global_store_dword v[23:24], v25, off
.LBB119_17:
	s_or_b64 exec, exec, s[6:7]
	ds_bpermute_b32 v23, v1, v8
	ds_bpermute_b32 v24, v1, v9
	s_waitcnt lgkmcnt(1)
	v_add_f32_e32 v8, v8, v23
	s_waitcnt lgkmcnt(0)
	v_add_f32_e32 v9, v9, v24
	ds_bpermute_b32 v23, v2, v8
	ds_bpermute_b32 v24, v2, v9
	s_waitcnt lgkmcnt(1)
	v_add_f32_e32 v8, v8, v23
	s_waitcnt lgkmcnt(0)
	v_add_f32_e32 v9, v9, v24
	;; [unrolled: 6-line block ×6, first 2 shown]
	s_and_saveexec_b64 s[6:7], s[0:1]
	s_cbranch_execz .LBB119_19
; %bb.18:
	v_add_u32_e32 v23, 12, v0
	v_cmp_eq_u32_e32 vcc, 1, v23
	v_cndmask_b32_e32 v24, v20, v21, vcc
	v_cmp_eq_u32_e32 vcc, 2, v23
	v_cndmask_b32_e32 v24, v24, v19, vcc
	v_cmp_eq_u32_e32 vcc, 3, v23
	v_cndmask_b32_e32 v24, v24, v18, vcc
	v_cmp_eq_u32_e32 vcc, 4, v23
	v_cndmask_b32_e32 v24, v24, v17, vcc
	v_cmp_eq_u32_e32 vcc, 5, v23
	v_cndmask_b32_e32 v24, v24, v16, vcc
	v_cmp_eq_u32_e32 vcc, 6, v23
	v_cndmask_b32_e32 v24, v24, v15, vcc
	v_cmp_eq_u32_e32 vcc, 7, v23
	v_cndmask_b32_e32 v24, v24, v14, vcc
	v_cmp_eq_u32_e32 vcc, 8, v23
	v_cndmask_b32_e32 v24, v24, v13, vcc
	v_cmp_eq_u32_e32 vcc, 9, v23
	v_cndmask_b32_e32 v24, v24, v12, vcc
	v_cmp_eq_u32_e32 vcc, 10, v23
	v_cndmask_b32_e32 v24, v24, v11, vcc
	v_cmp_eq_u32_e32 vcc, 11, v23
	v_cndmask_b32_e32 v24, v24, v10, vcc
	v_cmp_eq_u32_e32 vcc, 12, v23
	v_cndmask_b32_e32 v24, v24, v9, vcc
	v_cmp_eq_u32_e32 vcc, 13, v23
	v_cndmask_b32_e32 v24, v24, v8, vcc
	v_cmp_eq_u32_e32 vcc, 14, v23
	v_cndmask_b32_e32 v24, v24, v7, vcc
	v_cmp_eq_u32_e32 vcc, 15, v23
	s_mul_i32 s3, s2, 6
	v_cndmask_b32_e32 v25, v24, v6, vcc
	v_or_b32_e32 v23, s3, v0
	v_mov_b32_e32 v24, 0
	v_lshlrev_b64 v[23:24], 2, v[23:24]
	v_mov_b32_e32 v26, s5
	v_add_co_u32_e32 v23, vcc, s4, v23
	v_addc_co_u32_e32 v24, vcc, v26, v24, vcc
	global_store_dword v[23:24], v25, off
.LBB119_19:
	s_or_b64 exec, exec, s[6:7]
	ds_bpermute_b32 v23, v1, v7
	ds_bpermute_b32 v1, v1, v6
	s_waitcnt lgkmcnt(1)
	v_add_f32_e32 v7, v7, v23
	s_waitcnt lgkmcnt(0)
	v_add_f32_e32 v1, v6, v1
	ds_bpermute_b32 v6, v2, v7
	ds_bpermute_b32 v2, v2, v1
	s_waitcnt lgkmcnt(1)
	v_add_f32_e32 v6, v7, v6
	s_waitcnt lgkmcnt(0)
	v_add_f32_e32 v1, v1, v2
	;; [unrolled: 6-line block ×5, first 2 shown]
	ds_bpermute_b32 v3, v22, v1
	ds_bpermute_b32 v4, v22, v2
	s_and_b64 exec, exec, s[0:1]
	s_cbranch_execz .LBB119_21
; %bb.20:
	s_waitcnt lgkmcnt(1)
	v_add_f32_e32 v1, v1, v3
	v_add_u32_e32 v3, 14, v0
	v_cmp_eq_u32_e32 vcc, 1, v3
	s_waitcnt lgkmcnt(0)
	v_add_f32_e32 v2, v2, v4
	v_cndmask_b32_e32 v4, v20, v21, vcc
	v_cmp_eq_u32_e32 vcc, 2, v3
	v_cndmask_b32_e32 v4, v4, v19, vcc
	v_cmp_eq_u32_e32 vcc, 3, v3
	;; [unrolled: 2-line block ×13, first 2 shown]
	v_cndmask_b32_e32 v4, v4, v1, vcc
	v_mad_u64_u32 v[0:1], s[0:1], s2, 7, v[0:1]
	v_mov_b32_e32 v1, 0
	v_cmp_eq_u32_e32 vcc, 15, v3
	v_lshlrev_b64 v[0:1], 2, v[0:1]
	v_cndmask_b32_e32 v2, v4, v2, vcc
	v_mov_b32_e32 v3, s5
	v_add_co_u32_e32 v0, vcc, s4, v0
	v_addc_co_u32_e32 v1, vcc, v3, v1, vcc
	global_store_dword v[0:1], v2, off
.LBB119_21:
	s_endpgm
	.section	.rodata,"a",@progbits
	.p2align	6, 0x0
	.amdhsa_kernel _ZL13mul_mat_vec_qIL9ggml_type11ELi8ELb0ELb0EEvPKvS2_PKi31ggml_cuda_mm_fusion_args_devicePfj15HIP_vector_typeIjLj3EEjjjS8_jjjS8_jjjj
		.amdhsa_group_segment_fixed_size 0
		.amdhsa_private_segment_fixed_size 0
		.amdhsa_kernarg_size 144
		.amdhsa_user_sgpr_count 6
		.amdhsa_user_sgpr_private_segment_buffer 1
		.amdhsa_user_sgpr_dispatch_ptr 0
		.amdhsa_user_sgpr_queue_ptr 0
		.amdhsa_user_sgpr_kernarg_segment_ptr 1
		.amdhsa_user_sgpr_dispatch_id 0
		.amdhsa_user_sgpr_flat_scratch_init 0
		.amdhsa_user_sgpr_private_segment_size 0
		.amdhsa_uses_dynamic_stack 0
		.amdhsa_system_sgpr_private_segment_wavefront_offset 0
		.amdhsa_system_sgpr_workgroup_id_x 1
		.amdhsa_system_sgpr_workgroup_id_y 1
		.amdhsa_system_sgpr_workgroup_id_z 1
		.amdhsa_system_sgpr_workgroup_info 0
		.amdhsa_system_vgpr_workitem_id 1
		.amdhsa_next_free_vgpr 67
		.amdhsa_next_free_sgpr 28
		.amdhsa_reserve_vcc 1
		.amdhsa_reserve_flat_scratch 0
		.amdhsa_float_round_mode_32 0
		.amdhsa_float_round_mode_16_64 0
		.amdhsa_float_denorm_mode_32 3
		.amdhsa_float_denorm_mode_16_64 3
		.amdhsa_dx10_clamp 1
		.amdhsa_ieee_mode 1
		.amdhsa_fp16_overflow 0
		.amdhsa_exception_fp_ieee_invalid_op 0
		.amdhsa_exception_fp_denorm_src 0
		.amdhsa_exception_fp_ieee_div_zero 0
		.amdhsa_exception_fp_ieee_overflow 0
		.amdhsa_exception_fp_ieee_underflow 0
		.amdhsa_exception_fp_ieee_inexact 0
		.amdhsa_exception_int_div_zero 0
	.end_amdhsa_kernel
	.section	.text._ZL13mul_mat_vec_qIL9ggml_type11ELi8ELb0ELb0EEvPKvS2_PKi31ggml_cuda_mm_fusion_args_devicePfj15HIP_vector_typeIjLj3EEjjjS8_jjjS8_jjjj,"axG",@progbits,_ZL13mul_mat_vec_qIL9ggml_type11ELi8ELb0ELb0EEvPKvS2_PKi31ggml_cuda_mm_fusion_args_devicePfj15HIP_vector_typeIjLj3EEjjjS8_jjjS8_jjjj,comdat
.Lfunc_end119:
	.size	_ZL13mul_mat_vec_qIL9ggml_type11ELi8ELb0ELb0EEvPKvS2_PKi31ggml_cuda_mm_fusion_args_devicePfj15HIP_vector_typeIjLj3EEjjjS8_jjjS8_jjjj, .Lfunc_end119-_ZL13mul_mat_vec_qIL9ggml_type11ELi8ELb0ELb0EEvPKvS2_PKi31ggml_cuda_mm_fusion_args_devicePfj15HIP_vector_typeIjLj3EEjjjS8_jjjS8_jjjj
                                        ; -- End function
	.set _ZL13mul_mat_vec_qIL9ggml_type11ELi8ELb0ELb0EEvPKvS2_PKi31ggml_cuda_mm_fusion_args_devicePfj15HIP_vector_typeIjLj3EEjjjS8_jjjS8_jjjj.num_vgpr, 67
	.set _ZL13mul_mat_vec_qIL9ggml_type11ELi8ELb0ELb0EEvPKvS2_PKi31ggml_cuda_mm_fusion_args_devicePfj15HIP_vector_typeIjLj3EEjjjS8_jjjS8_jjjj.num_agpr, 0
	.set _ZL13mul_mat_vec_qIL9ggml_type11ELi8ELb0ELb0EEvPKvS2_PKi31ggml_cuda_mm_fusion_args_devicePfj15HIP_vector_typeIjLj3EEjjjS8_jjjS8_jjjj.numbered_sgpr, 28
	.set _ZL13mul_mat_vec_qIL9ggml_type11ELi8ELb0ELb0EEvPKvS2_PKi31ggml_cuda_mm_fusion_args_devicePfj15HIP_vector_typeIjLj3EEjjjS8_jjjS8_jjjj.num_named_barrier, 0
	.set _ZL13mul_mat_vec_qIL9ggml_type11ELi8ELb0ELb0EEvPKvS2_PKi31ggml_cuda_mm_fusion_args_devicePfj15HIP_vector_typeIjLj3EEjjjS8_jjjS8_jjjj.private_seg_size, 0
	.set _ZL13mul_mat_vec_qIL9ggml_type11ELi8ELb0ELb0EEvPKvS2_PKi31ggml_cuda_mm_fusion_args_devicePfj15HIP_vector_typeIjLj3EEjjjS8_jjjS8_jjjj.uses_vcc, 1
	.set _ZL13mul_mat_vec_qIL9ggml_type11ELi8ELb0ELb0EEvPKvS2_PKi31ggml_cuda_mm_fusion_args_devicePfj15HIP_vector_typeIjLj3EEjjjS8_jjjS8_jjjj.uses_flat_scratch, 0
	.set _ZL13mul_mat_vec_qIL9ggml_type11ELi8ELb0ELb0EEvPKvS2_PKi31ggml_cuda_mm_fusion_args_devicePfj15HIP_vector_typeIjLj3EEjjjS8_jjjS8_jjjj.has_dyn_sized_stack, 0
	.set _ZL13mul_mat_vec_qIL9ggml_type11ELi8ELb0ELb0EEvPKvS2_PKi31ggml_cuda_mm_fusion_args_devicePfj15HIP_vector_typeIjLj3EEjjjS8_jjjS8_jjjj.has_recursion, 0
	.set _ZL13mul_mat_vec_qIL9ggml_type11ELi8ELb0ELb0EEvPKvS2_PKi31ggml_cuda_mm_fusion_args_devicePfj15HIP_vector_typeIjLj3EEjjjS8_jjjS8_jjjj.has_indirect_call, 0
	.section	.AMDGPU.csdata,"",@progbits
; Kernel info:
; codeLenInByte = 7660
; TotalNumSgprs: 32
; NumVgprs: 67
; ScratchSize: 0
; MemoryBound: 0
; FloatMode: 240
; IeeeMode: 1
; LDSByteSize: 0 bytes/workgroup (compile time only)
; SGPRBlocks: 3
; VGPRBlocks: 16
; NumSGPRsForWavesPerEU: 32
; NumVGPRsForWavesPerEU: 67
; Occupancy: 3
; WaveLimiterHint : 0
; COMPUTE_PGM_RSRC2:SCRATCH_EN: 0
; COMPUTE_PGM_RSRC2:USER_SGPR: 6
; COMPUTE_PGM_RSRC2:TRAP_HANDLER: 0
; COMPUTE_PGM_RSRC2:TGID_X_EN: 1
; COMPUTE_PGM_RSRC2:TGID_Y_EN: 1
; COMPUTE_PGM_RSRC2:TGID_Z_EN: 1
; COMPUTE_PGM_RSRC2:TIDIG_COMP_CNT: 1
	.section	.text._ZL17mul_mat_vec_q_moeIL9ggml_type12ELi2EEvPKvS2_PKiPfj15HIP_vector_typeIjLj3EEjjjjjjjjj,"axG",@progbits,_ZL17mul_mat_vec_q_moeIL9ggml_type12ELi2EEvPKvS2_PKiPfj15HIP_vector_typeIjLj3EEjjjjjjjjj,comdat
	.globl	_ZL17mul_mat_vec_q_moeIL9ggml_type12ELi2EEvPKvS2_PKiPfj15HIP_vector_typeIjLj3EEjjjjjjjjj ; -- Begin function _ZL17mul_mat_vec_q_moeIL9ggml_type12ELi2EEvPKvS2_PKiPfj15HIP_vector_typeIjLj3EEjjjjjjjjj
	.p2align	8
	.type	_ZL17mul_mat_vec_q_moeIL9ggml_type12ELi2EEvPKvS2_PKiPfj15HIP_vector_typeIjLj3EEjjjjjjjjj,@function
_ZL17mul_mat_vec_q_moeIL9ggml_type12ELi2EEvPKvS2_PKiPfj15HIP_vector_typeIjLj3EEjjjjjjjjj: ; @_ZL17mul_mat_vec_q_moeIL9ggml_type12ELi2EEvPKvS2_PKiPfj15HIP_vector_typeIjLj3EEjjjjjjjjj
; %bb.0:
	s_load_dwordx8 s[8:15], s[4:5], 0x30
	s_waitcnt lgkmcnt(0)
	v_cmp_gt_u32_e32 vcc, s15, v1
	s_and_saveexec_b64 s[0:1], vcc
	s_cbranch_execz .LBB120_15
; %bb.1:
	s_load_dword s1, s[4:5], 0x20
	s_load_dword s0, s[4:5], 0x50
	s_load_dwordx8 s[16:23], s[4:5], 0x0
	v_lshrrev_b32_e32 v10, 4, v0
	s_lshl_b32 s6, s6, 1
	s_waitcnt lgkmcnt(0)
	s_lshr_b32 s15, s1, 8
	v_cmp_gt_u32_e32 vcc, s15, v10
	v_mov_b32_e32 v2, 0
	v_mov_b32_e32 v3, 0
	s_and_saveexec_b64 s[28:29], vcc
	s_cbranch_execz .LBB120_13
; %bb.2:
	v_mul_lo_u32 v2, s0, v1
	v_mov_b32_e32 v3, 0
	v_mov_b32_e32 v6, s21
	s_load_dwordx4 s[24:27], s[4:5], 0x24
	v_add_u32_e32 v2, s7, v2
	v_lshlrev_b64 v[4:5], 2, v[2:3]
	v_bfe_u32 v8, v0, 2, 2
	v_add_co_u32_e32 v4, vcc, s20, v4
	v_addc_co_u32_e32 v5, vcc, v6, v5, vcc
	global_load_dword v2, v[4:5], off
	v_lshlrev_b32_e32 v4, 1, v0
	v_and_b32_e32 v5, 3, v0
	v_lshrrev_b32_e32 v7, 4, v0
	s_movk_i32 s2, 0x120
	v_and_b32_e32 v9, 30, v4
	v_bfe_u32 v11, v4, 3, 2
	v_lshlrev_b32_e32 v12, 2, v5
	v_mul_hi_u32_u24_e32 v5, 0x48, v8
	v_mul_u32_u24_e32 v4, 0x48, v8
	v_mul_lo_u32 v6, s10, v1
	v_mad_u64_u32 v[4:5], s[2:3], v7, s2, v[4:5]
	s_waitcnt lgkmcnt(0)
	s_mul_hi_u32 s2, s24, s7
	s_add_i32 s24, s7, s2
	v_mad_u64_u32 v[4:5], s[2:3], v6, 36, v[4:5]
	s_lshr_b32 s2, s24, s25
	s_mul_i32 s2, s2, s26
	s_sub_i32 s2, s7, s2
	s_mul_i32 s2, s2, s13
	s_add_i32 s0, s6, 1
	s_mul_hi_u32 s3, s2, 36
	s_mul_i32 s2, s2, 36
	s_add_u32 s2, s18, s2
	s_addc_u32 s3, s19, s3
	v_mov_b32_e32 v6, s3
	v_add_co_u32_e32 v4, vcc, s2, v4
	v_addc_co_u32_e32 v5, vcc, v6, v5, vcc
	s_mul_i32 s33, s6, s9
	s_mul_i32 s9, s9, s0
	v_add_co_u32_e32 v4, vcc, 36, v4
	s_mov_b64 s[4:5], 0
	s_movk_i32 s10, 0x90
	s_mov_b32 s20, 0x5040100
	s_mov_b32 s21, 0x20004
	;; [unrolled: 1-line block ×5, first 2 shown]
	v_lshlrev_b32_e32 v13, 5, v11
	v_cmp_lt_u32_e64 s[0:1], 15, v9
	v_addc_co_u32_e32 v5, vcc, 0, v5, vcc
	s_waitcnt vmcnt(0)
	v_mul_lo_u32 v2, v2, s12
	v_add_u32_e32 v14, s33, v2
	v_add_u32_e32 v15, s9, v2
	v_mov_b32_e32 v2, v3
	s_branch .LBB120_4
.LBB120_3:                              ;   in Loop: Header=BB120_4 Depth=1
	s_or_b64 exec, exec, s[2:3]
	global_load_dword v6, v[6:7], off
	s_waitcnt vmcnt(5)
	v_and_b32_e32 v7, 0xf0f0f0f, v24
	s_waitcnt vmcnt(2)
	v_and_b32_e32 v9, 0xf0f0f0f, v27
	v_lshrrev_b32_e32 v24, 4, v24
	v_and_b32_e32 v8, 0xf0f0f0f, v25
	s_waitcnt vmcnt(1)
	v_and_b32_e32 v30, 0xf0f0f0f, v26
	v_lshrrev_b32_e32 v25, 4, v25
	v_lshrrev_b32_e32 v27, 4, v27
	v_dot4_i32_i8 v7, v7, v21, 0
	v_dot4_i32_i8 v9, v9, v21, 0
	v_and_b32_e32 v24, 0xf0f0f0f, v24
	v_dot4_i32_i8 v31, s30, v21, 0
	v_lshrrev_b32_e32 v26, 4, v26
	v_and_b32_e32 v33, 0xff, v23
	v_dot4_i32_i8 v7, v8, v20, v7
	v_lshrrev_b16_e32 v8, 8, v23
	v_dot4_i32_i8 v9, v30, v20, v9
	v_lshrrev_b32_e32 v30, 24, v23
	v_bfe_u32 v23, v23, 16, 8
	v_and_b32_e32 v27, 0xf0f0f0f, v27
	v_dot4_i32_i8 v24, v24, v19, 0
	v_and_b32_e32 v25, 0xf0f0f0f, v25
	v_dot4_i32_i8 v32, s30, v19, 0
	v_dot4_i32_i8 v20, s30, v20, v31
	;; [unrolled: 1-line block ×3, first 2 shown]
	v_and_b32_e32 v26, 0xf0f0f0f, v26
	v_dot4_i32_i8 v24, v25, v18, v24
	v_mul_lo_u32 v7, v7, v23
	v_dot4_i32_i8 v32, s30, v18, v32
	v_mul_lo_u32 v33, v20, v33
	;; [unrolled: 2-line block ×3, first 2 shown]
	v_and_b32_sdwa v21, s31, v29 dst_sel:DWORD dst_unused:UNUSED_PAD src0_sel:DWORD src1_sel:BYTE_0
	v_mul_lo_u32 v8, v32, v8
	v_lshrrev_b16_e32 v29, 8, v29
	v_and_b32_sdwa v31, s31, v28 dst_sel:DWORD dst_unused:UNUSED_PAD src0_sel:DWORD src1_sel:BYTE_0
	v_mul_lo_u32 v20, v20, v21
	v_lshrrev_b16_e32 v28, 8, v28
	v_mul_lo_u32 v21, v32, v29
	v_mul_lo_u32 v9, v9, v31
	v_cvt_f32_i32_e32 v7, v7
	v_mul_lo_u32 v18, v18, v28
	v_cvt_f32_i32_e32 v23, v33
	v_cvt_f32_i32_e32 v19, v19
	;; [unrolled: 1-line block ×3, first 2 shown]
	v_cvt_f32_f16_sdwa v27, v22 dst_sel:DWORD dst_unused:UNUSED_PAD src0_sel:WORD_1
	v_cvt_f32_i32_e32 v20, v20
	v_cvt_f32_i32_e32 v21, v21
	;; [unrolled: 1-line block ×3, first 2 shown]
	v_fma_mix_f32 v7, v16, v7, 0 op_sel_hi:[1,0,0]
	v_cvt_f32_i32_e32 v18, v18
	v_fma_mix_f32 v23, v16, v23, 0 op_sel_hi:[1,0,0]
	v_fma_mix_f32 v7, v17, v19, v7 op_sel_hi:[1,0,0]
	;; [unrolled: 1-line block ×4, first 2 shown]
	v_mul_f32_e32 v8, v8, v27
	v_fma_mix_f32 v9, v16, v9, 0 op_sel_hi:[1,0,0]
	v_fma_mix_f32 v16, v17, v21, v20 op_sel_hi:[1,0,0]
	v_fma_mix_f32 v7, v7, v22, -v8 op_sel_hi:[0,1,0]
	v_add_u32_e32 v10, 4, v10
	v_fma_mix_f32 v9, v17, v18, v9 op_sel_hi:[1,0,0]
	v_add_f32_e32 v3, v3, v7
	v_add_co_u32_e32 v4, vcc, 0x480, v4
	v_cmp_le_u32_e64 s[2:3], s15, v10
	s_or_b64 s[4:5], s[2:3], s[4:5]
	v_addc_co_u32_e32 v5, vcc, 0, v5, vcc
	s_waitcnt vmcnt(0)
	v_cvt_f32_f16_sdwa v19, v6 dst_sel:DWORD dst_unused:UNUSED_PAD src0_sel:WORD_1
	v_mul_f32_e32 v7, v16, v19
	v_fma_mix_f32 v6, v9, v6, -v7 op_sel_hi:[0,1,0]
	v_add_f32_e32 v2, v2, v6
	s_andn2_b64 exec, exec, s[4:5]
	s_cbranch_execz .LBB120_12
.LBB120_4:                              ; =>This Inner Loop Header: Depth=1
	v_mov_b32_e32 v8, s16
	v_add_u32_e32 v18, v14, v10
	v_mov_b32_e32 v9, s17
	v_mad_i64_i32 v[8:9], s[2:3], v18, s10, v[8:9]
	v_add_co_u32_e32 v6, vcc, v4, v12
	v_addc_co_u32_e32 v7, vcc, 0, v5, vcc
	global_load_dword v16, v[4:5], off offset:-36
	global_load_dword v17, v[4:5], off
	global_load_dword v21, v[6:7], off offset:-32
	global_load_dword v20, v[6:7], off offset:-16
	global_load_dword v19, v[6:7], off offset:4
	global_load_dword v18, v[6:7], off offset:20
	v_add_co_u32_e32 v6, vcc, v8, v13
	v_addc_co_u32_e32 v7, vcc, 0, v9, vcc
	v_add_co_u32_e32 v6, vcc, v6, v12
	v_addc_co_u32_e32 v7, vcc, 0, v7, vcc
	global_load_dword v24, v[6:7], off offset:16
	global_load_dword v25, v[6:7], off offset:32
	v_lshlrev_b32_e32 v28, 1, v11
	v_add_co_u32_e32 v6, vcc, v8, v28
	v_addc_co_u32_e32 v7, vcc, 0, v9, vcc
                                        ; implicit-def: $vgpr23
	s_and_saveexec_b64 s[2:3], s[0:1]
	s_xor_b64 s[2:3], exec, s[2:3]
	s_cbranch_execz .LBB120_6
; %bb.5:                                ;   in Loop: Header=BB120_4 Depth=1
	global_load_ushort v22, v[6:7], off
	global_load_ushort v23, v[6:7], off offset:8
	global_load_ushort v26, v[6:7], off offset:4
	s_waitcnt vmcnt(1)
	v_perm_b32 v6, v22, v23, s20
	s_waitcnt vmcnt(0)
	v_perm_b32 v7, v23, v26, s20
	v_pk_lshrrev_b16 v7, 2, v7
	v_pk_lshrrev_b16 v6, s21, v6
	v_and_b32_e32 v7, 0xf0f3030, v7
	v_and_or_b32 v23, v6, s27, v7
                                        ; implicit-def: $vgpr6_vgpr7
.LBB120_6:                              ;   in Loop: Header=BB120_4 Depth=1
	s_andn2_saveexec_b64 s[2:3], s[2:3]
	s_cbranch_execz .LBB120_8
; %bb.7:                                ;   in Loop: Header=BB120_4 Depth=1
	global_load_ushort v22, v[6:7], off offset:4
	global_load_ushort v23, v[6:7], off offset:8
	s_waitcnt vmcnt(0)
	v_perm_b32 v6, v22, v23, s20
	v_and_b32_e32 v23, 0x3f3f3f3f, v6
.LBB120_8:                              ;   in Loop: Header=BB120_4 Depth=1
	s_or_b64 exec, exec, s[2:3]
	v_mov_b32_e32 v6, s16
	v_add_u32_e32 v22, v15, v10
	v_mov_b32_e32 v7, s17
	v_mad_i64_i32 v[6:7], s[2:3], v22, s10, v[6:7]
	v_add_co_u32_e32 v22, vcc, v6, v13
	v_addc_co_u32_e32 v26, vcc, 0, v7, vcc
	v_add_co_u32_e32 v29, vcc, v22, v12
	v_addc_co_u32_e32 v30, vcc, 0, v26, vcc
	global_load_dword v22, v[8:9], off
	global_load_dword v27, v[29:30], off offset:16
	global_load_dword v26, v[29:30], off offset:32
	v_add_co_u32_e32 v8, vcc, v6, v28
	v_addc_co_u32_e32 v9, vcc, 0, v7, vcc
                                        ; implicit-def: $vgpr28
                                        ; implicit-def: $vgpr29
	s_and_saveexec_b64 s[2:3], s[0:1]
	s_xor_b64 s[2:3], exec, s[2:3]
	s_cbranch_execz .LBB120_10
; %bb.9:                                ;   in Loop: Header=BB120_4 Depth=1
	global_load_ushort v28, v[8:9], off offset:8
	global_load_ushort v29, v[8:9], off
	global_load_ushort v30, v[8:9], off offset:4
	s_waitcnt vmcnt(2)
	v_and_b32_e32 v8, 0xf0f, v28
	s_waitcnt vmcnt(1)
	v_lshrrev_b16_e32 v9, 2, v29
	v_lshrrev_b16_e32 v28, 4, v28
	s_waitcnt vmcnt(0)
	v_lshrrev_b16_e32 v29, 2, v30
	v_and_b32_e32 v9, 0x3030, v9
	v_and_b32_e32 v30, 0xf0f, v28
	;; [unrolled: 1-line block ×3, first 2 shown]
	v_or_b32_e32 v28, v9, v8
	v_or_b32_e32 v29, v29, v30
                                        ; implicit-def: $vgpr8_vgpr9
.LBB120_10:                             ;   in Loop: Header=BB120_4 Depth=1
	s_andn2_saveexec_b64 s[2:3], s[2:3]
	s_cbranch_execz .LBB120_3
; %bb.11:                               ;   in Loop: Header=BB120_4 Depth=1
	global_load_ushort v28, v[8:9], off offset:4
	global_load_ushort v29, v[8:9], off offset:8
	s_waitcnt vmcnt(1)
	v_and_b32_e32 v28, 0x3f3f, v28
	s_waitcnt vmcnt(0)
	v_and_b32_e32 v29, 0x3f3f, v29
	s_branch .LBB120_3
.LBB120_12:
	s_or_b64 exec, exec, s[4:5]
.LBB120_13:
	s_or_b64 exec, exec, s[28:29]
	v_mbcnt_lo_u32_b32 v4, -1, 0
	v_mbcnt_hi_u32_b32 v4, -1, v4
	v_and_b32_e32 v5, 64, v4
	v_add_u32_e32 v5, 64, v5
	v_xor_b32_e32 v6, 32, v4
	v_cmp_lt_i32_e32 vcc, v6, v5
	v_cndmask_b32_e32 v6, v4, v6, vcc
	v_lshlrev_b32_e32 v6, 2, v6
	ds_bpermute_b32 v9, v6, v3
	ds_bpermute_b32 v6, v6, v2
	v_xor_b32_e32 v7, 16, v4
	v_cmp_lt_i32_e32 vcc, v7, v5
	v_cndmask_b32_e32 v7, v4, v7, vcc
	v_lshlrev_b32_e32 v7, 2, v7
	s_waitcnt lgkmcnt(1)
	v_add_f32_e32 v3, v3, v9
	s_waitcnt lgkmcnt(0)
	v_add_f32_e32 v2, v2, v6
	ds_bpermute_b32 v9, v7, v3
	ds_bpermute_b32 v6, v7, v2
	v_xor_b32_e32 v8, 8, v4
	v_cmp_lt_i32_e32 vcc, v8, v5
	v_cndmask_b32_e32 v8, v4, v8, vcc
	v_lshlrev_b32_e32 v8, 2, v8
	s_waitcnt lgkmcnt(1)
	v_add_f32_e32 v3, v3, v9
	s_waitcnt lgkmcnt(0)
	v_add_f32_e32 v2, v2, v6
	ds_bpermute_b32 v9, v8, v3
	ds_bpermute_b32 v6, v8, v2
	v_xor_b32_e32 v10, 4, v4
	v_cmp_lt_i32_e32 vcc, v10, v5
	v_cndmask_b32_e32 v10, v4, v10, vcc
	v_lshlrev_b32_e32 v7, 2, v10
	s_waitcnt lgkmcnt(1)
	v_add_f32_e32 v3, v3, v9
	s_waitcnt lgkmcnt(0)
	v_add_f32_e32 v2, v2, v6
	ds_bpermute_b32 v9, v7, v3
	ds_bpermute_b32 v6, v7, v2
	v_xor_b32_e32 v10, 2, v4
	v_cmp_lt_i32_e32 vcc, v10, v5
	v_cndmask_b32_e32 v8, v4, v10, vcc
	v_lshlrev_b32_e32 v7, 2, v8
	s_waitcnt lgkmcnt(1)
	v_add_f32_e32 v3, v3, v9
	s_waitcnt lgkmcnt(0)
	v_add_f32_e32 v6, v2, v6
	ds_bpermute_b32 v9, v7, v3
	ds_bpermute_b32 v7, v7, v6
	v_xor_b32_e32 v8, 1, v4
	v_cmp_lt_i32_e32 vcc, v8, v5
	v_cndmask_b32_e32 v2, v4, v8, vcc
	v_lshlrev_b32_e32 v5, 2, v2
	s_waitcnt lgkmcnt(1)
	v_add_f32_e32 v2, v3, v9
	s_waitcnt lgkmcnt(0)
	v_add_f32_e32 v4, v6, v7
	ds_bpermute_b32 v3, v5, v2
	ds_bpermute_b32 v5, v5, v4
	v_add_u32_e32 v6, s6, v0
	v_cmp_gt_u32_e32 vcc, 2, v0
	v_cmp_gt_u32_e64 s[0:1], s8, v6
	s_and_b64 s[0:1], vcc, s[0:1]
	s_and_b64 exec, exec, s[0:1]
	s_cbranch_execz .LBB120_15
; %bb.14:
	v_mul_lo_u32 v1, s11, v1
	v_cmp_eq_u32_e32 vcc, 1, v0
	s_mul_i32 s0, s14, s7
	v_or_b32_e32 v0, s6, v0
	v_add3_u32 v0, v0, v1, s0
	v_mov_b32_e32 v1, 0
	v_lshlrev_b64 v[0:1], 2, v[0:1]
	s_waitcnt lgkmcnt(1)
	v_add_f32_e32 v2, v2, v3
	s_waitcnt lgkmcnt(0)
	v_add_f32_e32 v3, v4, v5
	v_cndmask_b32_e32 v2, v2, v3, vcc
	v_mov_b32_e32 v3, s23
	v_add_co_u32_e32 v0, vcc, s22, v0
	v_addc_co_u32_e32 v1, vcc, v3, v1, vcc
	global_store_dword v[0:1], v2, off
.LBB120_15:
	s_endpgm
	.section	.rodata,"a",@progbits
	.p2align	6, 0x0
	.amdhsa_kernel _ZL17mul_mat_vec_q_moeIL9ggml_type12ELi2EEvPKvS2_PKiPfj15HIP_vector_typeIjLj3EEjjjjjjjjj
		.amdhsa_group_segment_fixed_size 0
		.amdhsa_private_segment_fixed_size 0
		.amdhsa_kernarg_size 84
		.amdhsa_user_sgpr_count 6
		.amdhsa_user_sgpr_private_segment_buffer 1
		.amdhsa_user_sgpr_dispatch_ptr 0
		.amdhsa_user_sgpr_queue_ptr 0
		.amdhsa_user_sgpr_kernarg_segment_ptr 1
		.amdhsa_user_sgpr_dispatch_id 0
		.amdhsa_user_sgpr_flat_scratch_init 0
		.amdhsa_user_sgpr_private_segment_size 0
		.amdhsa_uses_dynamic_stack 0
		.amdhsa_system_sgpr_private_segment_wavefront_offset 0
		.amdhsa_system_sgpr_workgroup_id_x 1
		.amdhsa_system_sgpr_workgroup_id_y 1
		.amdhsa_system_sgpr_workgroup_id_z 0
		.amdhsa_system_sgpr_workgroup_info 0
		.amdhsa_system_vgpr_workitem_id 1
		.amdhsa_next_free_vgpr 34
		.amdhsa_next_free_sgpr 34
		.amdhsa_reserve_vcc 1
		.amdhsa_reserve_flat_scratch 0
		.amdhsa_float_round_mode_32 0
		.amdhsa_float_round_mode_16_64 0
		.amdhsa_float_denorm_mode_32 3
		.amdhsa_float_denorm_mode_16_64 3
		.amdhsa_dx10_clamp 1
		.amdhsa_ieee_mode 1
		.amdhsa_fp16_overflow 0
		.amdhsa_exception_fp_ieee_invalid_op 0
		.amdhsa_exception_fp_denorm_src 0
		.amdhsa_exception_fp_ieee_div_zero 0
		.amdhsa_exception_fp_ieee_overflow 0
		.amdhsa_exception_fp_ieee_underflow 0
		.amdhsa_exception_fp_ieee_inexact 0
		.amdhsa_exception_int_div_zero 0
	.end_amdhsa_kernel
	.section	.text._ZL17mul_mat_vec_q_moeIL9ggml_type12ELi2EEvPKvS2_PKiPfj15HIP_vector_typeIjLj3EEjjjjjjjjj,"axG",@progbits,_ZL17mul_mat_vec_q_moeIL9ggml_type12ELi2EEvPKvS2_PKiPfj15HIP_vector_typeIjLj3EEjjjjjjjjj,comdat
.Lfunc_end120:
	.size	_ZL17mul_mat_vec_q_moeIL9ggml_type12ELi2EEvPKvS2_PKiPfj15HIP_vector_typeIjLj3EEjjjjjjjjj, .Lfunc_end120-_ZL17mul_mat_vec_q_moeIL9ggml_type12ELi2EEvPKvS2_PKiPfj15HIP_vector_typeIjLj3EEjjjjjjjjj
                                        ; -- End function
	.set _ZL17mul_mat_vec_q_moeIL9ggml_type12ELi2EEvPKvS2_PKiPfj15HIP_vector_typeIjLj3EEjjjjjjjjj.num_vgpr, 34
	.set _ZL17mul_mat_vec_q_moeIL9ggml_type12ELi2EEvPKvS2_PKiPfj15HIP_vector_typeIjLj3EEjjjjjjjjj.num_agpr, 0
	.set _ZL17mul_mat_vec_q_moeIL9ggml_type12ELi2EEvPKvS2_PKiPfj15HIP_vector_typeIjLj3EEjjjjjjjjj.numbered_sgpr, 34
	.set _ZL17mul_mat_vec_q_moeIL9ggml_type12ELi2EEvPKvS2_PKiPfj15HIP_vector_typeIjLj3EEjjjjjjjjj.num_named_barrier, 0
	.set _ZL17mul_mat_vec_q_moeIL9ggml_type12ELi2EEvPKvS2_PKiPfj15HIP_vector_typeIjLj3EEjjjjjjjjj.private_seg_size, 0
	.set _ZL17mul_mat_vec_q_moeIL9ggml_type12ELi2EEvPKvS2_PKiPfj15HIP_vector_typeIjLj3EEjjjjjjjjj.uses_vcc, 1
	.set _ZL17mul_mat_vec_q_moeIL9ggml_type12ELi2EEvPKvS2_PKiPfj15HIP_vector_typeIjLj3EEjjjjjjjjj.uses_flat_scratch, 0
	.set _ZL17mul_mat_vec_q_moeIL9ggml_type12ELi2EEvPKvS2_PKiPfj15HIP_vector_typeIjLj3EEjjjjjjjjj.has_dyn_sized_stack, 0
	.set _ZL17mul_mat_vec_q_moeIL9ggml_type12ELi2EEvPKvS2_PKiPfj15HIP_vector_typeIjLj3EEjjjjjjjjj.has_recursion, 0
	.set _ZL17mul_mat_vec_q_moeIL9ggml_type12ELi2EEvPKvS2_PKiPfj15HIP_vector_typeIjLj3EEjjjjjjjjj.has_indirect_call, 0
	.section	.AMDGPU.csdata,"",@progbits
; Kernel info:
; codeLenInByte = 1772
; TotalNumSgprs: 38
; NumVgprs: 34
; ScratchSize: 0
; MemoryBound: 0
; FloatMode: 240
; IeeeMode: 1
; LDSByteSize: 0 bytes/workgroup (compile time only)
; SGPRBlocks: 4
; VGPRBlocks: 8
; NumSGPRsForWavesPerEU: 38
; NumVGPRsForWavesPerEU: 34
; Occupancy: 7
; WaveLimiterHint : 1
; COMPUTE_PGM_RSRC2:SCRATCH_EN: 0
; COMPUTE_PGM_RSRC2:USER_SGPR: 6
; COMPUTE_PGM_RSRC2:TRAP_HANDLER: 0
; COMPUTE_PGM_RSRC2:TGID_X_EN: 1
; COMPUTE_PGM_RSRC2:TGID_Y_EN: 1
; COMPUTE_PGM_RSRC2:TGID_Z_EN: 0
; COMPUTE_PGM_RSRC2:TIDIG_COMP_CNT: 1
	.section	.text._ZL13mul_mat_vec_qIL9ggml_type12ELi1ELb1ELb1EEvPKvS2_PKi31ggml_cuda_mm_fusion_args_devicePfj15HIP_vector_typeIjLj3EEjjjS8_jjjS8_jjjj,"axG",@progbits,_ZL13mul_mat_vec_qIL9ggml_type12ELi1ELb1ELb1EEvPKvS2_PKi31ggml_cuda_mm_fusion_args_devicePfj15HIP_vector_typeIjLj3EEjjjS8_jjjS8_jjjj,comdat
	.globl	_ZL13mul_mat_vec_qIL9ggml_type12ELi1ELb1ELb1EEvPKvS2_PKi31ggml_cuda_mm_fusion_args_devicePfj15HIP_vector_typeIjLj3EEjjjS8_jjjS8_jjjj ; -- Begin function _ZL13mul_mat_vec_qIL9ggml_type12ELi1ELb1ELb1EEvPKvS2_PKi31ggml_cuda_mm_fusion_args_devicePfj15HIP_vector_typeIjLj3EEjjjS8_jjjS8_jjjj
	.p2align	8
	.type	_ZL13mul_mat_vec_qIL9ggml_type12ELi1ELb1ELb1EEvPKvS2_PKi31ggml_cuda_mm_fusion_args_devicePfj15HIP_vector_typeIjLj3EEjjjS8_jjjS8_jjjj,@function
_ZL13mul_mat_vec_qIL9ggml_type12ELi1ELb1ELb1EEvPKvS2_PKi31ggml_cuda_mm_fusion_args_devicePfj15HIP_vector_typeIjLj3EEjjjS8_jjjS8_jjjj: ; @_ZL13mul_mat_vec_qIL9ggml_type12ELi1ELb1ELb1EEvPKvS2_PKi31ggml_cuda_mm_fusion_args_devicePfj15HIP_vector_typeIjLj3EEjjjS8_jjjS8_jjjj
; %bb.0:
	s_load_dwordx8 s[12:19], s[4:5], 0x0
	s_load_dwordx4 s[28:31], s[4:5], 0x20
	s_load_dwordx4 s[36:39], s[4:5], 0x40
	;; [unrolled: 1-line block ×3, first 2 shown]
	s_mov_b32 s34, s7
	s_waitcnt lgkmcnt(0)
	s_cmp_lg_u64 s[16:17], 0
	s_cselect_b64 s[0:1], -1, 0
	s_cmp_eq_u64 s[16:17], 0
	s_mov_b64 s[2:3], 0
	s_cbranch_scc1 .LBB121_5
; %bb.1:
	s_mov_b32 s35, 0
	s_lshl_b64 s[10:11], s[34:35], 2
	s_add_u32 s10, s16, s10
	s_addc_u32 s11, s17, s11
	s_load_dword s35, s[10:11], 0x0
	s_load_dword s33, s[4:5], 0x50
	;; [unrolled: 1-line block ×3, first 2 shown]
	s_andn2_b64 vcc, exec, s[2:3]
	s_cbranch_vccnz .LBB121_3
.LBB121_2:
	s_load_dwordx2 s[2:3], s[4:5], 0x5c
	s_waitcnt lgkmcnt(0)
	s_mul_hi_u32 s2, s2, s34
	s_add_i32 s2, s34, s2
	s_lshr_b32 s35, s2, s3
.LBB121_3:
	s_andn2_b64 vcc, exec, s[0:1]
	s_cbranch_vccnz .LBB121_6
; %bb.4:
	s_mul_hi_u32 s0, s37, s34
	s_add_i32 s0, s34, s0
	s_lshr_b32 s0, s0, s38
	s_mul_i32 s0, s0, s39
	s_sub_i32 s37, s34, s0
	s_waitcnt lgkmcnt(0)
	s_mov_b32 s43, s35
	s_branch .LBB121_7
.LBB121_5:
                                        ; implicit-def: $sgpr35
	s_load_dword s33, s[4:5], 0x50
	s_load_dword s42, s[4:5], 0x78
	s_branch .LBB121_2
.LBB121_6:
	s_mov_b32 s43, s34
	s_mov_b32 s37, s34
.LBB121_7:
	s_load_dword s9, s[4:5], 0x58
	s_load_dwordx4 s[24:27], s[4:5], 0x80
	s_lshl_b32 s16, s6, 1
	s_cmp_eq_u64 s[18:19], 0
	s_cselect_b64 s[0:1], -1, 0
	v_mov_b32_e32 v14, 0
	s_and_b64 vcc, exec, s[0:1]
	v_cmp_gt_u32_e64 s[2:3], 2, v0
	v_cmp_eq_u32_e64 s[6:7], 0, v1
	v_add_u32_e32 v13, s16, v0
	v_mov_b32_e32 v15, 0
	s_cbranch_vccnz .LBB121_11
; %bb.8:
	s_waitcnt lgkmcnt(0)
	v_cmp_gt_u32_e32 vcc, s9, v13
	s_and_b64 s[2:3], s[2:3], vcc
	s_mov_b32 s11, 0
	s_and_b64 s[6:7], s[2:3], s[6:7]
	v_mov_b32_e32 v15, 0
	s_and_saveexec_b64 s[2:3], s[6:7]
	s_cbranch_execz .LBB121_10
; %bb.9:
	s_mul_i32 s10, s26, s8
	s_lshl_b64 s[6:7], s[10:11], 2
	s_add_u32 s17, s18, s6
	s_mul_i32 s10, s43, s22
	s_addc_u32 s18, s19, s7
	s_lshl_b64 s[6:7], s[10:11], 2
	s_add_u32 s10, s17, s6
	s_addc_u32 s11, s18, s7
	s_ashr_i32 s17, s16, 31
	s_lshl_b64 s[6:7], s[16:17], 2
	s_add_u32 s6, s10, s6
	s_addc_u32 s7, s11, s7
	v_lshlrev_b32_e32 v2, 2, v0
	global_load_dword v15, v2, s[6:7]
.LBB121_10:
	s_or_b64 exec, exec, s[2:3]
.LBB121_11:
	s_cmp_lg_u64 s[28:29], 0
	s_cselect_b64 s[18:19], -1, 0
	s_cmp_eq_u64 s[28:29], 0
	s_cselect_b64 s[38:39], -1, 0
	s_cmp_lg_u64 s[30:31], 0
	s_cselect_b64 s[2:3], -1, 0
	s_and_b64 s[6:7], s[2:3], s[18:19]
	s_andn2_b64 vcc, exec, s[6:7]
	s_waitcnt lgkmcnt(0)
	v_cmp_gt_u32_e64 s[6:7], s9, v13
	s_cbranch_vccnz .LBB121_15
; %bb.12:
	v_cmp_gt_u32_e32 vcc, 2, v0
	v_cmp_eq_u32_e64 s[10:11], 0, v1
	s_and_b64 s[6:7], vcc, s[6:7]
	s_mov_b32 s41, 0
	s_and_b64 s[10:11], s[6:7], s[10:11]
	v_mov_b32_e32 v14, 0
	s_and_saveexec_b64 s[6:7], s[10:11]
	s_cbranch_execz .LBB121_14
; %bb.13:
	s_mul_i32 s40, s26, s8
	s_lshl_b64 s[10:11], s[40:41], 2
	s_add_u32 s17, s30, s10
	s_mul_i32 s40, s43, s22
	s_addc_u32 s27, s31, s11
	s_lshl_b64 s[10:11], s[40:41], 2
	s_add_u32 s30, s17, s10
	s_addc_u32 s27, s27, s11
	s_ashr_i32 s17, s16, 31
	s_lshl_b64 s[10:11], s[16:17], 2
	s_add_u32 s10, s30, s10
	s_addc_u32 s11, s27, s11
	v_lshlrev_b32_e32 v2, 2, v0
	global_load_dword v14, v2, s[10:11]
.LBB121_14:
	s_or_b64 exec, exec, s[6:7]
.LBB121_15:
	v_lshl_add_u32 v6, v1, 6, v0
	v_mov_b32_e32 v4, 0
	s_lshr_b32 s17, s36, 8
	v_lshrrev_b32_e32 v17, 4, v6
	v_mov_b32_e32 v5, v4
	v_mov_b32_e32 v2, v4
	v_cmp_gt_u32_e32 vcc, s17, v17
	v_mov_b32_e32 v16, v4
	v_mov_b32_e32 v3, v5
	s_and_saveexec_b64 s[30:31], vcc
	s_cbranch_execz .LBB121_39
; %bb.16:
	s_mul_hi_u32 s6, s23, s8
	s_add_i32 s6, s8, s6
	s_lshr_b32 s6, s6, s42
	s_mul_i32 s7, s35, s20
	s_mul_i32 s6, s6, s24
	v_lshlrev_b32_e32 v2, 1, v0
	v_and_b32_e32 v3, 30, v2
	s_add_i32 s24, s7, s6
	s_mul_i32 s10, s16, s33
	v_and_b32_e32 v4, 3, v0
	v_cmp_lt_u32_e64 s[6:7], 15, v3
	s_add_i32 s23, s24, s10
	s_add_i32 s10, s16, 1
	v_bfe_u32 v3, v0, 2, 2
	v_lshlrev_b32_e32 v19, 2, v4
	s_mul_i32 s33, s33, s10
	v_lshrrev_b32_e32 v5, 4, v6
	v_mul_hi_u32_u24_e32 v4, 0x48, v3
	v_mul_u32_u24_e32 v3, 0x48, v3
	s_movk_i32 s10, 0x120
	s_mul_i32 s20, s25, s8
	v_mad_u64_u32 v[3:4], s[10:11], v5, s10, v[3:4]
	s_add_i32 s24, s24, s33
	s_mul_hi_u32 s11, s20, 36
	s_mul_i32 s20, s20, 36
	s_mul_i32 s21, s37, s21
	s_add_u32 s14, s14, s20
	s_mul_hi_u32 s10, s21, 36
	s_mul_i32 s21, s21, 36
	s_addc_u32 s11, s15, s11
	s_add_u32 s14, s14, s21
	s_addc_u32 s10, s11, s10
	v_mov_b32_e32 v5, s10
	v_add_co_u32_e32 v3, vcc, s14, v3
	v_addc_co_u32_e32 v4, vcc, v5, v4, vcc
	v_bfe_u32 v9, v2, 3, 2
	v_mov_b32_e32 v2, 0
	v_add_co_u32_e32 v5, vcc, 36, v3
	v_mov_b32_e32 v7, s12
	v_lshlrev_b32_e32 v18, 5, v9
	v_addc_co_u32_e32 v6, vcc, 0, v4, vcc
	v_mov_b32_e32 v3, v2
	s_mov_b64 s[14:15], 0
	s_movk_i32 s25, 0x90
	s_mov_b32 s27, 0x5040100
	s_mov_b32 s33, 0x20004
	;; [unrolled: 1-line block ×5, first 2 shown]
	v_mov_b32_e32 v8, s13
	v_lshlrev_b32_e32 v20, 1, v9
	v_mov_b32_e32 v16, v2
	v_mov_b32_e32 v4, v2
	s_branch .LBB121_19
.LBB121_17:                             ;   in Loop: Header=BB121_19 Depth=1
	s_or_b64 exec, exec, s[10:11]
	global_load_dword v9, v[9:10], off
	s_waitcnt vmcnt(2)
	v_and_b32_e32 v10, 0xf0f0f0f, v38
	v_lshrrev_b32_e32 v12, 4, v38
	s_waitcnt vmcnt(1)
	v_and_b32_e32 v11, 0xf0f0f0f, v37
	v_dot4_i32_i8 v10, v10, v23, 0
	v_and_b32_e32 v12, 0xf0f0f0f, v12
	v_lshrrev_b32_e32 v37, 4, v37
	v_dot4_i32_i8 v10, v11, v24, v10
	v_bfe_u32 v11, v39, 16, 8
	v_and_b32_e32 v37, 0xf0f0f0f, v37
	v_dot4_i32_i8 v12, v12, v21, 0
	v_mul_lo_u32 v10, v10, v11
	v_lshrrev_b32_e32 v11, 24, v39
	v_dot4_i32_i8 v12, v37, v22, v12
	v_and_b32_e32 v37, 0xff, v39
	v_mul_lo_u32 v11, v12, v11
	v_lshrrev_b16_e32 v12, 8, v39
	v_mul_lo_u32 v37, v30, v37
	v_mul_lo_u32 v12, v29, v12
	v_cvt_f32_i32_e32 v10, v10
	v_cvt_f32_i32_e32 v11, v11
	;; [unrolled: 1-line block ×4, first 2 shown]
	v_fma_f32 v10, v27, v10, 0
	v_fmac_f32_e32 v10, v25, v11
	v_fma_f32 v11, v27, v37, 0
	v_fmac_f32_e32 v11, v25, v12
	s_waitcnt vmcnt(0)
	v_cvt_f32_f16_sdwa v38, v9 dst_sel:DWORD dst_unused:UNUSED_PAD src0_sel:WORD_1
	v_mul_f32_e32 v11, v11, v38
	v_fma_mix_f32 v9, v10, v9, -v11 op_sel_hi:[0,1,0]
	v_add_f32_e32 v3, v3, v9
.LBB121_18:                             ;   in Loop: Header=BB121_19 Depth=1
	s_waitcnt vmcnt(5)
	v_and_b32_e32 v9, 0xf0f0f0f, v28
	s_waitcnt vmcnt(4)
	v_and_b32_e32 v10, 0xf0f0f0f, v26
	v_dot4_i32_i8 v9, v9, v23, 0
	v_lshrrev_b32_e32 v28, 4, v28
	v_dot4_i32_i8 v9, v10, v24, v9
	v_bfe_u32 v10, v31, 16, 8
	v_and_b32_e32 v12, 0xff, v31
	v_and_b32_e32 v28, 0xf0f0f0f, v28
	v_lshrrev_b32_e32 v26, 4, v26
	v_mul_lo_u32 v9, v9, v10
	v_lshrrev_b16_e32 v10, 8, v31
	v_mul_lo_u32 v12, v30, v12
	v_and_b32_e32 v26, 0xf0f0f0f, v26
	v_dot4_i32_i8 v28, v28, v21, 0
	v_lshrrev_b32_e32 v11, 24, v31
	v_dot4_i32_i8 v26, v26, v22, v28
	v_mul_lo_u32 v10, v29, v10
	v_mul_lo_u32 v11, v26, v11
	v_cvt_f32_i32_e32 v12, v12
	v_cvt_f32_i32_e32 v9, v9
	;; [unrolled: 1-line block ×4, first 2 shown]
	s_waitcnt vmcnt(3)
	v_cvt_f32_f16_sdwa v26, v32 dst_sel:DWORD dst_unused:UNUSED_PAD src0_sel:WORD_1
	v_fma_f32 v12, v27, v12, 0
	v_fma_f32 v9, v27, v9, 0
	v_fmac_f32_e32 v12, v25, v10
	v_fmac_f32_e32 v9, v25, v11
	v_mul_f32_e32 v10, v12, v26
	v_fma_mix_f32 v9, v9, v32, -v10 op_sel_hi:[0,1,0]
	s_waitcnt vmcnt(2)
	v_and_b32_e32 v10, 0xf0f0f0f, v34
	s_waitcnt vmcnt(1)
	v_and_b32_e32 v11, 0xf0f0f0f, v33
	v_dot4_i32_i8 v10, v10, v23, 0
	v_lshrrev_b32_e32 v23, 4, v34
	v_dot4_i32_i8 v10, v11, v24, v10
	v_and_b32_e32 v12, 0xff, v36
	v_and_b32_e32 v23, 0xf0f0f0f, v23
	v_lshrrev_b32_e32 v24, 4, v33
	v_bfe_u32 v11, v36, 16, 8
	v_add_f32_e32 v16, v16, v9
	v_lshrrev_b16_e32 v9, 8, v36
	v_mul_lo_u32 v12, v30, v12
	v_and_b32_e32 v24, 0xf0f0f0f, v24
	v_dot4_i32_i8 v21, v23, v21, 0
	v_mul_lo_u32 v10, v10, v11
	v_lshrrev_b32_e32 v11, 24, v36
	v_dot4_i32_i8 v21, v24, v22, v21
	v_mul_lo_u32 v9, v29, v9
	v_mul_lo_u32 v11, v21, v11
	v_cvt_f32_i32_e32 v12, v12
	v_cvt_f32_i32_e32 v10, v10
	;; [unrolled: 1-line block ×4, first 2 shown]
	s_waitcnt vmcnt(0)
	v_cvt_f32_f16_sdwa v21, v35 dst_sel:DWORD dst_unused:UNUSED_PAD src0_sel:WORD_1
	v_fma_f32 v12, v27, v12, 0
	v_fma_f32 v10, v27, v10, 0
	v_fmac_f32_e32 v12, v25, v9
	v_fmac_f32_e32 v10, v25, v11
	v_mul_f32_e32 v9, v12, v21
	v_add_u32_e32 v17, 8, v17
	v_fma_mix_f32 v9, v10, v35, -v9 op_sel_hi:[0,1,0]
	v_add_co_u32_e32 v5, vcc, 0x900, v5
	v_cmp_le_u32_e64 s[10:11], s17, v17
	v_add_f32_e32 v4, v4, v9
	s_or_b64 s[14:15], s[10:11], s[14:15]
	v_addc_co_u32_e32 v6, vcc, 0, v6, vcc
	s_andn2_b64 exec, exec, s[14:15]
	s_cbranch_execz .LBB121_38
.LBB121_19:                             ; =>This Inner Loop Header: Depth=1
	v_add_u32_e32 v33, s23, v17
	v_mad_i64_i32 v[9:10], s[10:11], v33, s25, v[7:8]
	v_add_co_u32_e32 v11, vcc, v5, v19
	v_addc_co_u32_e32 v12, vcc, 0, v6, vcc
	global_load_dword v25, v[5:6], off offset:-36
	global_load_dword v29, v[5:6], off
	global_load_dword v23, v[11:12], off offset:-32
	global_load_dword v24, v[11:12], off offset:-16
	global_load_dword v21, v[11:12], off offset:4
	global_load_dword v22, v[11:12], off offset:20
	v_add_co_u32_e32 v11, vcc, v9, v18
	v_addc_co_u32_e32 v12, vcc, 0, v10, vcc
	v_add_co_u32_e32 v11, vcc, v11, v19
	v_addc_co_u32_e32 v12, vcc, 0, v12, vcc
	global_load_dword v28, v[11:12], off offset:16
	global_load_dword v26, v[11:12], off offset:32
	v_add_co_u32_e32 v11, vcc, v9, v20
	v_addc_co_u32_e32 v12, vcc, 0, v10, vcc
                                        ; implicit-def: $vgpr31
	s_and_saveexec_b64 s[10:11], s[6:7]
	s_xor_b64 s[10:11], exec, s[10:11]
	s_cbranch_execz .LBB121_21
; %bb.20:                               ;   in Loop: Header=BB121_19 Depth=1
	global_load_ushort v27, v[11:12], off
	global_load_ushort v30, v[11:12], off offset:8
	global_load_ushort v31, v[11:12], off offset:4
	s_waitcnt vmcnt(1)
	v_perm_b32 v11, v27, v30, s27
	s_waitcnt vmcnt(0)
	v_perm_b32 v12, v30, v31, s27
	v_pk_lshrrev_b16 v12, 2, v12
	v_pk_lshrrev_b16 v11, s33, v11
	v_and_b32_e32 v12, 0xf0f3030, v12
	v_and_or_b32 v31, v11, s35, v12
                                        ; implicit-def: $vgpr11_vgpr12
.LBB121_21:                             ;   in Loop: Header=BB121_19 Depth=1
	s_andn2_saveexec_b64 s[10:11], s[10:11]
	s_cbranch_execz .LBB121_23
; %bb.22:                               ;   in Loop: Header=BB121_19 Depth=1
	global_load_ushort v27, v[11:12], off offset:4
	global_load_ushort v30, v[11:12], off offset:8
	s_waitcnt vmcnt(0)
	v_perm_b32 v11, v27, v30, s27
	v_and_b32_e32 v31, 0x3f3f3f3f, v11
.LBB121_23:                             ;   in Loop: Header=BB121_19 Depth=1
	s_or_b64 exec, exec, s[10:11]
	global_load_dword v32, v[9:10], off
	s_waitcnt vmcnt(8)
	v_cvt_f32_f16_e32 v27, v25
	s_waitcnt vmcnt(7)
	v_cvt_f32_f16_e32 v25, v29
	s_waitcnt vmcnt(6)
	v_dot4_i32_i8 v9, s36, v23, 0
	s_waitcnt vmcnt(5)
	v_dot4_i32_i8 v30, s36, v24, v9
	;; [unrolled: 2-line block ×3, first 2 shown]
	v_cndmask_b32_e64 v10, 0, 1, s[18:19]
	v_cmp_ne_u32_e64 s[10:11], 1, v10
	s_andn2_b64 vcc, exec, s[18:19]
	s_waitcnt vmcnt(3)
	v_dot4_i32_i8 v29, s36, v22, v9
	s_cbranch_vccnz .LBB121_29
; %bb.24:                               ;   in Loop: Header=BB121_19 Depth=1
	v_mov_b32_e32 v9, s28
	v_mov_b32_e32 v10, s29
	v_mad_i64_i32 v[9:10], s[20:21], v33, s25, v[9:10]
                                        ; implicit-def: $vgpr36
                                        ; implicit-def: $vgpr35
	v_add_co_u32_e32 v11, vcc, v9, v18
	v_addc_co_u32_e32 v12, vcc, 0, v10, vcc
	v_add_co_u32_e32 v11, vcc, v11, v19
	v_addc_co_u32_e32 v12, vcc, 0, v12, vcc
	global_load_dword v34, v[11:12], off offset:16
	global_load_dword v33, v[11:12], off offset:32
	v_add_co_u32_e32 v11, vcc, v9, v20
	v_addc_co_u32_e32 v12, vcc, 0, v10, vcc
	s_and_saveexec_b64 s[20:21], s[6:7]
	s_xor_b64 s[20:21], exec, s[20:21]
	s_cbranch_execz .LBB121_26
; %bb.25:                               ;   in Loop: Header=BB121_19 Depth=1
	global_load_ushort v35, v[11:12], off offset:8
	global_load_ushort v36, v[11:12], off
	global_load_ushort v37, v[11:12], off offset:4
	s_waitcnt vmcnt(2)
	v_and_b32_e32 v11, 0xf0f, v35
	s_waitcnt vmcnt(1)
	v_lshrrev_b16_e32 v12, 2, v36
	v_lshrrev_b16_e32 v35, 4, v35
	s_waitcnt vmcnt(0)
	v_lshrrev_b16_e32 v36, 2, v37
	v_and_b32_e32 v12, 0x3030, v12
	v_and_b32_e32 v35, 0xf0f, v35
	;; [unrolled: 1-line block ×3, first 2 shown]
	v_or_b32_e32 v36, v12, v11
	v_or_b32_e32 v35, v37, v35
                                        ; implicit-def: $vgpr11_vgpr12
.LBB121_26:                             ;   in Loop: Header=BB121_19 Depth=1
	s_andn2_saveexec_b64 s[20:21], s[20:21]
	s_cbranch_execz .LBB121_28
; %bb.27:                               ;   in Loop: Header=BB121_19 Depth=1
	global_load_ushort v35, v[11:12], off offset:4
	global_load_ushort v37, v[11:12], off offset:8
	s_waitcnt vmcnt(1)
	v_and_b32_e32 v36, 0x3f3f, v35
	s_waitcnt vmcnt(0)
	v_and_b32_e32 v35, 0x3f3f, v37
.LBB121_28:                             ;   in Loop: Header=BB121_19 Depth=1
	s_or_b64 exec, exec, s[20:21]
	global_load_dword v9, v[9:10], off
	s_waitcnt vmcnt(2)
	v_and_b32_e32 v10, 0xf0f0f0f, v34
	s_waitcnt vmcnt(1)
	v_and_b32_e32 v11, 0xf0f0f0f, v33
	v_dot4_i32_i8 v10, v10, v23, 0
	v_dot4_i32_i8 v10, v11, v24, v10
	v_and_b32_sdwa v11, s37, v36 dst_sel:DWORD dst_unused:UNUSED_PAD src0_sel:DWORD src1_sel:BYTE_0
	v_lshrrev_b32_e32 v34, 4, v34
	v_mul_lo_u32 v10, v10, v11
	v_lshrrev_b16_e32 v11, 8, v35
	v_and_b32_sdwa v35, s37, v35 dst_sel:DWORD dst_unused:UNUSED_PAD src0_sel:DWORD src1_sel:BYTE_0
	v_and_b32_e32 v34, 0xf0f0f0f, v34
	v_lshrrev_b32_e32 v33, 4, v33
	v_mul_lo_u32 v35, v30, v35
	v_and_b32_e32 v33, 0xf0f0f0f, v33
	v_dot4_i32_i8 v34, v34, v21, 0
	v_lshrrev_b16_e32 v12, 8, v36
	v_dot4_i32_i8 v33, v33, v22, v34
	v_mul_lo_u32 v11, v29, v11
	v_mul_lo_u32 v12, v33, v12
	v_cvt_f32_i32_e32 v33, v35
	v_cvt_f32_i32_e32 v10, v10
	;; [unrolled: 1-line block ×4, first 2 shown]
	v_fma_f32 v33, v27, v33, 0
	v_fma_f32 v10, v27, v10, 0
	v_fmac_f32_e32 v33, v25, v11
	v_fmac_f32_e32 v10, v25, v12
	s_waitcnt vmcnt(0)
	v_cvt_f32_f16_sdwa v34, v9 dst_sel:DWORD dst_unused:UNUSED_PAD src0_sel:WORD_1
	v_mul_f32_e32 v11, v33, v34
	v_fma_mix_f32 v9, v10, v9, -v11 op_sel_hi:[0,1,0]
	v_add_f32_e32 v2, v2, v9
.LBB121_29:                             ;   in Loop: Header=BB121_19 Depth=1
	v_mov_b32_e32 v9, s12
	v_add_u32_e32 v37, s24, v17
	v_mov_b32_e32 v10, s13
	v_mad_i64_i32 v[9:10], s[20:21], v37, s25, v[9:10]
                                        ; implicit-def: $vgpr36
	v_add_co_u32_e32 v11, vcc, v9, v18
	v_addc_co_u32_e32 v12, vcc, 0, v10, vcc
	v_add_co_u32_e32 v11, vcc, v11, v19
	v_addc_co_u32_e32 v12, vcc, 0, v12, vcc
	global_load_dword v34, v[11:12], off offset:16
	global_load_dword v33, v[11:12], off offset:32
	v_add_co_u32_e32 v11, vcc, v9, v20
	v_addc_co_u32_e32 v12, vcc, 0, v10, vcc
	s_and_saveexec_b64 s[20:21], s[6:7]
	s_xor_b64 s[20:21], exec, s[20:21]
	s_cbranch_execnz .LBB121_32
; %bb.30:                               ;   in Loop: Header=BB121_19 Depth=1
	s_andn2_saveexec_b64 s[20:21], s[20:21]
	s_cbranch_execnz .LBB121_33
.LBB121_31:                             ;   in Loop: Header=BB121_19 Depth=1
	s_or_b64 exec, exec, s[20:21]
	global_load_dword v35, v[9:10], off
	s_and_b64 vcc, exec, s[10:11]
	s_cbranch_vccz .LBB121_34
	s_branch .LBB121_18
.LBB121_32:                             ;   in Loop: Header=BB121_19 Depth=1
	global_load_ushort v35, v[11:12], off
	global_load_ushort v36, v[11:12], off offset:8
	global_load_ushort v38, v[11:12], off offset:4
	s_waitcnt vmcnt(1)
	v_perm_b32 v11, v35, v36, s27
	s_waitcnt vmcnt(0)
	v_perm_b32 v12, v36, v38, s27
	v_pk_lshrrev_b16 v12, 2, v12
	v_pk_lshrrev_b16 v11, s33, v11
	v_and_b32_e32 v12, 0xf0f3030, v12
	v_and_or_b32 v36, v11, s35, v12
                                        ; implicit-def: $vgpr11_vgpr12
	s_andn2_saveexec_b64 s[20:21], s[20:21]
	s_cbranch_execz .LBB121_31
.LBB121_33:                             ;   in Loop: Header=BB121_19 Depth=1
	global_load_ushort v35, v[11:12], off offset:4
	global_load_ushort v36, v[11:12], off offset:8
	s_waitcnt vmcnt(0)
	v_perm_b32 v11, v35, v36, s27
	v_and_b32_e32 v36, 0x3f3f3f3f, v11
	s_or_b64 exec, exec, s[20:21]
	global_load_dword v35, v[9:10], off
	s_and_b64 vcc, exec, s[10:11]
	s_cbranch_vccnz .LBB121_18
.LBB121_34:                             ;   in Loop: Header=BB121_19 Depth=1
	v_mov_b32_e32 v9, s28
	v_mov_b32_e32 v10, s29
	v_mad_i64_i32 v[9:10], s[10:11], v37, s25, v[9:10]
                                        ; implicit-def: $vgpr39
	v_add_co_u32_e32 v11, vcc, v9, v18
	v_addc_co_u32_e32 v12, vcc, 0, v10, vcc
	v_add_co_u32_e32 v11, vcc, v11, v19
	v_addc_co_u32_e32 v12, vcc, 0, v12, vcc
	global_load_dword v38, v[11:12], off offset:16
	global_load_dword v37, v[11:12], off offset:32
	v_add_co_u32_e32 v11, vcc, v9, v20
	v_addc_co_u32_e32 v12, vcc, 0, v10, vcc
	s_and_saveexec_b64 s[10:11], s[6:7]
	s_xor_b64 s[10:11], exec, s[10:11]
	s_cbranch_execz .LBB121_36
; %bb.35:                               ;   in Loop: Header=BB121_19 Depth=1
	global_load_ushort v39, v[11:12], off
	global_load_ushort v40, v[11:12], off offset:8
	global_load_ushort v41, v[11:12], off offset:4
	s_waitcnt vmcnt(1)
	v_perm_b32 v11, v39, v40, s27
	s_waitcnt vmcnt(0)
	v_perm_b32 v12, v40, v41, s27
	v_pk_lshrrev_b16 v12, 2, v12
	v_pk_lshrrev_b16 v11, s33, v11
	v_and_b32_e32 v12, 0xf0f3030, v12
	v_and_or_b32 v39, v11, s35, v12
                                        ; implicit-def: $vgpr11_vgpr12
.LBB121_36:                             ;   in Loop: Header=BB121_19 Depth=1
	s_andn2_saveexec_b64 s[10:11], s[10:11]
	s_cbranch_execz .LBB121_17
; %bb.37:                               ;   in Loop: Header=BB121_19 Depth=1
	global_load_ushort v39, v[11:12], off offset:4
	global_load_ushort v40, v[11:12], off offset:8
	s_waitcnt vmcnt(0)
	v_perm_b32 v11, v39, v40, s27
	v_and_b32_e32 v39, 0x3f3f3f3f, v11
	s_branch .LBB121_17
.LBB121_38:
	s_or_b64 exec, exec, s[14:15]
.LBB121_39:
	s_or_b64 exec, exec, s[30:31]
	s_load_dword s14, s[4:5], 0x30
	v_cmp_eq_u32_e64 s[6:7], 0, v1
	v_cmp_ne_u32_e32 vcc, 0, v1
	v_lshlrev_b32_e32 v5, 2, v0
	s_and_saveexec_b64 s[10:11], vcc
	s_cbranch_execz .LBB121_44
; %bb.40:
	v_lshl_or_b32 v1, v1, 9, v5
	v_add_u32_e32 v6, 0xfffffe00, v1
	s_mov_b64 s[12:13], -1
	s_and_b64 vcc, exec, s[38:39]
	ds_write_b32 v6, v16
	s_cbranch_vccz .LBB121_42
; %bb.41:
	ds_write_b32 v6, v4 offset:256
	s_mov_b64 s[12:13], 0
.LBB121_42:
	s_andn2_b64 vcc, exec, s[12:13]
	s_cbranch_vccnz .LBB121_44
; %bb.43:
	ds_write_b32 v6, v4 offset:256
	ds_write2st64_b32 v1, v2, v3 offset1:1
.LBB121_44:
	s_or_b64 exec, exec, s[10:11]
	s_waitcnt vmcnt(0) lgkmcnt(0)
	s_barrier
	s_and_saveexec_b64 s[10:11], s[6:7]
	s_cbranch_execz .LBB121_77
; %bb.45:
	ds_read_b32 v7, v5
	v_cndmask_b32_e64 v1, 0, 1, s[18:19]
	v_cmp_ne_u32_e64 s[6:7], 1, v1
	s_andn2_b64 vcc, exec, s[18:19]
	v_or_b32_e32 v6, 0x200, v5
	s_cbranch_vccnz .LBB121_47
; %bb.46:
	ds_read_b32 v1, v6
	s_waitcnt lgkmcnt(0)
	v_add_f32_e32 v2, v2, v1
.LBB121_47:
	v_mbcnt_lo_u32_b32 v1, -1, 0
	v_mbcnt_hi_u32_b32 v8, -1, v1
	v_and_b32_e32 v1, 64, v8
	v_add_u32_e32 v17, 64, v1
	v_xor_b32_e32 v1, 32, v8
	v_cmp_lt_i32_e32 vcc, v1, v17
	v_cndmask_b32_e32 v1, v8, v1, vcc
	v_lshlrev_b32_e32 v1, 2, v1
	s_waitcnt lgkmcnt(0)
	v_add_f32_e32 v7, v16, v7
	ds_bpermute_b32 v10, v1, v7
	v_xor_b32_e32 v9, 16, v8
	v_cmp_lt_i32_e32 vcc, v9, v17
	v_cndmask_b32_e32 v9, v8, v9, vcc
	v_lshlrev_b32_e32 v9, 2, v9
	s_waitcnt lgkmcnt(0)
	v_add_f32_e32 v7, v7, v10
	ds_bpermute_b32 v11, v9, v7
	;; [unrolled: 7-line block ×6, first 2 shown]
	s_and_b64 vcc, exec, s[6:7]
	s_cbranch_vccnz .LBB121_49
; %bb.48:
	ds_bpermute_b32 v17, v1, v2
	s_waitcnt lgkmcnt(0)
	v_add_f32_e32 v2, v2, v17
	ds_bpermute_b32 v17, v9, v2
	s_waitcnt lgkmcnt(0)
	v_add_f32_e32 v2, v2, v17
	;; [unrolled: 3-line block ×6, first 2 shown]
.LBB121_49:
	ds_read_b32 v17, v5 offset:256
	s_and_b64 vcc, exec, s[6:7]
	s_cbranch_vccnz .LBB121_51
; %bb.50:
	ds_read_b32 v6, v6 offset:256
	s_waitcnt lgkmcnt(0)
	v_add_f32_e32 v3, v3, v6
.LBB121_51:
	s_waitcnt lgkmcnt(0)
	v_add_f32_e32 v4, v4, v17
	ds_bpermute_b32 v6, v1, v4
	s_and_b64 vcc, exec, s[6:7]
	s_waitcnt lgkmcnt(0)
	v_add_f32_e32 v4, v4, v6
	ds_bpermute_b32 v6, v9, v4
	s_waitcnt lgkmcnt(0)
	v_add_f32_e32 v4, v4, v6
	ds_bpermute_b32 v6, v10, v4
	;; [unrolled: 3-line block ×5, first 2 shown]
	s_cbranch_vccnz .LBB121_53
; %bb.52:
	ds_bpermute_b32 v1, v1, v3
	s_waitcnt lgkmcnt(0)
	v_add_f32_e32 v1, v3, v1
	ds_bpermute_b32 v3, v9, v1
	s_waitcnt lgkmcnt(0)
	v_add_f32_e32 v1, v1, v3
	ds_bpermute_b32 v3, v10, v1
	s_waitcnt lgkmcnt(0)
	v_add_f32_e32 v1, v1, v3
	ds_bpermute_b32 v3, v11, v1
	s_waitcnt lgkmcnt(0)
	v_add_f32_e32 v1, v1, v3
	ds_bpermute_b32 v3, v12, v1
	s_waitcnt lgkmcnt(0)
	v_add_f32_e32 v1, v1, v3
	ds_bpermute_b32 v3, v16, v1
	s_waitcnt lgkmcnt(0)
	v_add_f32_e32 v3, v1, v3
.LBB121_53:
	v_cmp_gt_u32_e32 vcc, s9, v13
	v_cmp_gt_u32_e64 s[10:11], 2, v0
	s_and_b64 s[10:11], s[10:11], vcc
	s_and_b64 exec, exec, s[10:11]
	s_cbranch_execz .LBB121_77
; %bb.54:
	v_add_f32_e32 v1, v7, v8
	s_waitcnt lgkmcnt(0)
	v_add_f32_e32 v4, v4, v6
	v_cmp_eq_u32_e64 s[10:11], 1, v0
	v_cndmask_b32_e64 v0, v1, v4, s[10:11]
	v_add_f32_e32 v1, v15, v0
	s_and_b64 vcc, exec, s[6:7]
	v_cndmask_b32_e64 v0, v1, v0, s[0:1]
	s_cbranch_vccnz .LBB121_76
; %bb.55:
	v_cndmask_b32_e64 v1, v2, v3, s[10:11]
	v_add_f32_e32 v2, v14, v1
	v_cndmask_b32_e64 v1, v1, v2, s[2:3]
	s_cmp_lt_i32 s14, 2
	s_mov_b64 s[0:1], 0
	s_cbranch_scc1 .LBB121_59
; %bb.56:
	s_cmp_gt_i32 s14, 2
	s_cbranch_scc0 .LBB121_60
; %bb.57:
	s_cmp_eq_u32 s14, 3
	s_cbranch_scc0 .LBB121_61
; %bb.58:
	v_max_f32_e32 v2, v1, v1
	v_min_f32_e32 v2, 0x40e00000, v2
	v_mul_f32_e32 v3, 0xbfd9db23, v2
	s_mov_b32 s2, 0x3fb8aa3b
	v_mul_f32_e32 v4, 0x3fb8aa3b, v3
	v_fma_f32 v6, v3, s2, -v4
	v_rndne_f32_e32 v7, v4
	v_fmac_f32_e32 v6, 0x32a5705f, v3
	v_sub_f32_e32 v4, v4, v7
	v_add_f32_e32 v4, v4, v6
	v_exp_f32_e32 v4, v4
	v_cvt_i32_f32_e32 v6, v7
	s_mov_b32 s2, 0xc2ce8ed0
	v_cmp_ngt_f32_e32 vcc, s2, v3
	s_mov_b32 s2, 0x42b17218
	v_ldexp_f32 v4, v4, v6
	v_cndmask_b32_e32 v4, 0, v4, vcc
	v_mov_b32_e32 v6, 0x7f800000
	v_cmp_nlt_f32_e32 vcc, s2, v3
	v_cndmask_b32_e32 v3, v6, v4, vcc
	v_add_f32_e32 v3, 1.0, v3
	v_div_scale_f32 v4, s[2:3], v3, v3, v2
	v_div_scale_f32 v6, vcc, v2, v3, v2
	s_mov_b64 s[2:3], 0
	v_rcp_f32_e32 v7, v4
	v_fma_f32 v8, -v4, v7, 1.0
	v_fmac_f32_e32 v7, v8, v7
	v_mul_f32_e32 v8, v6, v7
	v_fma_f32 v9, -v4, v8, v6
	v_fmac_f32_e32 v8, v9, v7
	v_fma_f32 v4, -v4, v8, v6
	v_div_fmas_f32 v4, v4, v7, v8
	v_max_f32_e32 v6, v0, v0
	v_min_f32_e32 v6, 0x40e00000, v6
	v_max_f32_e32 v6, 0xc0e00000, v6
	v_add_f32_e32 v6, 1.0, v6
	v_div_fixup_f32 v2, v4, v3, v2
	v_mul_f32_e32 v2, v6, v2
	s_branch .LBB121_62
.LBB121_59:
                                        ; implicit-def: $vgpr2
	s_mov_b64 s[2:3], 0
	s_cbranch_execnz .LBB121_66
	s_branch .LBB121_67
.LBB121_60:
	s_mov_b64 s[6:7], -1
	s_mov_b64 s[2:3], 0
                                        ; implicit-def: $vgpr2
	s_branch .LBB121_63
.LBB121_61:
	s_mov_b64 s[2:3], -1
                                        ; implicit-def: $vgpr2
.LBB121_62:
	s_mov_b64 s[6:7], 0
.LBB121_63:
	s_and_b64 vcc, exec, s[6:7]
	s_cbranch_vccz .LBB121_65
; %bb.64:
	v_mul_f32_e32 v2, 0xbfb8aa3b, v1
	s_mov_b32 s6, 0xbfb8aa3b
	v_rndne_f32_e32 v3, v2
	v_sub_f32_e32 v4, v2, v3
	v_fma_f32 v2, v1, s6, -v2
	v_fmac_f32_e32 v2, 0xb2a5705f, v1
	v_add_f32_e32 v2, v4, v2
	v_exp_f32_e32 v2, v2
	v_cvt_i32_f32_e32 v3, v3
	s_mov_b32 s6, 0x42ce8ed0
	v_cmp_nlt_f32_e32 vcc, s6, v1
	s_mov_b32 s6, 0xc2b17218
	v_ldexp_f32 v2, v2, v3
	v_cndmask_b32_e32 v2, 0, v2, vcc
	v_mov_b32_e32 v3, 0x7f800000
	v_cmp_ngt_f32_e32 vcc, s6, v1
	v_cndmask_b32_e32 v2, v3, v2, vcc
	v_add_f32_e32 v2, 1.0, v2
	v_div_scale_f32 v3, s[6:7], v2, v2, v1
	v_div_scale_f32 v4, vcc, v1, v2, v1
	v_rcp_f32_e32 v6, v3
	v_fma_f32 v7, -v3, v6, 1.0
	v_fmac_f32_e32 v6, v7, v6
	v_mul_f32_e32 v7, v4, v6
	v_fma_f32 v8, -v3, v7, v4
	v_fmac_f32_e32 v7, v8, v6
	v_fma_f32 v3, -v3, v7, v4
	v_div_fmas_f32 v3, v3, v6, v7
	v_div_fixup_f32 v2, v3, v2, v1
	v_mul_f32_e32 v2, v0, v2
.LBB121_65:
	s_branch .LBB121_67
.LBB121_66:
	s_cmp_lg_u32 s14, 1
	s_mov_b64 s[0:1], -1
	s_cselect_b64 s[2:3], -1, 0
.LBB121_67:
	s_andn2_b64 vcc, exec, s[2:3]
	s_cbranch_vccz .LBB121_69
; %bb.68:
	s_andn2_b64 vcc, exec, s[0:1]
	s_cbranch_vccz .LBB121_70
	s_branch .LBB121_75
.LBB121_69:
	v_mul_f32_e32 v2, v1, v0
	s_cbranch_execnz .LBB121_75
.LBB121_70:
	v_mul_f32_e32 v3, 0x3d372713, v1
	v_mul_f32_e32 v2, 0x3f4c422a, v1
	v_fma_f32 v3, v1, v3, 1.0
	v_mul_f32_e32 v2, v2, v3
	s_mov_b32 s0, 0x3f200000
	v_cmp_nlt_f32_e64 s[0:1], |v2|, s0
                                        ; implicit-def: $vgpr3
	s_and_saveexec_b64 s[2:3], s[0:1]
	s_xor_b64 s[0:1], exec, s[2:3]
	s_cbranch_execz .LBB121_72
; %bb.71:
	v_add_f32_e64 v3, |v2|, |v2|
	v_mul_f32_e32 v4, 0x3fb8aa3b, v3
	s_mov_b32 s2, 0x3fb8aa3b
	v_rndne_f32_e32 v6, v4
	v_sub_f32_e32 v7, v4, v6
	v_fma_f32 v4, v3, s2, -v4
	v_fmac_f32_e32 v4, 0x32a5705f, v3
	v_add_f32_e32 v4, v7, v4
	v_exp_f32_e32 v4, v4
	v_cvt_i32_f32_e32 v6, v6
	s_mov_b32 s2, 0xc2ce8ed0
	v_cmp_ngt_f32_e32 vcc, s2, v3
	s_mov_b32 s2, 0x42b17218
	v_ldexp_f32 v4, v4, v6
	v_cndmask_b32_e32 v4, 0, v4, vcc
	v_mov_b32_e32 v6, 0x7f800000
	v_cmp_nlt_f32_e32 vcc, s2, v3
	v_cndmask_b32_e32 v3, v6, v4, vcc
	v_add_f32_e32 v3, 1.0, v3
	v_rcp_f32_e32 v3, v3
	v_fma_f32 v3, v3, -2.0, 1.0
.LBB121_72:
	s_andn2_saveexec_b64 s[0:1], s[0:1]
	s_cbranch_execz .LBB121_74
; %bb.73:
	v_mul_f32_e32 v3, v2, v2
	v_mov_b32_e32 v4, 0x3ca908c9
	v_fmac_f32_e32 v4, 0xbbbac73d, v3
	v_mov_b32_e32 v6, 0xbd5c1c4e
	v_fmac_f32_e32 v6, v3, v4
	;; [unrolled: 2-line block ×4, first 2 shown]
	v_mul_f32_e64 v4, |v2|, v6
	v_fma_f32 v3, v3, v4, |v2|
.LBB121_74:
	s_or_b64 exec, exec, s[0:1]
	s_brev_b32 s0, -2
	v_bfi_b32 v2, s0, v3, v2
	v_mul_f32_e32 v1, 0.5, v1
	v_add_f32_e32 v2, 1.0, v2
	v_mul_f32_e32 v1, v1, v2
	v_mul_f32_e32 v2, v0, v1
.LBB121_75:
	v_mov_b32_e32 v0, v2
.LBB121_76:
	s_load_dwordx2 s[0:1], s[4:5], 0x38
	s_mul_i32 s3, s22, s34
	s_mul_i32 s2, s26, s8
	s_add_i32 s3, s3, s16
	s_add_i32 s2, s3, s2
	s_mov_b32 s3, 0
	s_lshl_b64 s[2:3], s[2:3], 2
	s_waitcnt lgkmcnt(0)
	s_add_u32 s0, s0, s2
	s_addc_u32 s1, s1, s3
	global_store_dword v5, v0, s[0:1]
.LBB121_77:
	s_endpgm
	.section	.rodata,"a",@progbits
	.p2align	6, 0x0
	.amdhsa_kernel _ZL13mul_mat_vec_qIL9ggml_type12ELi1ELb1ELb1EEvPKvS2_PKi31ggml_cuda_mm_fusion_args_devicePfj15HIP_vector_typeIjLj3EEjjjS8_jjjS8_jjjj
		.amdhsa_group_segment_fixed_size 1024
		.amdhsa_private_segment_fixed_size 0
		.amdhsa_kernarg_size 144
		.amdhsa_user_sgpr_count 6
		.amdhsa_user_sgpr_private_segment_buffer 1
		.amdhsa_user_sgpr_dispatch_ptr 0
		.amdhsa_user_sgpr_queue_ptr 0
		.amdhsa_user_sgpr_kernarg_segment_ptr 1
		.amdhsa_user_sgpr_dispatch_id 0
		.amdhsa_user_sgpr_flat_scratch_init 0
		.amdhsa_user_sgpr_private_segment_size 0
		.amdhsa_uses_dynamic_stack 0
		.amdhsa_system_sgpr_private_segment_wavefront_offset 0
		.amdhsa_system_sgpr_workgroup_id_x 1
		.amdhsa_system_sgpr_workgroup_id_y 1
		.amdhsa_system_sgpr_workgroup_id_z 1
		.amdhsa_system_sgpr_workgroup_info 0
		.amdhsa_system_vgpr_workitem_id 1
		.amdhsa_next_free_vgpr 42
		.amdhsa_next_free_sgpr 44
		.amdhsa_reserve_vcc 1
		.amdhsa_reserve_flat_scratch 0
		.amdhsa_float_round_mode_32 0
		.amdhsa_float_round_mode_16_64 0
		.amdhsa_float_denorm_mode_32 3
		.amdhsa_float_denorm_mode_16_64 3
		.amdhsa_dx10_clamp 1
		.amdhsa_ieee_mode 1
		.amdhsa_fp16_overflow 0
		.amdhsa_exception_fp_ieee_invalid_op 0
		.amdhsa_exception_fp_denorm_src 0
		.amdhsa_exception_fp_ieee_div_zero 0
		.amdhsa_exception_fp_ieee_overflow 0
		.amdhsa_exception_fp_ieee_underflow 0
		.amdhsa_exception_fp_ieee_inexact 0
		.amdhsa_exception_int_div_zero 0
	.end_amdhsa_kernel
	.section	.text._ZL13mul_mat_vec_qIL9ggml_type12ELi1ELb1ELb1EEvPKvS2_PKi31ggml_cuda_mm_fusion_args_devicePfj15HIP_vector_typeIjLj3EEjjjS8_jjjS8_jjjj,"axG",@progbits,_ZL13mul_mat_vec_qIL9ggml_type12ELi1ELb1ELb1EEvPKvS2_PKi31ggml_cuda_mm_fusion_args_devicePfj15HIP_vector_typeIjLj3EEjjjS8_jjjS8_jjjj,comdat
.Lfunc_end121:
	.size	_ZL13mul_mat_vec_qIL9ggml_type12ELi1ELb1ELb1EEvPKvS2_PKi31ggml_cuda_mm_fusion_args_devicePfj15HIP_vector_typeIjLj3EEjjjS8_jjjS8_jjjj, .Lfunc_end121-_ZL13mul_mat_vec_qIL9ggml_type12ELi1ELb1ELb1EEvPKvS2_PKi31ggml_cuda_mm_fusion_args_devicePfj15HIP_vector_typeIjLj3EEjjjS8_jjjS8_jjjj
                                        ; -- End function
	.set _ZL13mul_mat_vec_qIL9ggml_type12ELi1ELb1ELb1EEvPKvS2_PKi31ggml_cuda_mm_fusion_args_devicePfj15HIP_vector_typeIjLj3EEjjjS8_jjjS8_jjjj.num_vgpr, 42
	.set _ZL13mul_mat_vec_qIL9ggml_type12ELi1ELb1ELb1EEvPKvS2_PKi31ggml_cuda_mm_fusion_args_devicePfj15HIP_vector_typeIjLj3EEjjjS8_jjjS8_jjjj.num_agpr, 0
	.set _ZL13mul_mat_vec_qIL9ggml_type12ELi1ELb1ELb1EEvPKvS2_PKi31ggml_cuda_mm_fusion_args_devicePfj15HIP_vector_typeIjLj3EEjjjS8_jjjS8_jjjj.numbered_sgpr, 44
	.set _ZL13mul_mat_vec_qIL9ggml_type12ELi1ELb1ELb1EEvPKvS2_PKi31ggml_cuda_mm_fusion_args_devicePfj15HIP_vector_typeIjLj3EEjjjS8_jjjS8_jjjj.num_named_barrier, 0
	.set _ZL13mul_mat_vec_qIL9ggml_type12ELi1ELb1ELb1EEvPKvS2_PKi31ggml_cuda_mm_fusion_args_devicePfj15HIP_vector_typeIjLj3EEjjjS8_jjjS8_jjjj.private_seg_size, 0
	.set _ZL13mul_mat_vec_qIL9ggml_type12ELi1ELb1ELb1EEvPKvS2_PKi31ggml_cuda_mm_fusion_args_devicePfj15HIP_vector_typeIjLj3EEjjjS8_jjjS8_jjjj.uses_vcc, 1
	.set _ZL13mul_mat_vec_qIL9ggml_type12ELi1ELb1ELb1EEvPKvS2_PKi31ggml_cuda_mm_fusion_args_devicePfj15HIP_vector_typeIjLj3EEjjjS8_jjjS8_jjjj.uses_flat_scratch, 0
	.set _ZL13mul_mat_vec_qIL9ggml_type12ELi1ELb1ELb1EEvPKvS2_PKi31ggml_cuda_mm_fusion_args_devicePfj15HIP_vector_typeIjLj3EEjjjS8_jjjS8_jjjj.has_dyn_sized_stack, 0
	.set _ZL13mul_mat_vec_qIL9ggml_type12ELi1ELb1ELb1EEvPKvS2_PKi31ggml_cuda_mm_fusion_args_devicePfj15HIP_vector_typeIjLj3EEjjjS8_jjjS8_jjjj.has_recursion, 0
	.set _ZL13mul_mat_vec_qIL9ggml_type12ELi1ELb1ELb1EEvPKvS2_PKi31ggml_cuda_mm_fusion_args_devicePfj15HIP_vector_typeIjLj3EEjjjS8_jjjS8_jjjj.has_indirect_call, 0
	.section	.AMDGPU.csdata,"",@progbits
; Kernel info:
; codeLenInByte = 4392
; TotalNumSgprs: 48
; NumVgprs: 42
; ScratchSize: 0
; MemoryBound: 0
; FloatMode: 240
; IeeeMode: 1
; LDSByteSize: 1024 bytes/workgroup (compile time only)
; SGPRBlocks: 5
; VGPRBlocks: 10
; NumSGPRsForWavesPerEU: 48
; NumVGPRsForWavesPerEU: 42
; Occupancy: 5
; WaveLimiterHint : 0
; COMPUTE_PGM_RSRC2:SCRATCH_EN: 0
; COMPUTE_PGM_RSRC2:USER_SGPR: 6
; COMPUTE_PGM_RSRC2:TRAP_HANDLER: 0
; COMPUTE_PGM_RSRC2:TGID_X_EN: 1
; COMPUTE_PGM_RSRC2:TGID_Y_EN: 1
; COMPUTE_PGM_RSRC2:TGID_Z_EN: 1
; COMPUTE_PGM_RSRC2:TIDIG_COMP_CNT: 1
	.section	.text._ZL13mul_mat_vec_qIL9ggml_type12ELi1ELb0ELb1EEvPKvS2_PKi31ggml_cuda_mm_fusion_args_devicePfj15HIP_vector_typeIjLj3EEjjjS8_jjjS8_jjjj,"axG",@progbits,_ZL13mul_mat_vec_qIL9ggml_type12ELi1ELb0ELb1EEvPKvS2_PKi31ggml_cuda_mm_fusion_args_devicePfj15HIP_vector_typeIjLj3EEjjjS8_jjjS8_jjjj,comdat
	.globl	_ZL13mul_mat_vec_qIL9ggml_type12ELi1ELb0ELb1EEvPKvS2_PKi31ggml_cuda_mm_fusion_args_devicePfj15HIP_vector_typeIjLj3EEjjjS8_jjjS8_jjjj ; -- Begin function _ZL13mul_mat_vec_qIL9ggml_type12ELi1ELb0ELb1EEvPKvS2_PKi31ggml_cuda_mm_fusion_args_devicePfj15HIP_vector_typeIjLj3EEjjjS8_jjjS8_jjjj
	.p2align	8
	.type	_ZL13mul_mat_vec_qIL9ggml_type12ELi1ELb0ELb1EEvPKvS2_PKi31ggml_cuda_mm_fusion_args_devicePfj15HIP_vector_typeIjLj3EEjjjS8_jjjS8_jjjj,@function
_ZL13mul_mat_vec_qIL9ggml_type12ELi1ELb0ELb1EEvPKvS2_PKi31ggml_cuda_mm_fusion_args_devicePfj15HIP_vector_typeIjLj3EEjjjS8_jjjS8_jjjj: ; @_ZL13mul_mat_vec_qIL9ggml_type12ELi1ELb0ELb1EEvPKvS2_PKi31ggml_cuda_mm_fusion_args_devicePfj15HIP_vector_typeIjLj3EEjjjS8_jjjS8_jjjj
; %bb.0:
	s_load_dwordx2 s[12:13], s[4:5], 0x10
	s_load_dwordx4 s[0:3], s[4:5], 0x40
	s_mov_b32 s10, s7
	s_mov_b64 s[18:19], 0
	s_waitcnt lgkmcnt(0)
	s_cmp_lg_u64 s[12:13], 0
	s_cselect_b64 s[16:17], -1, 0
	s_cmp_eq_u64 s[12:13], 0
	s_cbranch_scc1 .LBB122_5
; %bb.1:
	s_mov_b32 s11, 0
	s_lshl_b64 s[14:15], s[10:11], 2
	s_add_u32 s12, s12, s14
	s_addc_u32 s13, s13, s15
	s_load_dword s25, s[12:13], 0x0
	s_nop 0
	s_load_dwordx4 s[12:15], s[4:5], 0x68
	s_load_dword s24, s[4:5], 0x50
	s_andn2_b64 vcc, exec, s[18:19]
	s_cbranch_vccnz .LBB122_3
.LBB122_2:
	s_load_dwordx2 s[18:19], s[4:5], 0x5c
	s_waitcnt lgkmcnt(0)
	s_mul_hi_u32 s7, s18, s10
	s_add_i32 s7, s10, s7
	s_lshr_b32 s25, s7, s19
.LBB122_3:
	s_load_dword s26, s[4:5], 0x78
	s_andn2_b64 vcc, exec, s[16:17]
	s_cbranch_vccnz .LBB122_6
; %bb.4:
	s_mul_hi_u32 s1, s1, s10
	s_add_i32 s1, s10, s1
	s_lshr_b32 s1, s1, s2
	s_mul_i32 s1, s1, s3
	s_sub_i32 s1, s10, s1
	s_branch .LBB122_7
.LBB122_5:
                                        ; implicit-def: $sgpr25
	s_load_dwordx4 s[12:15], s[4:5], 0x68
	s_load_dword s24, s[4:5], 0x50
	s_branch .LBB122_2
.LBB122_6:
	s_mov_b32 s1, s10
.LBB122_7:
	s_load_dwordx4 s[16:19], s[4:5], 0x80
	v_lshl_add_u32 v2, v1, 6, v0
	s_lshr_b32 s11, s0, 8
	v_lshrrev_b32_e32 v12, 4, v2
	s_lshl_b32 s9, s6, 1
	v_cmp_gt_u32_e32 vcc, s11, v12
	v_mov_b32_e32 v11, 0
	v_mov_b32_e32 v10, 0
	s_and_saveexec_b64 s[6:7], vcc
	s_cbranch_execz .LBB122_19
; %bb.8:
	s_waitcnt lgkmcnt(0)
	s_mul_hi_u32 s2, s15, s8
	s_add_i32 s2, s8, s2
	s_lshr_b32 s2, s2, s26
	s_mul_i32 s0, s25, s12
	s_mul_i32 s2, s2, s16
	v_lshlrev_b32_e32 v3, 1, v0
	s_load_dwordx4 s[20:23], s[4:5], 0x0
	v_and_b32_e32 v4, 30, v3
	s_add_i32 s16, s0, s2
	s_mul_i32 s2, s9, s24
	s_mul_i32 s13, s1, s13
	v_bfe_u32 v6, v3, 3, 2
	v_and_b32_e32 v3, 3, v0
	v_cmp_lt_u32_e64 s[0:1], 15, v4
	s_add_i32 s15, s16, s2
	s_add_i32 s2, s9, 1
	v_lshrrev_b32_e32 v4, 4, v2
	v_bfe_u32 v2, v0, 2, 2
	v_lshlrev_b32_e32 v14, 2, v3
	s_mul_i32 s24, s24, s2
	v_mul_hi_u32_u24_e32 v3, 0x48, v2
	v_mul_u32_u24_e32 v2, 0x48, v2
	s_movk_i32 s2, 0x120
	s_mul_i32 s12, s17, s8
	v_mad_u64_u32 v[2:3], s[2:3], v4, s2, v[2:3]
	s_add_i32 s16, s16, s24
	s_mul_hi_u32 s3, s12, 36
	s_mul_i32 s12, s12, 36
	s_waitcnt lgkmcnt(0)
	s_add_u32 s12, s22, s12
	s_mul_hi_u32 s2, s13, 36
	s_mul_i32 s13, s13, 36
	s_addc_u32 s3, s23, s3
	s_add_u32 s12, s12, s13
	s_addc_u32 s2, s3, s2
	v_mov_b32_e32 v4, s2
	v_add_co_u32_e32 v2, vcc, s12, v2
	v_addc_co_u32_e32 v3, vcc, v4, v3, vcc
	v_add_co_u32_e32 v2, vcc, 36, v2
	v_mov_b32_e32 v4, s20
	v_lshlrev_b32_e32 v13, 5, v6
	v_mov_b32_e32 v10, 0
	v_addc_co_u32_e32 v3, vcc, 0, v3, vcc
	s_mov_b64 s[12:13], 0
	s_movk_i32 s17, 0x90
	s_mov_b32 s19, 0x5040100
	s_mov_b32 s22, 0x20004
	;; [unrolled: 1-line block ×5, first 2 shown]
	v_mov_b32_e32 v5, s21
	v_lshlrev_b32_e32 v15, 1, v6
	v_mov_b32_e32 v11, 0
	s_branch .LBB122_10
.LBB122_9:                              ;   in Loop: Header=BB122_10 Depth=1
	s_or_b64 exec, exec, s[2:3]
	global_load_dword v6, v[6:7], off
	s_waitcnt vmcnt(5)
	v_and_b32_e32 v7, 0xf0f0f0f, v25
	v_dot4_i32_i8 v7, v7, v23, 0
	s_waitcnt vmcnt(4)
	v_and_b32_e32 v8, 0xf0f0f0f, v22
	v_dot4_i32_i8 v7, v8, v24, v7
	;; [unrolled: 3-line block ×4, first 2 shown]
	v_dot4_i32_i8 v9, s24, v23, 0
	v_dot4_i32_i8 v9, s24, v24, v9
	v_lshrrev_b32_e32 v23, 4, v25
	v_lshrrev_b32_e32 v24, 4, v29
	v_and_b32_e32 v23, 0xf0f0f0f, v23
	v_and_b32_e32 v24, 0xf0f0f0f, v24
	v_lshrrev_b32_e32 v22, 4, v22
	v_lshrrev_b32_e32 v25, 4, v26
	v_dot4_i32_i8 v23, v23, v20, 0
	v_dot4_i32_i8 v24, v24, v20, 0
	;; [unrolled: 1-line block ×3, first 2 shown]
	v_and_b32_e32 v22, 0xf0f0f0f, v22
	v_and_b32_e32 v25, 0xf0f0f0f, v25
	v_dot4_i32_i8 v22, v22, v18, v23
	v_dot4_i32_i8 v24, v25, v18, v24
	v_and_b32_e32 v25, 0xff, v21
	v_dot4_i32_i8 v18, s24, v18, v20
	v_and_b32_sdwa v20, s25, v28 dst_sel:DWORD dst_unused:UNUSED_PAD src0_sel:DWORD src1_sel:BYTE_0
	v_lshrrev_b16_e32 v23, 8, v21
	v_mul_lo_u32 v25, v9, v25
	v_mul_lo_u32 v9, v9, v20
	v_lshrrev_b16_e32 v26, 8, v28
	v_lshrrev_b32_e32 v20, 24, v21
	v_bfe_u32 v21, v21, 16, 8
	v_mul_lo_u32 v23, v18, v23
	v_mul_lo_u32 v18, v18, v26
	;; [unrolled: 1-line block ×3, first 2 shown]
	v_lshrrev_b16_e32 v21, 8, v27
	v_and_b32_sdwa v27, s25, v27 dst_sel:DWORD dst_unused:UNUSED_PAD src0_sel:DWORD src1_sel:BYTE_0
	v_mul_lo_u32 v8, v8, v27
	v_mul_lo_u32 v20, v22, v20
	v_cvt_f32_i32_e32 v9, v9
	v_mul_lo_u32 v21, v24, v21
	v_cvt_f32_i32_e32 v22, v25
	v_cvt_f32_i32_e32 v18, v18
	v_cvt_f32_i32_e32 v23, v23
	v_cvt_f32_i32_e32 v7, v7
	v_cvt_f32_f16_sdwa v26, v19 dst_sel:DWORD dst_unused:UNUSED_PAD src0_sel:WORD_1
	v_cvt_f32_i32_e32 v8, v8
	v_cvt_f32_i32_e32 v20, v20
	v_fma_mix_f32 v9, v16, v9, 0 op_sel_hi:[1,0,0]
	v_cvt_f32_i32_e32 v21, v21
	v_fma_mix_f32 v22, v16, v22, 0 op_sel_hi:[1,0,0]
	v_fma_mix_f32 v9, v17, v18, v9 op_sel_hi:[1,0,0]
	v_fma_mix_f32 v7, v16, v7, 0 op_sel_hi:[1,0,0]
	v_fma_mix_f32 v22, v17, v23, v22 op_sel_hi:[1,0,0]
	v_fma_mix_f32 v8, v16, v8, 0 op_sel_hi:[1,0,0]
	v_fma_mix_f32 v7, v17, v20, v7 op_sel_hi:[1,0,0]
	v_mul_f32_e32 v16, v22, v26
	v_fma_mix_f32 v7, v7, v19, -v16 op_sel_hi:[0,1,0]
	v_add_u32_e32 v12, 8, v12
	v_fma_mix_f32 v8, v17, v21, v8 op_sel_hi:[1,0,0]
	v_add_f32_e32 v10, v10, v7
	v_add_co_u32_e32 v2, vcc, 0x900, v2
	v_cmp_le_u32_e64 s[2:3], s11, v12
	s_or_b64 s[12:13], s[2:3], s[12:13]
	v_addc_co_u32_e32 v3, vcc, 0, v3, vcc
	s_waitcnt vmcnt(0)
	v_cvt_f32_f16_sdwa v18, v6 dst_sel:DWORD dst_unused:UNUSED_PAD src0_sel:WORD_1
	v_mul_f32_e32 v7, v9, v18
	v_fma_mix_f32 v6, v8, v6, -v7 op_sel_hi:[0,1,0]
	v_add_f32_e32 v11, v11, v6
	s_andn2_b64 exec, exec, s[12:13]
	s_cbranch_execz .LBB122_18
.LBB122_10:                             ; =>This Inner Loop Header: Depth=1
	v_add_u32_e32 v8, s15, v12
	v_mad_i64_i32 v[8:9], s[2:3], v8, s17, v[4:5]
	v_add_co_u32_e32 v6, vcc, v2, v14
	v_addc_co_u32_e32 v7, vcc, 0, v3, vcc
	global_load_dword v16, v[2:3], off offset:-36
	global_load_dword v17, v[2:3], off
	global_load_dword v23, v[6:7], off offset:-32
	global_load_dword v24, v[6:7], off offset:-16
	global_load_dword v20, v[6:7], off offset:4
	global_load_dword v18, v[6:7], off offset:20
	v_add_co_u32_e32 v6, vcc, v8, v13
	v_addc_co_u32_e32 v7, vcc, 0, v9, vcc
	v_add_co_u32_e32 v6, vcc, v6, v14
	v_addc_co_u32_e32 v7, vcc, 0, v7, vcc
	global_load_dword v25, v[6:7], off offset:16
	global_load_dword v22, v[6:7], off offset:32
	v_add_co_u32_e32 v6, vcc, v8, v15
	v_addc_co_u32_e32 v7, vcc, 0, v9, vcc
                                        ; implicit-def: $vgpr21
	s_and_saveexec_b64 s[2:3], s[0:1]
	s_xor_b64 s[2:3], exec, s[2:3]
	s_cbranch_execz .LBB122_12
; %bb.11:                               ;   in Loop: Header=BB122_10 Depth=1
	global_load_ushort v19, v[6:7], off
	global_load_ushort v21, v[6:7], off offset:8
	global_load_ushort v26, v[6:7], off offset:4
	s_waitcnt vmcnt(1)
	v_perm_b32 v6, v19, v21, s19
	s_waitcnt vmcnt(0)
	v_perm_b32 v7, v21, v26, s19
	v_pk_lshrrev_b16 v7, 2, v7
	v_pk_lshrrev_b16 v6, s22, v6
	v_and_b32_e32 v7, 0xf0f3030, v7
	v_and_or_b32 v21, v6, s23, v7
                                        ; implicit-def: $vgpr6_vgpr7
.LBB122_12:                             ;   in Loop: Header=BB122_10 Depth=1
	s_andn2_saveexec_b64 s[2:3], s[2:3]
	s_cbranch_execz .LBB122_14
; %bb.13:                               ;   in Loop: Header=BB122_10 Depth=1
	global_load_ushort v19, v[6:7], off offset:4
	global_load_ushort v21, v[6:7], off offset:8
	s_waitcnt vmcnt(0)
	v_perm_b32 v6, v19, v21, s19
	v_and_b32_e32 v21, 0x3f3f3f3f, v6
.LBB122_14:                             ;   in Loop: Header=BB122_10 Depth=1
	s_or_b64 exec, exec, s[2:3]
	v_mov_b32_e32 v6, s20
	v_add_u32_e32 v19, s16, v12
	v_mov_b32_e32 v7, s21
	v_mad_i64_i32 v[6:7], s[2:3], v19, s17, v[6:7]
	v_add_co_u32_e32 v19, vcc, v6, v13
	v_addc_co_u32_e32 v26, vcc, 0, v7, vcc
	v_add_co_u32_e32 v27, vcc, v19, v14
	v_addc_co_u32_e32 v28, vcc, 0, v26, vcc
	global_load_dword v19, v[8:9], off
	global_load_dword v29, v[27:28], off offset:16
	global_load_dword v26, v[27:28], off offset:32
	v_add_co_u32_e32 v8, vcc, v6, v15
	v_addc_co_u32_e32 v9, vcc, 0, v7, vcc
                                        ; implicit-def: $vgpr27
                                        ; implicit-def: $vgpr28
	s_and_saveexec_b64 s[2:3], s[0:1]
	s_xor_b64 s[2:3], exec, s[2:3]
	s_cbranch_execz .LBB122_16
; %bb.15:                               ;   in Loop: Header=BB122_10 Depth=1
	global_load_ushort v27, v[8:9], off offset:8
	global_load_ushort v28, v[8:9], off
	global_load_ushort v30, v[8:9], off offset:4
	s_waitcnt vmcnt(2)
	v_and_b32_e32 v8, 0xf0f, v27
	s_waitcnt vmcnt(1)
	v_lshrrev_b16_e32 v9, 2, v28
	v_lshrrev_b16_e32 v27, 4, v27
	s_waitcnt vmcnt(0)
	v_lshrrev_b16_e32 v28, 2, v30
	v_and_b32_e32 v9, 0x3030, v9
	v_and_b32_e32 v30, 0xf0f, v27
	;; [unrolled: 1-line block ×3, first 2 shown]
	v_or_b32_e32 v27, v9, v8
	v_or_b32_e32 v28, v28, v30
                                        ; implicit-def: $vgpr8_vgpr9
.LBB122_16:                             ;   in Loop: Header=BB122_10 Depth=1
	s_andn2_saveexec_b64 s[2:3], s[2:3]
	s_cbranch_execz .LBB122_9
; %bb.17:                               ;   in Loop: Header=BB122_10 Depth=1
	global_load_ushort v27, v[8:9], off offset:4
	global_load_ushort v28, v[8:9], off offset:8
	s_waitcnt vmcnt(1)
	v_and_b32_e32 v27, 0x3f3f, v27
	s_waitcnt vmcnt(0)
	v_and_b32_e32 v28, 0x3f3f, v28
	s_branch .LBB122_9
.LBB122_18:
	s_or_b64 exec, exec, s[12:13]
.LBB122_19:
	s_or_b64 exec, exec, s[6:7]
	v_cmp_eq_u32_e32 vcc, 0, v1
	v_cmp_ne_u32_e64 s[0:1], 0, v1
	v_lshlrev_b32_e32 v2, 2, v0
	s_and_saveexec_b64 s[2:3], s[0:1]
; %bb.20:
	v_lshl_or_b32 v1, v1, 9, v2
	v_add_u32_e32 v1, 0xfffffe00, v1
	ds_write2st64_b32 v1, v10, v11 offset1:1
; %bb.21:
	s_or_b64 exec, exec, s[2:3]
	s_waitcnt lgkmcnt(0)
	s_barrier
	s_and_saveexec_b64 s[0:1], vcc
	s_cbranch_execz .LBB122_24
; %bb.22:
	v_mbcnt_lo_u32_b32 v1, -1, 0
	v_mbcnt_hi_u32_b32 v1, -1, v1
	v_and_b32_e32 v3, 64, v1
	v_add_u32_e32 v5, 64, v3
	v_xor_b32_e32 v3, 32, v1
	v_cmp_lt_i32_e32 vcc, v3, v5
	v_cndmask_b32_e32 v3, v1, v3, vcc
	v_lshlrev_b32_e32 v6, 2, v3
	v_xor_b32_e32 v3, 16, v1
	v_cmp_lt_i32_e32 vcc, v3, v5
	v_cndmask_b32_e32 v3, v1, v3, vcc
	v_lshlrev_b32_e32 v7, 2, v3
	ds_read2st64_b32 v[3:4], v2 offset1:1
	v_xor_b32_e32 v8, 8, v1
	v_cmp_lt_i32_e32 vcc, v8, v5
	v_cndmask_b32_e32 v8, v1, v8, vcc
	v_lshlrev_b32_e32 v8, 2, v8
	s_waitcnt lgkmcnt(0)
	v_add_f32_e32 v3, v10, v3
	v_add_f32_e32 v4, v11, v4
	ds_bpermute_b32 v10, v6, v3
	ds_bpermute_b32 v6, v6, v4
	v_xor_b32_e32 v9, 4, v1
	v_cmp_lt_i32_e32 vcc, v9, v5
	v_cndmask_b32_e32 v9, v1, v9, vcc
	s_waitcnt lgkmcnt(1)
	v_add_f32_e32 v3, v3, v10
	s_waitcnt lgkmcnt(0)
	v_add_f32_e32 v4, v4, v6
	ds_bpermute_b32 v10, v7, v3
	ds_bpermute_b32 v6, v7, v4
	v_lshlrev_b32_e32 v7, 2, v9
	v_xor_b32_e32 v9, 2, v1
	v_cmp_lt_i32_e32 vcc, v9, v5
	s_waitcnt lgkmcnt(1)
	v_add_f32_e32 v3, v3, v10
	s_waitcnt lgkmcnt(0)
	v_add_f32_e32 v4, v4, v6
	ds_bpermute_b32 v10, v8, v3
	ds_bpermute_b32 v6, v8, v4
	v_cndmask_b32_e32 v8, v1, v9, vcc
	s_load_dword s0, s[4:5], 0x58
	s_mov_b32 s3, 0
	s_waitcnt lgkmcnt(0)
	v_add_f32_e32 v3, v3, v10
	v_add_f32_e32 v4, v4, v6
	ds_bpermute_b32 v9, v7, v3
	ds_bpermute_b32 v6, v7, v4
	v_lshlrev_b32_e32 v7, 2, v8
	v_xor_b32_e32 v8, 1, v1
	v_cmp_lt_i32_e32 vcc, v8, v5
	s_waitcnt lgkmcnt(1)
	v_add_f32_e32 v3, v3, v9
	s_waitcnt lgkmcnt(0)
	v_add_f32_e32 v4, v4, v6
	ds_bpermute_b32 v9, v7, v3
	ds_bpermute_b32 v6, v7, v4
	v_cndmask_b32_e32 v1, v1, v8, vcc
	v_lshlrev_b32_e32 v5, 2, v1
	s_waitcnt lgkmcnt(1)
	v_add_f32_e32 v1, v3, v9
	s_waitcnt lgkmcnt(0)
	v_add_f32_e32 v4, v4, v6
	ds_bpermute_b32 v3, v5, v1
	ds_bpermute_b32 v5, v5, v4
	v_or_b32_e32 v6, s9, v0
	v_cmp_gt_u32_e32 vcc, s0, v6
	v_cmp_gt_u32_e64 s[0:1], 2, v0
	s_and_b64 s[0:1], s[0:1], vcc
	s_and_b64 exec, exec, s[0:1]
	s_cbranch_execz .LBB122_24
; %bb.23:
	s_load_dwordx2 s[0:1], s[4:5], 0x38
	s_mul_i32 s2, s14, s10
	s_add_i32 s2, s2, s9
	s_mul_i32 s4, s18, s8
	s_add_i32 s2, s2, s4
	s_lshl_b64 s[2:3], s[2:3], 2
	s_waitcnt lgkmcnt(0)
	s_add_u32 s0, s0, s2
	v_add_f32_e32 v4, v4, v5
	v_add_f32_e32 v1, v1, v3
	v_cmp_eq_u32_e32 vcc, 1, v0
	s_addc_u32 s1, s1, s3
	v_cndmask_b32_e32 v0, v1, v4, vcc
	global_store_dword v2, v0, s[0:1]
.LBB122_24:
	s_endpgm
	.section	.rodata,"a",@progbits
	.p2align	6, 0x0
	.amdhsa_kernel _ZL13mul_mat_vec_qIL9ggml_type12ELi1ELb0ELb1EEvPKvS2_PKi31ggml_cuda_mm_fusion_args_devicePfj15HIP_vector_typeIjLj3EEjjjS8_jjjS8_jjjj
		.amdhsa_group_segment_fixed_size 512
		.amdhsa_private_segment_fixed_size 0
		.amdhsa_kernarg_size 144
		.amdhsa_user_sgpr_count 6
		.amdhsa_user_sgpr_private_segment_buffer 1
		.amdhsa_user_sgpr_dispatch_ptr 0
		.amdhsa_user_sgpr_queue_ptr 0
		.amdhsa_user_sgpr_kernarg_segment_ptr 1
		.amdhsa_user_sgpr_dispatch_id 0
		.amdhsa_user_sgpr_flat_scratch_init 0
		.amdhsa_user_sgpr_private_segment_size 0
		.amdhsa_uses_dynamic_stack 0
		.amdhsa_system_sgpr_private_segment_wavefront_offset 0
		.amdhsa_system_sgpr_workgroup_id_x 1
		.amdhsa_system_sgpr_workgroup_id_y 1
		.amdhsa_system_sgpr_workgroup_id_z 1
		.amdhsa_system_sgpr_workgroup_info 0
		.amdhsa_system_vgpr_workitem_id 1
		.amdhsa_next_free_vgpr 31
		.amdhsa_next_free_sgpr 27
		.amdhsa_reserve_vcc 1
		.amdhsa_reserve_flat_scratch 0
		.amdhsa_float_round_mode_32 0
		.amdhsa_float_round_mode_16_64 0
		.amdhsa_float_denorm_mode_32 3
		.amdhsa_float_denorm_mode_16_64 3
		.amdhsa_dx10_clamp 1
		.amdhsa_ieee_mode 1
		.amdhsa_fp16_overflow 0
		.amdhsa_exception_fp_ieee_invalid_op 0
		.amdhsa_exception_fp_denorm_src 0
		.amdhsa_exception_fp_ieee_div_zero 0
		.amdhsa_exception_fp_ieee_overflow 0
		.amdhsa_exception_fp_ieee_underflow 0
		.amdhsa_exception_fp_ieee_inexact 0
		.amdhsa_exception_int_div_zero 0
	.end_amdhsa_kernel
	.section	.text._ZL13mul_mat_vec_qIL9ggml_type12ELi1ELb0ELb1EEvPKvS2_PKi31ggml_cuda_mm_fusion_args_devicePfj15HIP_vector_typeIjLj3EEjjjS8_jjjS8_jjjj,"axG",@progbits,_ZL13mul_mat_vec_qIL9ggml_type12ELi1ELb0ELb1EEvPKvS2_PKi31ggml_cuda_mm_fusion_args_devicePfj15HIP_vector_typeIjLj3EEjjjS8_jjjS8_jjjj,comdat
.Lfunc_end122:
	.size	_ZL13mul_mat_vec_qIL9ggml_type12ELi1ELb0ELb1EEvPKvS2_PKi31ggml_cuda_mm_fusion_args_devicePfj15HIP_vector_typeIjLj3EEjjjS8_jjjS8_jjjj, .Lfunc_end122-_ZL13mul_mat_vec_qIL9ggml_type12ELi1ELb0ELb1EEvPKvS2_PKi31ggml_cuda_mm_fusion_args_devicePfj15HIP_vector_typeIjLj3EEjjjS8_jjjS8_jjjj
                                        ; -- End function
	.set _ZL13mul_mat_vec_qIL9ggml_type12ELi1ELb0ELb1EEvPKvS2_PKi31ggml_cuda_mm_fusion_args_devicePfj15HIP_vector_typeIjLj3EEjjjS8_jjjS8_jjjj.num_vgpr, 31
	.set _ZL13mul_mat_vec_qIL9ggml_type12ELi1ELb0ELb1EEvPKvS2_PKi31ggml_cuda_mm_fusion_args_devicePfj15HIP_vector_typeIjLj3EEjjjS8_jjjS8_jjjj.num_agpr, 0
	.set _ZL13mul_mat_vec_qIL9ggml_type12ELi1ELb0ELb1EEvPKvS2_PKi31ggml_cuda_mm_fusion_args_devicePfj15HIP_vector_typeIjLj3EEjjjS8_jjjS8_jjjj.numbered_sgpr, 27
	.set _ZL13mul_mat_vec_qIL9ggml_type12ELi1ELb0ELb1EEvPKvS2_PKi31ggml_cuda_mm_fusion_args_devicePfj15HIP_vector_typeIjLj3EEjjjS8_jjjS8_jjjj.num_named_barrier, 0
	.set _ZL13mul_mat_vec_qIL9ggml_type12ELi1ELb0ELb1EEvPKvS2_PKi31ggml_cuda_mm_fusion_args_devicePfj15HIP_vector_typeIjLj3EEjjjS8_jjjS8_jjjj.private_seg_size, 0
	.set _ZL13mul_mat_vec_qIL9ggml_type12ELi1ELb0ELb1EEvPKvS2_PKi31ggml_cuda_mm_fusion_args_devicePfj15HIP_vector_typeIjLj3EEjjjS8_jjjS8_jjjj.uses_vcc, 1
	.set _ZL13mul_mat_vec_qIL9ggml_type12ELi1ELb0ELb1EEvPKvS2_PKi31ggml_cuda_mm_fusion_args_devicePfj15HIP_vector_typeIjLj3EEjjjS8_jjjS8_jjjj.uses_flat_scratch, 0
	.set _ZL13mul_mat_vec_qIL9ggml_type12ELi1ELb0ELb1EEvPKvS2_PKi31ggml_cuda_mm_fusion_args_devicePfj15HIP_vector_typeIjLj3EEjjjS8_jjjS8_jjjj.has_dyn_sized_stack, 0
	.set _ZL13mul_mat_vec_qIL9ggml_type12ELi1ELb0ELb1EEvPKvS2_PKi31ggml_cuda_mm_fusion_args_devicePfj15HIP_vector_typeIjLj3EEjjjS8_jjjS8_jjjj.has_recursion, 0
	.set _ZL13mul_mat_vec_qIL9ggml_type12ELi1ELb0ELb1EEvPKvS2_PKi31ggml_cuda_mm_fusion_args_devicePfj15HIP_vector_typeIjLj3EEjjjS8_jjjS8_jjjj.has_indirect_call, 0
	.section	.AMDGPU.csdata,"",@progbits
; Kernel info:
; codeLenInByte = 1960
; TotalNumSgprs: 31
; NumVgprs: 31
; ScratchSize: 0
; MemoryBound: 0
; FloatMode: 240
; IeeeMode: 1
; LDSByteSize: 512 bytes/workgroup (compile time only)
; SGPRBlocks: 3
; VGPRBlocks: 7
; NumSGPRsForWavesPerEU: 31
; NumVGPRsForWavesPerEU: 31
; Occupancy: 8
; WaveLimiterHint : 0
; COMPUTE_PGM_RSRC2:SCRATCH_EN: 0
; COMPUTE_PGM_RSRC2:USER_SGPR: 6
; COMPUTE_PGM_RSRC2:TRAP_HANDLER: 0
; COMPUTE_PGM_RSRC2:TGID_X_EN: 1
; COMPUTE_PGM_RSRC2:TGID_Y_EN: 1
; COMPUTE_PGM_RSRC2:TGID_Z_EN: 1
; COMPUTE_PGM_RSRC2:TIDIG_COMP_CNT: 1
	.section	.text._ZL13mul_mat_vec_qIL9ggml_type12ELi1ELb1ELb0EEvPKvS2_PKi31ggml_cuda_mm_fusion_args_devicePfj15HIP_vector_typeIjLj3EEjjjS8_jjjS8_jjjj,"axG",@progbits,_ZL13mul_mat_vec_qIL9ggml_type12ELi1ELb1ELb0EEvPKvS2_PKi31ggml_cuda_mm_fusion_args_devicePfj15HIP_vector_typeIjLj3EEjjjS8_jjjS8_jjjj,comdat
	.globl	_ZL13mul_mat_vec_qIL9ggml_type12ELi1ELb1ELb0EEvPKvS2_PKi31ggml_cuda_mm_fusion_args_devicePfj15HIP_vector_typeIjLj3EEjjjS8_jjjS8_jjjj ; -- Begin function _ZL13mul_mat_vec_qIL9ggml_type12ELi1ELb1ELb0EEvPKvS2_PKi31ggml_cuda_mm_fusion_args_devicePfj15HIP_vector_typeIjLj3EEjjjS8_jjjS8_jjjj
	.p2align	8
	.type	_ZL13mul_mat_vec_qIL9ggml_type12ELi1ELb1ELb0EEvPKvS2_PKi31ggml_cuda_mm_fusion_args_devicePfj15HIP_vector_typeIjLj3EEjjjS8_jjjS8_jjjj,@function
_ZL13mul_mat_vec_qIL9ggml_type12ELi1ELb1ELb0EEvPKvS2_PKi31ggml_cuda_mm_fusion_args_devicePfj15HIP_vector_typeIjLj3EEjjjS8_jjjS8_jjjj: ; @_ZL13mul_mat_vec_qIL9ggml_type12ELi1ELb1ELb0EEvPKvS2_PKi31ggml_cuda_mm_fusion_args_devicePfj15HIP_vector_typeIjLj3EEjjjS8_jjjS8_jjjj
; %bb.0:
	s_load_dwordx8 s[12:19], s[4:5], 0x0
	s_load_dwordx4 s[28:31], s[4:5], 0x20
	s_load_dwordx4 s[36:39], s[4:5], 0x40
	;; [unrolled: 1-line block ×3, first 2 shown]
	s_mov_b32 s34, s7
	s_waitcnt lgkmcnt(0)
	s_cmp_lg_u64 s[16:17], 0
	s_cselect_b64 s[0:1], -1, 0
	s_cmp_eq_u64 s[16:17], 0
	s_mov_b64 s[2:3], 0
	s_cbranch_scc1 .LBB123_5
; %bb.1:
	s_mov_b32 s35, 0
	s_lshl_b64 s[10:11], s[34:35], 2
	s_add_u32 s10, s16, s10
	s_addc_u32 s11, s17, s11
	s_load_dword s9, s[10:11], 0x0
	s_load_dword s33, s[4:5], 0x50
	s_load_dword s35, s[4:5], 0x78
	s_andn2_b64 vcc, exec, s[2:3]
	s_cbranch_vccnz .LBB123_3
.LBB123_2:
	s_load_dwordx2 s[2:3], s[4:5], 0x5c
	s_waitcnt lgkmcnt(0)
	s_mul_hi_u32 s2, s2, s34
	s_add_i32 s2, s34, s2
	s_lshr_b32 s9, s2, s3
.LBB123_3:
	s_andn2_b64 vcc, exec, s[0:1]
	s_cbranch_vccnz .LBB123_6
; %bb.4:
	s_mul_hi_u32 s0, s37, s34
	s_add_i32 s0, s34, s0
	s_lshr_b32 s0, s0, s38
	s_mul_i32 s0, s0, s39
	s_sub_i32 s37, s34, s0
	s_waitcnt lgkmcnt(0)
	s_mov_b32 s2, s9
	s_branch .LBB123_7
.LBB123_5:
                                        ; implicit-def: $sgpr9
	s_load_dword s33, s[4:5], 0x50
	s_load_dword s35, s[4:5], 0x78
	s_branch .LBB123_2
.LBB123_6:
	s_mov_b32 s2, s34
	s_mov_b32 s37, s34
.LBB123_7:
	s_load_dwordx4 s[24:27], s[4:5], 0x80
	s_cmp_lg_u64 s[18:19], 0
	v_or_b32_e32 v2, v0, v1
	s_cselect_b64 s[0:1], -1, 0
	v_cmp_eq_u32_e32 vcc, 0, v2
	s_mov_b32 s17, 0
	s_and_b64 s[38:39], s[0:1], vcc
	v_mov_b32_e32 v11, 0
	s_mul_i32 s10, s2, s22
	v_lshlrev_b32_e32 v10, 2, v0
	v_mov_b32_e32 v12, 0
	s_and_saveexec_b64 s[2:3], s[38:39]
	s_cbranch_execz .LBB123_9
; %bb.8:
	s_waitcnt lgkmcnt(0)
	s_mul_i32 s16, s26, s8
	s_lshl_b64 s[38:39], s[16:17], 2
	s_add_u32 s7, s18, s38
	s_mov_b32 s11, s17
	s_addc_u32 s18, s19, s39
	s_lshl_b64 s[16:17], s[10:11], 2
	s_add_u32 s11, s7, s16
	s_addc_u32 s18, s18, s17
	s_ashr_i32 s7, s6, 31
	s_lshl_b64 s[16:17], s[6:7], 2
	s_add_u32 s16, s11, s16
	s_addc_u32 s17, s18, s17
	global_load_dword v12, v10, s[16:17]
.LBB123_9:
	s_or_b64 exec, exec, s[2:3]
	s_cmp_lg_u64 s[28:29], 0
	s_cselect_b64 s[16:17], -1, 0
	s_cmp_lg_u64 s[30:31], 0
	s_cselect_b64 s[2:3], -1, 0
	s_and_b64 s[18:19], s[2:3], s[16:17]
	s_and_b64 s[38:39], s[18:19], vcc
	s_and_saveexec_b64 s[18:19], s[38:39]
	s_cbranch_execz .LBB123_11
; %bb.10:
	s_waitcnt lgkmcnt(0)
	s_mul_i32 s38, s26, s8
	s_mov_b32 s39, 0
	s_lshl_b64 s[40:41], s[38:39], 2
	s_add_u32 s7, s30, s40
	s_mov_b32 s11, s39
	s_addc_u32 s27, s31, s41
	s_lshl_b64 s[10:11], s[10:11], 2
	s_add_u32 s30, s7, s10
	s_addc_u32 s27, s27, s11
	s_ashr_i32 s7, s6, 31
	s_lshl_b64 s[10:11], s[6:7], 2
	s_add_u32 s10, s30, s10
	s_addc_u32 s11, s27, s11
	global_load_dword v11, v10, s[10:11]
.LBB123_11:
	s_or_b64 exec, exec, s[18:19]
	v_lshl_add_u32 v2, v1, 6, v0
	s_lshr_b32 s7, s36, 8
	v_lshrrev_b32_e32 v15, 4, v2
	v_cmp_gt_u32_e32 vcc, s7, v15
	v_mov_b32_e32 v14, 0
	v_mov_b32_e32 v13, 0
	s_and_saveexec_b64 s[18:19], vcc
	s_cbranch_execz .LBB123_25
; %bb.12:
	s_mul_hi_u32 s10, s23, s8
	s_add_i32 s10, s8, s10
	s_waitcnt lgkmcnt(0)
	s_lshr_b32 s10, s10, s35
	s_mul_i32 s33, s33, s6
	s_mul_i32 s10, s10, s24
	v_lshlrev_b32_e32 v3, 1, v0
	s_mul_i32 s9, s9, s20
	v_and_b32_e32 v4, 30, v3
	s_add_i32 s10, s10, s33
	s_add_i32 s9, s9, s10
	v_bfe_u32 v6, v3, 3, 2
	v_and_b32_e32 v3, 3, v0
	v_cmp_lt_u32_e64 s[10:11], 15, v4
	v_lshrrev_b32_e32 v4, 4, v2
	v_bfe_u32 v2, v0, 2, 2
	v_lshlrev_b32_e32 v17, 2, v3
	v_mul_hi_u32_u24_e32 v3, 0x48, v2
	v_mul_u32_u24_e32 v2, 0x48, v2
	s_movk_i32 s20, 0x120
	s_mul_i32 s23, s25, s8
	s_mul_i32 s24, s37, s21
	v_mad_u64_u32 v[2:3], s[20:21], v4, s20, v[2:3]
	s_mul_hi_u32 s21, s23, 36
	s_mul_i32 s23, s23, 36
	s_add_u32 s14, s14, s23
	s_mul_hi_u32 s20, s24, 36
	s_mul_i32 s24, s24, 36
	s_addc_u32 s15, s15, s21
	s_add_u32 s14, s14, s24
	s_addc_u32 s15, s15, s20
	v_mov_b32_e32 v4, s15
	v_add_co_u32_e32 v2, vcc, s14, v2
	v_addc_co_u32_e32 v3, vcc, v4, v3, vcc
	v_add_co_u32_e32 v2, vcc, 36, v2
	v_mov_b32_e32 v4, s12
	v_lshlrev_b32_e32 v16, 5, v6
	v_mov_b32_e32 v14, 0
	v_addc_co_u32_e32 v3, vcc, 0, v3, vcc
	s_mov_b64 s[14:15], 0
	s_movk_i32 s20, 0x90
	s_mov_b32 s21, 0x5040100
	s_mov_b32 s23, 0x20004
	;; [unrolled: 1-line block ×4, first 2 shown]
	v_mov_b32_e32 v5, s13
	v_lshlrev_b32_e32 v18, 1, v6
	v_mov_b32_e32 v13, 0
	s_branch .LBB123_15
.LBB123_13:                             ;   in Loop: Header=BB123_15 Depth=1
	s_or_b64 exec, exec, s[12:13]
	global_load_dword v6, v[6:7], off
	s_waitcnt vmcnt(2)
	v_and_b32_e32 v7, 0xf0f0f0f, v32
	v_lshrrev_b32_e32 v9, 4, v32
	s_waitcnt vmcnt(1)
	v_and_b32_e32 v8, 0xf0f0f0f, v31
	v_dot4_i32_i8 v7, v7, v22, 0
	v_and_b32_e32 v9, 0xf0f0f0f, v9
	v_lshrrev_b32_e32 v31, 4, v31
	v_dot4_i32_i8 v7, v8, v23, v7
	v_bfe_u32 v8, v33, 16, 8
	v_and_b32_e32 v31, 0xf0f0f0f, v31
	v_dot4_i32_i8 v9, v9, v20, 0
	v_mul_lo_u32 v7, v7, v8
	v_lshrrev_b32_e32 v8, 24, v33
	v_dot4_i32_i8 v9, v31, v21, v9
	v_and_b32_e32 v31, 0xff, v33
	v_mul_lo_u32 v8, v9, v8
	v_lshrrev_b16_e32 v9, 8, v33
	v_mul_lo_u32 v31, v30, v31
	v_mul_lo_u32 v9, v29, v9
	v_cvt_f32_i32_e32 v7, v7
	v_cvt_f32_i32_e32 v8, v8
	;; [unrolled: 1-line block ×4, first 2 shown]
	v_fma_f32 v7, v28, v7, 0
	v_fmac_f32_e32 v7, v27, v8
	v_fma_f32 v8, v28, v31, 0
	v_fmac_f32_e32 v8, v27, v9
	s_waitcnt vmcnt(0)
	v_cvt_f32_f16_sdwa v32, v6 dst_sel:DWORD dst_unused:UNUSED_PAD src0_sel:WORD_1
	v_mul_f32_e32 v8, v8, v32
	v_fma_mix_f32 v6, v7, v6, -v8 op_sel_hi:[0,1,0]
	v_add_f32_e32 v13, v13, v6
.LBB123_14:                             ;   in Loop: Header=BB123_15 Depth=1
	s_waitcnt vmcnt(2)
	v_and_b32_e32 v6, 0xf0f0f0f, v25
	s_waitcnt vmcnt(1)
	v_and_b32_e32 v7, 0xf0f0f0f, v24
	v_dot4_i32_i8 v6, v6, v22, 0
	v_dot4_i32_i8 v6, v7, v23, v6
	v_lshrrev_b32_e32 v7, 4, v25
	v_and_b32_e32 v7, 0xf0f0f0f, v7
	v_lshrrev_b32_e32 v8, 4, v24
	v_and_b32_e32 v8, 0xf0f0f0f, v8
	v_dot4_i32_i8 v7, v7, v20, 0
	v_dot4_i32_i8 v7, v8, v21, v7
	v_bfe_u32 v21, v26, 16, 8
	v_mul_lo_u32 v6, v6, v21
	v_and_b32_e32 v21, 0xff, v26
	v_lshrrev_b16_e32 v9, 8, v26
	v_mul_lo_u32 v21, v30, v21
	v_lshrrev_b32_e32 v20, 24, v26
	v_mul_lo_u32 v9, v29, v9
	v_mul_lo_u32 v7, v7, v20
	v_cvt_f32_i32_e32 v20, v21
	v_cvt_f32_i32_e32 v6, v6
	;; [unrolled: 1-line block ×3, first 2 shown]
	s_waitcnt vmcnt(0)
	v_cvt_f32_f16_sdwa v8, v19 dst_sel:DWORD dst_unused:UNUSED_PAD src0_sel:WORD_1
	v_cvt_f32_i32_e32 v7, v7
	v_fma_f32 v20, v28, v20, 0
	v_fma_f32 v6, v28, v6, 0
	v_fmac_f32_e32 v20, v27, v9
	v_fmac_f32_e32 v6, v27, v7
	v_mul_f32_e32 v7, v20, v8
	v_add_u32_e32 v15, 8, v15
	v_fma_mix_f32 v6, v6, v19, -v7 op_sel_hi:[0,1,0]
	v_add_co_u32_e32 v2, vcc, 0x900, v2
	v_cmp_le_u32_e64 s[12:13], s7, v15
	v_add_f32_e32 v14, v14, v6
	s_or_b64 s[14:15], s[12:13], s[14:15]
	v_addc_co_u32_e32 v3, vcc, 0, v3, vcc
	s_andn2_b64 exec, exec, s[14:15]
	s_cbranch_execz .LBB123_24
.LBB123_15:                             ; =>This Inner Loop Header: Depth=1
	v_add_u32_e32 v8, s9, v15
	v_mad_i64_i32 v[6:7], s[12:13], v8, s20, v[4:5]
                                        ; implicit-def: $vgpr26
	v_add_co_u32_e32 v9, vcc, v6, v16
	v_addc_co_u32_e32 v19, vcc, 0, v7, vcc
	v_add_co_u32_e32 v28, vcc, v9, v17
	v_addc_co_u32_e32 v29, vcc, 0, v19, vcc
	;; [unrolled: 2-line block ×3, first 2 shown]
	global_load_dword v9, v[2:3], off offset:-36
	global_load_dword v22, v[30:31], off offset:-32
	;; [unrolled: 1-line block ×3, first 2 shown]
	global_load_dword v27, v[2:3], off
	global_load_dword v20, v[30:31], off offset:4
	global_load_dword v21, v[30:31], off offset:20
	;; [unrolled: 1-line block ×4, first 2 shown]
	global_load_dword v19, v[6:7], off
	v_add_co_u32_e32 v6, vcc, v6, v18
	v_addc_co_u32_e32 v7, vcc, 0, v7, vcc
	s_and_saveexec_b64 s[12:13], s[10:11]
	s_xor_b64 s[12:13], exec, s[12:13]
	s_cbranch_execz .LBB123_17
; %bb.16:                               ;   in Loop: Header=BB123_15 Depth=1
	global_load_ushort v26, v[6:7], off
	global_load_ushort v28, v[6:7], off offset:8
	global_load_ushort v29, v[6:7], off offset:4
	s_waitcnt vmcnt(1)
	v_perm_b32 v6, v26, v28, s21
	s_waitcnt vmcnt(0)
	v_perm_b32 v7, v28, v29, s21
	v_pk_lshrrev_b16 v7, 2, v7
	v_pk_lshrrev_b16 v6, s23, v6
	v_and_b32_e32 v7, 0xf0f3030, v7
	v_and_or_b32 v26, v6, s24, v7
                                        ; implicit-def: $vgpr6_vgpr7
.LBB123_17:                             ;   in Loop: Header=BB123_15 Depth=1
	s_andn2_saveexec_b64 s[12:13], s[12:13]
	s_cbranch_execz .LBB123_19
; %bb.18:                               ;   in Loop: Header=BB123_15 Depth=1
	global_load_ushort v26, v[6:7], off offset:4
	global_load_ushort v28, v[6:7], off offset:8
	s_waitcnt vmcnt(0)
	v_perm_b32 v6, v26, v28, s21
	v_and_b32_e32 v26, 0x3f3f3f3f, v6
.LBB123_19:                             ;   in Loop: Header=BB123_15 Depth=1
	s_or_b64 exec, exec, s[12:13]
	s_waitcnt vmcnt(8)
	v_cvt_f32_f16_e32 v28, v9
	s_waitcnt vmcnt(5)
	v_cvt_f32_f16_e32 v27, v27
	v_dot4_i32_i8 v6, s25, v22, 0
	v_dot4_i32_i8 v30, s25, v23, v6
	s_waitcnt vmcnt(4)
	v_dot4_i32_i8 v6, s25, v20, 0
	s_andn2_b64 vcc, exec, s[16:17]
	s_waitcnt vmcnt(3)
	v_dot4_i32_i8 v29, s25, v21, v6
	s_cbranch_vccnz .LBB123_14
; %bb.20:                               ;   in Loop: Header=BB123_15 Depth=1
	v_mov_b32_e32 v6, s28
	v_mov_b32_e32 v7, s29
	v_mad_i64_i32 v[6:7], s[12:13], v8, s20, v[6:7]
                                        ; implicit-def: $vgpr33
	v_add_co_u32_e32 v8, vcc, v6, v16
	v_addc_co_u32_e32 v9, vcc, 0, v7, vcc
	v_add_co_u32_e32 v8, vcc, v8, v17
	v_addc_co_u32_e32 v9, vcc, 0, v9, vcc
	global_load_dword v32, v[8:9], off offset:16
	global_load_dword v31, v[8:9], off offset:32
	v_add_co_u32_e32 v8, vcc, v6, v18
	v_addc_co_u32_e32 v9, vcc, 0, v7, vcc
	s_and_saveexec_b64 s[12:13], s[10:11]
	s_xor_b64 s[12:13], exec, s[12:13]
	s_cbranch_execz .LBB123_22
; %bb.21:                               ;   in Loop: Header=BB123_15 Depth=1
	global_load_ushort v33, v[8:9], off
	global_load_ushort v34, v[8:9], off offset:8
	global_load_ushort v35, v[8:9], off offset:4
	s_waitcnt vmcnt(1)
	v_perm_b32 v8, v33, v34, s21
	s_waitcnt vmcnt(0)
	v_perm_b32 v9, v34, v35, s21
	v_pk_lshrrev_b16 v9, 2, v9
	v_pk_lshrrev_b16 v8, s23, v8
	v_and_b32_e32 v9, 0xf0f3030, v9
	v_and_or_b32 v33, v8, s24, v9
                                        ; implicit-def: $vgpr8_vgpr9
.LBB123_22:                             ;   in Loop: Header=BB123_15 Depth=1
	s_andn2_saveexec_b64 s[12:13], s[12:13]
	s_cbranch_execz .LBB123_13
; %bb.23:                               ;   in Loop: Header=BB123_15 Depth=1
	global_load_ushort v33, v[8:9], off offset:4
	global_load_ushort v34, v[8:9], off offset:8
	s_waitcnt vmcnt(0)
	v_perm_b32 v8, v33, v34, s21
	v_and_b32_e32 v33, 0x3f3f3f3f, v8
	s_branch .LBB123_13
.LBB123_24:
	s_or_b64 exec, exec, s[14:15]
.LBB123_25:
	s_or_b64 exec, exec, s[18:19]
	s_load_dword s7, s[4:5], 0x30
	v_cmp_eq_u32_e64 s[10:11], 0, v1
	v_cmp_ne_u32_e32 vcc, 0, v1
	s_and_saveexec_b64 s[12:13], vcc
	s_cbranch_execz .LBB123_29
; %bb.26:
	s_and_b64 vcc, exec, s[16:17]
	s_cbranch_vccz .LBB123_28
; %bb.27:
	v_lshl_add_u32 v2, v1, 8, v10
	ds_write_b32 v2, v13
.LBB123_28:
	v_lshlrev_b32_e32 v1, 8, v1
	s_waitcnt lgkmcnt(0)
	s_movk_i32 s9, 0xff00
	v_add3_u32 v1, v1, v10, s9
	ds_write_b32 v1, v14
.LBB123_29:
	s_or_b64 exec, exec, s[12:13]
	s_waitcnt vmcnt(0) lgkmcnt(0)
	s_barrier
	s_and_saveexec_b64 s[12:13], s[10:11]
	s_cbranch_execz .LBB123_58
; %bb.30:
	ds_read_b32 v2, v10
	v_cndmask_b32_e64 v1, 0, 1, s[16:17]
	v_cmp_ne_u32_e64 s[10:11], 1, v1
	s_andn2_b64 vcc, exec, s[16:17]
	s_cbranch_vccnz .LBB123_32
; %bb.31:
	ds_read_b32 v1, v10 offset:256
	s_waitcnt lgkmcnt(0)
	v_add_f32_e32 v13, v13, v1
.LBB123_32:
	v_mbcnt_lo_u32_b32 v1, -1, 0
	v_mbcnt_hi_u32_b32 v3, -1, v1
	v_and_b32_e32 v1, 64, v3
	v_add_u32_e32 v4, 64, v1
	v_xor_b32_e32 v1, 32, v3
	v_cmp_lt_i32_e32 vcc, v1, v4
	v_cndmask_b32_e32 v1, v3, v1, vcc
	v_lshlrev_b32_e32 v1, 2, v1
	s_waitcnt lgkmcnt(0)
	v_add_f32_e32 v5, v14, v2
	ds_bpermute_b32 v6, v1, v5
	v_xor_b32_e32 v2, 16, v3
	v_cmp_lt_i32_e32 vcc, v2, v4
	v_cndmask_b32_e32 v2, v3, v2, vcc
	v_lshlrev_b32_e32 v2, 2, v2
	s_waitcnt lgkmcnt(0)
	v_add_f32_e32 v6, v5, v6
	ds_bpermute_b32 v7, v2, v6
	v_xor_b32_e32 v5, 8, v3
	v_cmp_lt_i32_e32 vcc, v5, v4
	v_cndmask_b32_e32 v5, v3, v5, vcc
	v_lshlrev_b32_e32 v5, 2, v5
	s_waitcnt lgkmcnt(0)
	v_add_f32_e32 v7, v6, v7
	ds_bpermute_b32 v8, v5, v7
	v_xor_b32_e32 v6, 4, v3
	v_cmp_lt_i32_e32 vcc, v6, v4
	v_cndmask_b32_e32 v6, v3, v6, vcc
	v_lshlrev_b32_e32 v6, 2, v6
	s_waitcnt lgkmcnt(0)
	v_add_f32_e32 v8, v7, v8
	ds_bpermute_b32 v9, v6, v8
	v_xor_b32_e32 v7, 2, v3
	v_cmp_lt_i32_e32 vcc, v7, v4
	v_cndmask_b32_e32 v7, v3, v7, vcc
	v_lshlrev_b32_e32 v7, 2, v7
	s_waitcnt lgkmcnt(0)
	v_add_f32_e32 v9, v8, v9
	ds_bpermute_b32 v14, v7, v9
	v_xor_b32_e32 v8, 1, v3
	v_cmp_lt_i32_e32 vcc, v8, v4
	v_cndmask_b32_e32 v3, v3, v8, vcc
	v_lshlrev_b32_e32 v8, 2, v3
	s_waitcnt lgkmcnt(0)
	v_add_f32_e32 v3, v9, v14
	ds_bpermute_b32 v4, v8, v3
	s_and_b64 vcc, exec, s[10:11]
	s_cbranch_vccnz .LBB123_34
; %bb.33:
	ds_bpermute_b32 v1, v1, v13
	s_waitcnt lgkmcnt(0)
	v_add_f32_e32 v1, v13, v1
	ds_bpermute_b32 v2, v2, v1
	s_waitcnt lgkmcnt(0)
	v_add_f32_e32 v1, v1, v2
	;; [unrolled: 3-line block ×6, first 2 shown]
.LBB123_34:
	v_cmp_eq_u32_e32 vcc, 0, v0
	s_and_b64 exec, exec, vcc
	s_cbranch_execz .LBB123_58
; %bb.35:
	s_waitcnt lgkmcnt(0)
	v_add_f32_e32 v0, v3, v4
	v_add_f32_e32 v1, v12, v0
	s_and_b64 vcc, exec, s[10:11]
	v_cndmask_b32_e64 v0, v0, v1, s[0:1]
	s_cbranch_vccnz .LBB123_57
; %bb.36:
	v_add_f32_e32 v1, v11, v13
	v_cndmask_b32_e64 v1, v13, v1, s[2:3]
	s_cmp_lt_i32 s7, 2
	s_mov_b64 s[0:1], 0
	s_cbranch_scc1 .LBB123_40
; %bb.37:
	s_cmp_gt_i32 s7, 2
	s_cbranch_scc0 .LBB123_41
; %bb.38:
	s_cmp_eq_u32 s7, 3
	s_cbranch_scc0 .LBB123_42
; %bb.39:
	v_max_f32_e32 v2, v1, v1
	v_min_f32_e32 v2, 0x40e00000, v2
	v_mul_f32_e32 v3, 0xbfd9db23, v2
	s_mov_b32 s2, 0x3fb8aa3b
	v_mul_f32_e32 v4, 0x3fb8aa3b, v3
	v_fma_f32 v5, v3, s2, -v4
	v_rndne_f32_e32 v6, v4
	v_fmac_f32_e32 v5, 0x32a5705f, v3
	v_sub_f32_e32 v4, v4, v6
	v_add_f32_e32 v4, v4, v5
	v_exp_f32_e32 v4, v4
	v_cvt_i32_f32_e32 v5, v6
	s_mov_b32 s2, 0xc2ce8ed0
	v_cmp_ngt_f32_e32 vcc, s2, v3
	s_mov_b32 s2, 0x42b17218
	v_ldexp_f32 v4, v4, v5
	v_cndmask_b32_e32 v4, 0, v4, vcc
	v_mov_b32_e32 v5, 0x7f800000
	v_cmp_nlt_f32_e32 vcc, s2, v3
	v_cndmask_b32_e32 v3, v5, v4, vcc
	v_add_f32_e32 v3, 1.0, v3
	v_div_scale_f32 v4, s[2:3], v3, v3, v2
	v_div_scale_f32 v5, vcc, v2, v3, v2
	s_mov_b64 s[2:3], 0
	v_rcp_f32_e32 v6, v4
	v_fma_f32 v7, -v4, v6, 1.0
	v_fmac_f32_e32 v6, v7, v6
	v_mul_f32_e32 v7, v5, v6
	v_fma_f32 v8, -v4, v7, v5
	v_fmac_f32_e32 v7, v8, v6
	v_fma_f32 v4, -v4, v7, v5
	v_div_fmas_f32 v4, v4, v6, v7
	v_max_f32_e32 v5, v0, v0
	v_min_f32_e32 v5, 0x40e00000, v5
	v_max_f32_e32 v5, 0xc0e00000, v5
	v_add_f32_e32 v5, 1.0, v5
	v_div_fixup_f32 v2, v4, v3, v2
	v_mul_f32_e32 v2, v5, v2
	s_branch .LBB123_43
.LBB123_40:
                                        ; implicit-def: $vgpr2
	s_mov_b64 s[2:3], 0
	s_cbranch_execnz .LBB123_47
	s_branch .LBB123_48
.LBB123_41:
	s_mov_b64 s[10:11], -1
	s_mov_b64 s[2:3], 0
                                        ; implicit-def: $vgpr2
	s_branch .LBB123_44
.LBB123_42:
	s_mov_b64 s[2:3], -1
                                        ; implicit-def: $vgpr2
.LBB123_43:
	s_mov_b64 s[10:11], 0
.LBB123_44:
	s_and_b64 vcc, exec, s[10:11]
	s_cbranch_vccz .LBB123_46
; %bb.45:
	v_mul_f32_e32 v2, 0xbfb8aa3b, v1
	s_mov_b32 s9, 0xbfb8aa3b
	v_rndne_f32_e32 v3, v2
	v_sub_f32_e32 v4, v2, v3
	v_fma_f32 v2, v1, s9, -v2
	v_fmac_f32_e32 v2, 0xb2a5705f, v1
	v_add_f32_e32 v2, v4, v2
	v_exp_f32_e32 v2, v2
	v_cvt_i32_f32_e32 v3, v3
	s_mov_b32 s9, 0x42ce8ed0
	v_cmp_nlt_f32_e32 vcc, s9, v1
	s_mov_b32 s9, 0xc2b17218
	v_ldexp_f32 v2, v2, v3
	v_cndmask_b32_e32 v2, 0, v2, vcc
	v_mov_b32_e32 v3, 0x7f800000
	v_cmp_ngt_f32_e32 vcc, s9, v1
	v_cndmask_b32_e32 v2, v3, v2, vcc
	v_add_f32_e32 v2, 1.0, v2
	v_div_scale_f32 v3, s[10:11], v2, v2, v1
	v_div_scale_f32 v4, vcc, v1, v2, v1
	v_rcp_f32_e32 v5, v3
	v_fma_f32 v6, -v3, v5, 1.0
	v_fmac_f32_e32 v5, v6, v5
	v_mul_f32_e32 v6, v4, v5
	v_fma_f32 v7, -v3, v6, v4
	v_fmac_f32_e32 v6, v7, v5
	v_fma_f32 v3, -v3, v6, v4
	v_div_fmas_f32 v3, v3, v5, v6
	v_div_fixup_f32 v2, v3, v2, v1
	v_mul_f32_e32 v2, v0, v2
.LBB123_46:
	s_branch .LBB123_48
.LBB123_47:
	s_cmp_lg_u32 s7, 1
	s_mov_b64 s[0:1], -1
	s_cselect_b64 s[2:3], -1, 0
.LBB123_48:
	s_andn2_b64 vcc, exec, s[2:3]
	s_cbranch_vccz .LBB123_50
; %bb.49:
	s_andn2_b64 vcc, exec, s[0:1]
	s_cbranch_vccz .LBB123_51
	s_branch .LBB123_56
.LBB123_50:
	v_mul_f32_e32 v2, v1, v0
	s_cbranch_execnz .LBB123_56
.LBB123_51:
	v_mul_f32_e32 v3, 0x3d372713, v1
	v_mul_f32_e32 v2, 0x3f4c422a, v1
	v_fma_f32 v3, v1, v3, 1.0
	v_mul_f32_e32 v2, v2, v3
	s_mov_b32 s0, 0x3f200000
	v_cmp_nlt_f32_e64 s[0:1], |v2|, s0
                                        ; implicit-def: $vgpr3
	s_and_saveexec_b64 s[2:3], s[0:1]
	s_xor_b64 s[0:1], exec, s[2:3]
	s_cbranch_execz .LBB123_53
; %bb.52:
	v_add_f32_e64 v3, |v2|, |v2|
	v_mul_f32_e32 v4, 0x3fb8aa3b, v3
	s_mov_b32 s2, 0x3fb8aa3b
	v_rndne_f32_e32 v5, v4
	v_sub_f32_e32 v6, v4, v5
	v_fma_f32 v4, v3, s2, -v4
	v_fmac_f32_e32 v4, 0x32a5705f, v3
	v_add_f32_e32 v4, v6, v4
	v_exp_f32_e32 v4, v4
	v_cvt_i32_f32_e32 v5, v5
	s_mov_b32 s2, 0xc2ce8ed0
	v_cmp_ngt_f32_e32 vcc, s2, v3
	s_mov_b32 s2, 0x42b17218
	v_ldexp_f32 v4, v4, v5
	v_cndmask_b32_e32 v4, 0, v4, vcc
	v_mov_b32_e32 v5, 0x7f800000
	v_cmp_nlt_f32_e32 vcc, s2, v3
	v_cndmask_b32_e32 v3, v5, v4, vcc
	v_add_f32_e32 v3, 1.0, v3
	v_rcp_f32_e32 v3, v3
	v_fma_f32 v3, v3, -2.0, 1.0
.LBB123_53:
	s_andn2_saveexec_b64 s[0:1], s[0:1]
	s_cbranch_execz .LBB123_55
; %bb.54:
	v_mul_f32_e32 v3, v2, v2
	v_mov_b32_e32 v4, 0x3ca908c9
	v_fmac_f32_e32 v4, 0xbbbac73d, v3
	v_mov_b32_e32 v5, 0xbd5c1c4e
	v_fmac_f32_e32 v5, v3, v4
	;; [unrolled: 2-line block ×4, first 2 shown]
	v_mul_f32_e64 v4, |v2|, v5
	v_fma_f32 v3, v3, v4, |v2|
.LBB123_55:
	s_or_b64 exec, exec, s[0:1]
	s_brev_b32 s0, -2
	v_bfi_b32 v2, s0, v3, v2
	v_mul_f32_e32 v1, 0.5, v1
	v_add_f32_e32 v2, 1.0, v2
	v_mul_f32_e32 v1, v1, v2
	v_mul_f32_e32 v2, v0, v1
.LBB123_56:
	v_mov_b32_e32 v0, v2
.LBB123_57:
	s_load_dwordx2 s[0:1], s[4:5], 0x38
	s_mul_i32 s3, s22, s34
	s_mul_i32 s2, s26, s8
	s_add_i32 s3, s3, s6
	s_add_i32 s2, s3, s2
	s_mov_b32 s3, 0
	s_lshl_b64 s[2:3], s[2:3], 2
	s_waitcnt lgkmcnt(0)
	s_add_u32 s0, s0, s2
	s_addc_u32 s1, s1, s3
	global_store_dword v10, v0, s[0:1]
.LBB123_58:
	s_endpgm
	.section	.rodata,"a",@progbits
	.p2align	6, 0x0
	.amdhsa_kernel _ZL13mul_mat_vec_qIL9ggml_type12ELi1ELb1ELb0EEvPKvS2_PKi31ggml_cuda_mm_fusion_args_devicePfj15HIP_vector_typeIjLj3EEjjjS8_jjjS8_jjjj
		.amdhsa_group_segment_fixed_size 512
		.amdhsa_private_segment_fixed_size 0
		.amdhsa_kernarg_size 144
		.amdhsa_user_sgpr_count 6
		.amdhsa_user_sgpr_private_segment_buffer 1
		.amdhsa_user_sgpr_dispatch_ptr 0
		.amdhsa_user_sgpr_queue_ptr 0
		.amdhsa_user_sgpr_kernarg_segment_ptr 1
		.amdhsa_user_sgpr_dispatch_id 0
		.amdhsa_user_sgpr_flat_scratch_init 0
		.amdhsa_user_sgpr_private_segment_size 0
		.amdhsa_uses_dynamic_stack 0
		.amdhsa_system_sgpr_private_segment_wavefront_offset 0
		.amdhsa_system_sgpr_workgroup_id_x 1
		.amdhsa_system_sgpr_workgroup_id_y 1
		.amdhsa_system_sgpr_workgroup_id_z 1
		.amdhsa_system_sgpr_workgroup_info 0
		.amdhsa_system_vgpr_workitem_id 1
		.amdhsa_next_free_vgpr 36
		.amdhsa_next_free_sgpr 42
		.amdhsa_reserve_vcc 1
		.amdhsa_reserve_flat_scratch 0
		.amdhsa_float_round_mode_32 0
		.amdhsa_float_round_mode_16_64 0
		.amdhsa_float_denorm_mode_32 3
		.amdhsa_float_denorm_mode_16_64 3
		.amdhsa_dx10_clamp 1
		.amdhsa_ieee_mode 1
		.amdhsa_fp16_overflow 0
		.amdhsa_exception_fp_ieee_invalid_op 0
		.amdhsa_exception_fp_denorm_src 0
		.amdhsa_exception_fp_ieee_div_zero 0
		.amdhsa_exception_fp_ieee_overflow 0
		.amdhsa_exception_fp_ieee_underflow 0
		.amdhsa_exception_fp_ieee_inexact 0
		.amdhsa_exception_int_div_zero 0
	.end_amdhsa_kernel
	.section	.text._ZL13mul_mat_vec_qIL9ggml_type12ELi1ELb1ELb0EEvPKvS2_PKi31ggml_cuda_mm_fusion_args_devicePfj15HIP_vector_typeIjLj3EEjjjS8_jjjS8_jjjj,"axG",@progbits,_ZL13mul_mat_vec_qIL9ggml_type12ELi1ELb1ELb0EEvPKvS2_PKi31ggml_cuda_mm_fusion_args_devicePfj15HIP_vector_typeIjLj3EEjjjS8_jjjS8_jjjj,comdat
.Lfunc_end123:
	.size	_ZL13mul_mat_vec_qIL9ggml_type12ELi1ELb1ELb0EEvPKvS2_PKi31ggml_cuda_mm_fusion_args_devicePfj15HIP_vector_typeIjLj3EEjjjS8_jjjS8_jjjj, .Lfunc_end123-_ZL13mul_mat_vec_qIL9ggml_type12ELi1ELb1ELb0EEvPKvS2_PKi31ggml_cuda_mm_fusion_args_devicePfj15HIP_vector_typeIjLj3EEjjjS8_jjjS8_jjjj
                                        ; -- End function
	.set _ZL13mul_mat_vec_qIL9ggml_type12ELi1ELb1ELb0EEvPKvS2_PKi31ggml_cuda_mm_fusion_args_devicePfj15HIP_vector_typeIjLj3EEjjjS8_jjjS8_jjjj.num_vgpr, 36
	.set _ZL13mul_mat_vec_qIL9ggml_type12ELi1ELb1ELb0EEvPKvS2_PKi31ggml_cuda_mm_fusion_args_devicePfj15HIP_vector_typeIjLj3EEjjjS8_jjjS8_jjjj.num_agpr, 0
	.set _ZL13mul_mat_vec_qIL9ggml_type12ELi1ELb1ELb0EEvPKvS2_PKi31ggml_cuda_mm_fusion_args_devicePfj15HIP_vector_typeIjLj3EEjjjS8_jjjS8_jjjj.numbered_sgpr, 42
	.set _ZL13mul_mat_vec_qIL9ggml_type12ELi1ELb1ELb0EEvPKvS2_PKi31ggml_cuda_mm_fusion_args_devicePfj15HIP_vector_typeIjLj3EEjjjS8_jjjS8_jjjj.num_named_barrier, 0
	.set _ZL13mul_mat_vec_qIL9ggml_type12ELi1ELb1ELb0EEvPKvS2_PKi31ggml_cuda_mm_fusion_args_devicePfj15HIP_vector_typeIjLj3EEjjjS8_jjjS8_jjjj.private_seg_size, 0
	.set _ZL13mul_mat_vec_qIL9ggml_type12ELi1ELb1ELb0EEvPKvS2_PKi31ggml_cuda_mm_fusion_args_devicePfj15HIP_vector_typeIjLj3EEjjjS8_jjjS8_jjjj.uses_vcc, 1
	.set _ZL13mul_mat_vec_qIL9ggml_type12ELi1ELb1ELb0EEvPKvS2_PKi31ggml_cuda_mm_fusion_args_devicePfj15HIP_vector_typeIjLj3EEjjjS8_jjjS8_jjjj.uses_flat_scratch, 0
	.set _ZL13mul_mat_vec_qIL9ggml_type12ELi1ELb1ELb0EEvPKvS2_PKi31ggml_cuda_mm_fusion_args_devicePfj15HIP_vector_typeIjLj3EEjjjS8_jjjS8_jjjj.has_dyn_sized_stack, 0
	.set _ZL13mul_mat_vec_qIL9ggml_type12ELi1ELb1ELb0EEvPKvS2_PKi31ggml_cuda_mm_fusion_args_devicePfj15HIP_vector_typeIjLj3EEjjjS8_jjjS8_jjjj.has_recursion, 0
	.set _ZL13mul_mat_vec_qIL9ggml_type12ELi1ELb1ELb0EEvPKvS2_PKi31ggml_cuda_mm_fusion_args_devicePfj15HIP_vector_typeIjLj3EEjjjS8_jjjS8_jjjj.has_indirect_call, 0
	.section	.AMDGPU.csdata,"",@progbits
; Kernel info:
; codeLenInByte = 3068
; TotalNumSgprs: 46
; NumVgprs: 36
; ScratchSize: 0
; MemoryBound: 0
; FloatMode: 240
; IeeeMode: 1
; LDSByteSize: 512 bytes/workgroup (compile time only)
; SGPRBlocks: 5
; VGPRBlocks: 8
; NumSGPRsForWavesPerEU: 46
; NumVGPRsForWavesPerEU: 36
; Occupancy: 7
; WaveLimiterHint : 0
; COMPUTE_PGM_RSRC2:SCRATCH_EN: 0
; COMPUTE_PGM_RSRC2:USER_SGPR: 6
; COMPUTE_PGM_RSRC2:TRAP_HANDLER: 0
; COMPUTE_PGM_RSRC2:TGID_X_EN: 1
; COMPUTE_PGM_RSRC2:TGID_Y_EN: 1
; COMPUTE_PGM_RSRC2:TGID_Z_EN: 1
; COMPUTE_PGM_RSRC2:TIDIG_COMP_CNT: 1
	.section	.text._ZL13mul_mat_vec_qIL9ggml_type12ELi1ELb0ELb0EEvPKvS2_PKi31ggml_cuda_mm_fusion_args_devicePfj15HIP_vector_typeIjLj3EEjjjS8_jjjS8_jjjj,"axG",@progbits,_ZL13mul_mat_vec_qIL9ggml_type12ELi1ELb0ELb0EEvPKvS2_PKi31ggml_cuda_mm_fusion_args_devicePfj15HIP_vector_typeIjLj3EEjjjS8_jjjS8_jjjj,comdat
	.globl	_ZL13mul_mat_vec_qIL9ggml_type12ELi1ELb0ELb0EEvPKvS2_PKi31ggml_cuda_mm_fusion_args_devicePfj15HIP_vector_typeIjLj3EEjjjS8_jjjS8_jjjj ; -- Begin function _ZL13mul_mat_vec_qIL9ggml_type12ELi1ELb0ELb0EEvPKvS2_PKi31ggml_cuda_mm_fusion_args_devicePfj15HIP_vector_typeIjLj3EEjjjS8_jjjS8_jjjj
	.p2align	8
	.type	_ZL13mul_mat_vec_qIL9ggml_type12ELi1ELb0ELb0EEvPKvS2_PKi31ggml_cuda_mm_fusion_args_devicePfj15HIP_vector_typeIjLj3EEjjjS8_jjjS8_jjjj,@function
_ZL13mul_mat_vec_qIL9ggml_type12ELi1ELb0ELb0EEvPKvS2_PKi31ggml_cuda_mm_fusion_args_devicePfj15HIP_vector_typeIjLj3EEjjjS8_jjjS8_jjjj: ; @_ZL13mul_mat_vec_qIL9ggml_type12ELi1ELb0ELb0EEvPKvS2_PKi31ggml_cuda_mm_fusion_args_devicePfj15HIP_vector_typeIjLj3EEjjjS8_jjjS8_jjjj
; %bb.0:
	s_load_dwordx2 s[12:13], s[4:5], 0x10
	s_load_dwordx4 s[0:3], s[4:5], 0x40
	s_mov_b32 s10, s7
	s_mov_b64 s[18:19], 0
	s_waitcnt lgkmcnt(0)
	s_cmp_lg_u64 s[12:13], 0
	s_cselect_b64 s[16:17], -1, 0
	s_cmp_eq_u64 s[12:13], 0
	s_cbranch_scc1 .LBB124_5
; %bb.1:
	s_mov_b32 s11, 0
	s_lshl_b64 s[14:15], s[10:11], 2
	s_add_u32 s12, s12, s14
	s_addc_u32 s13, s13, s15
	s_load_dword s9, s[12:13], 0x0
	s_nop 0
	s_load_dwordx4 s[12:15], s[4:5], 0x68
	s_load_dword s11, s[4:5], 0x50
	s_andn2_b64 vcc, exec, s[18:19]
	s_cbranch_vccnz .LBB124_3
.LBB124_2:
	s_load_dwordx2 s[18:19], s[4:5], 0x5c
	s_waitcnt lgkmcnt(0)
	s_mul_hi_u32 s7, s18, s10
	s_add_i32 s7, s10, s7
	s_lshr_b32 s9, s7, s19
.LBB124_3:
	s_load_dword s26, s[4:5], 0x78
	s_andn2_b64 vcc, exec, s[16:17]
	s_cbranch_vccnz .LBB124_6
; %bb.4:
	s_mul_hi_u32 s1, s1, s10
	s_add_i32 s1, s10, s1
	s_lshr_b32 s1, s1, s2
	s_mul_i32 s1, s1, s3
	s_sub_i32 s1, s10, s1
	s_branch .LBB124_7
.LBB124_5:
                                        ; implicit-def: $sgpr9
	s_load_dwordx4 s[12:15], s[4:5], 0x68
	s_load_dword s11, s[4:5], 0x50
	s_branch .LBB124_2
.LBB124_6:
	s_mov_b32 s1, s10
.LBB124_7:
	s_load_dwordx4 s[16:19], s[4:5], 0x80
	v_lshl_add_u32 v2, v1, 6, v0
	s_lshr_b32 s7, s0, 8
	v_lshrrev_b32_e32 v9, 4, v2
	v_cmp_gt_u32_e32 vcc, s7, v9
	v_mov_b32_e32 v8, 0
	s_and_saveexec_b64 s[24:25], vcc
	s_cbranch_execz .LBB124_15
; %bb.8:
	s_waitcnt lgkmcnt(0)
	s_mul_hi_u32 s0, s15, s8
	s_add_i32 s0, s8, s0
	s_lshr_b32 s0, s0, s26
	s_mul_i32 s11, s11, s6
	s_mul_i32 s0, s0, s16
	v_lshlrev_b32_e32 v3, 1, v0
	s_load_dwordx4 s[20:23], s[4:5], 0x0
	s_mul_i32 s9, s9, s12
	v_and_b32_e32 v4, 30, v3
	s_add_i32 s0, s0, s11
	s_mul_i32 s13, s1, s13
	s_add_i32 s9, s9, s0
	v_bfe_u32 v5, v3, 3, 2
	v_and_b32_e32 v3, 3, v0
	v_cmp_lt_u32_e64 s[0:1], 15, v4
	v_lshrrev_b32_e32 v4, 4, v2
	v_bfe_u32 v2, v0, 2, 2
	v_lshlrev_b32_e32 v11, 2, v3
	v_mul_hi_u32_u24_e32 v3, 0x48, v2
	v_mul_u32_u24_e32 v2, 0x48, v2
	s_movk_i32 s2, 0x120
	s_mul_i32 s12, s17, s8
	v_mad_u64_u32 v[2:3], s[2:3], v4, s2, v[2:3]
	s_mul_hi_u32 s3, s12, 36
	s_mul_i32 s12, s12, 36
	s_waitcnt lgkmcnt(0)
	s_add_u32 s11, s22, s12
	s_mul_hi_u32 s2, s13, 36
	s_mul_i32 s13, s13, 36
	s_addc_u32 s3, s23, s3
	s_add_u32 s11, s11, s13
	s_addc_u32 s2, s3, s2
	v_mov_b32_e32 v4, s2
	v_add_co_u32_e32 v2, vcc, s11, v2
	v_addc_co_u32_e32 v3, vcc, v4, v3, vcc
	v_lshlrev_b32_e32 v10, 5, v5
	v_add_co_u32_e32 v2, vcc, 36, v2
	v_lshlrev_b32_e32 v12, 1, v5
	v_mov_b32_e32 v4, s20
	v_mov_b32_e32 v8, 0
	v_addc_co_u32_e32 v3, vcc, 0, v3, vcc
	s_mov_b64 s[12:13], 0
	s_movk_i32 s11, 0x90
	s_mov_b32 s15, 0x5040100
	s_mov_b32 s16, 0x30303030
	;; [unrolled: 1-line block ×3, first 2 shown]
	v_mov_b32_e32 v5, s21
	s_branch .LBB124_10
.LBB124_9:                              ;   in Loop: Header=BB124_10 Depth=1
	s_or_b64 exec, exec, s[2:3]
	s_waitcnt vmcnt(2)
	v_and_b32_e32 v6, 0xf0f0f0f, v21
	s_waitcnt vmcnt(1)
	v_and_b32_e32 v7, 0xf0f0f0f, v20
	v_dot4_i32_i8 v6, v6, v18, 0
	v_dot4_i32_i8 v6, v7, v19, v6
	;; [unrolled: 1-line block ×3, first 2 shown]
	v_lshrrev_b32_e32 v18, 4, v21
	v_dot4_i32_i8 v7, s17, v19, v7
	v_and_b32_e32 v18, 0xf0f0f0f, v18
	v_lshrrev_b32_e32 v19, 4, v20
	v_and_b32_e32 v19, 0xf0f0f0f, v19
	v_dot4_i32_i8 v18, v18, v16, 0
	v_and_b32_e32 v20, 0xff00ff, v22
	v_dot4_i32_i8 v18, v19, v17, v18
	v_dot4_i32_i8 v16, s17, v16, 0
	v_pk_lshrrev_b16 v19, 8, v22 op_sel_hi:[0,1]
	v_and_b32_e32 v22, 0xff, v20
	v_lshrrev_b32_e32 v20, 16, v20
	v_dot4_i32_i8 v16, s17, v17, v16
	v_lshrrev_b32_e32 v21, 16, v19
	v_mul_lo_u32 v7, v7, v20
	v_and_b32_e32 v19, 0xff, v19
	v_mul_lo_u32 v6, v6, v22
	v_mul_lo_u32 v16, v16, v21
	;; [unrolled: 1-line block ×3, first 2 shown]
	v_cvt_f32_i32_e32 v7, v7
	v_cvt_f32_i32_e32 v6, v6
	;; [unrolled: 1-line block ×3, first 2 shown]
	s_waitcnt vmcnt(0)
	v_cvt_f32_f16_sdwa v17, v15 dst_sel:DWORD dst_unused:UNUSED_PAD src0_sel:WORD_1
	v_cvt_f32_i32_e32 v18, v18
	v_fma_mix_f32 v7, v13, v7, 0 op_sel_hi:[1,0,0]
	v_fma_mix_f32 v6, v13, v6, 0 op_sel_hi:[1,0,0]
	;; [unrolled: 1-line block ×4, first 2 shown]
	v_mul_f32_e32 v7, v7, v17
	v_add_u32_e32 v9, 8, v9
	v_fma_mix_f32 v6, v6, v15, -v7 op_sel_hi:[0,1,0]
	v_add_co_u32_e32 v2, vcc, 0x900, v2
	v_cmp_le_u32_e64 s[2:3], s7, v9
	v_add_f32_e32 v8, v8, v6
	s_or_b64 s[12:13], s[2:3], s[12:13]
	v_addc_co_u32_e32 v3, vcc, 0, v3, vcc
	s_andn2_b64 exec, exec, s[12:13]
	s_cbranch_execz .LBB124_14
.LBB124_10:                             ; =>This Inner Loop Header: Depth=1
	v_add_u32_e32 v6, s9, v9
	v_mad_i64_i32 v[6:7], s[2:3], v6, s11, v[4:5]
	v_add_co_u32_e32 v13, vcc, v6, v10
	v_addc_co_u32_e32 v14, vcc, 0, v7, vcc
	v_add_co_u32_e32 v22, vcc, v13, v11
	v_addc_co_u32_e32 v23, vcc, 0, v14, vcc
	;; [unrolled: 2-line block ×3, first 2 shown]
	global_load_dword v13, v[2:3], off offset:-36
	global_load_dword v18, v[24:25], off offset:-32
	;; [unrolled: 1-line block ×3, first 2 shown]
	global_load_dword v14, v[2:3], off
	global_load_dword v16, v[24:25], off offset:4
	global_load_dword v17, v[24:25], off offset:20
	;; [unrolled: 1-line block ×4, first 2 shown]
	global_load_dword v15, v[6:7], off
	v_add_co_u32_e32 v6, vcc, v6, v12
	v_addc_co_u32_e32 v7, vcc, 0, v7, vcc
                                        ; implicit-def: $vgpr22
	s_and_saveexec_b64 s[2:3], s[0:1]
	s_xor_b64 s[2:3], exec, s[2:3]
	s_cbranch_execz .LBB124_12
; %bb.11:                               ;   in Loop: Header=BB124_10 Depth=1
	global_load_ushort v22, v[6:7], off
	global_load_ushort v23, v[6:7], off offset:8
	global_load_ushort v24, v[6:7], off offset:4
	s_waitcnt vmcnt(1)
	v_pk_lshrrev_b16 v6, 4, v23 op_sel:[1,0] op_sel_hi:[0,0]
	s_waitcnt vmcnt(0)
	v_perm_b32 v7, v24, v22, s15
	v_and_b32_e32 v6, 0xf0f0f0f, v6
	v_pk_lshrrev_b16 v7, 2, v7 op_sel_hi:[0,1]
	v_and_or_b32 v22, v7, s16, v6
                                        ; implicit-def: $vgpr6_vgpr7
.LBB124_12:                             ;   in Loop: Header=BB124_10 Depth=1
	s_andn2_saveexec_b64 s[2:3], s[2:3]
	s_cbranch_execz .LBB124_9
; %bb.13:                               ;   in Loop: Header=BB124_10 Depth=1
	global_load_ushort v22, v[6:7], off offset:4
	global_load_ushort v23, v[6:7], off offset:8
	s_waitcnt vmcnt(0)
	v_perm_b32 v6, v23, v22, s15
	v_and_b32_e32 v22, 0x3f3f3f3f, v6
	s_branch .LBB124_9
.LBB124_14:
	s_or_b64 exec, exec, s[12:13]
.LBB124_15:
	s_or_b64 exec, exec, s[24:25]
	v_cmp_eq_u32_e32 vcc, 0, v1
	v_cmp_ne_u32_e64 s[0:1], 0, v1
	v_lshlrev_b32_e32 v2, 2, v0
	s_and_saveexec_b64 s[2:3], s[0:1]
; %bb.16:
	v_lshlrev_b32_e32 v1, 8, v1
	s_movk_i32 s0, 0xff00
	v_add3_u32 v1, v1, v2, s0
	ds_write_b32 v1, v8
; %bb.17:
	s_or_b64 exec, exec, s[2:3]
	s_waitcnt lgkmcnt(0)
	s_barrier
	s_and_saveexec_b64 s[0:1], vcc
	s_cbranch_execz .LBB124_20
; %bb.18:
	ds_read_b32 v1, v2
	v_mbcnt_lo_u32_b32 v2, -1, 0
	v_mbcnt_hi_u32_b32 v2, -1, v2
	v_and_b32_e32 v3, 64, v2
	v_add_u32_e32 v3, 64, v3
	v_xor_b32_e32 v4, 32, v2
	v_cmp_lt_i32_e32 vcc, v4, v3
	v_cndmask_b32_e32 v4, v2, v4, vcc
	v_lshlrev_b32_e32 v4, 2, v4
	s_waitcnt lgkmcnt(0)
	v_add_f32_e32 v1, v8, v1
	ds_bpermute_b32 v4, v4, v1
	v_xor_b32_e32 v5, 16, v2
	v_cmp_lt_i32_e32 vcc, v5, v3
	v_cndmask_b32_e32 v5, v2, v5, vcc
	v_lshlrev_b32_e32 v5, 2, v5
	s_waitcnt lgkmcnt(0)
	v_add_f32_e32 v1, v1, v4
	ds_bpermute_b32 v4, v5, v1
	;; [unrolled: 7-line block ×6, first 2 shown]
	s_mov_b32 s1, 0
	v_cmp_eq_u32_e32 vcc, 0, v0
	s_and_b64 exec, exec, vcc
	s_cbranch_execz .LBB124_20
; %bb.19:
	s_load_dwordx2 s[2:3], s[4:5], 0x38
	s_mul_i32 s0, s14, s10
	s_add_i32 s0, s0, s6
	s_mul_i32 s4, s18, s8
	s_add_i32 s0, s0, s4
	s_lshl_b64 s[0:1], s[0:1], 2
	s_waitcnt lgkmcnt(0)
	s_add_u32 s0, s2, s0
	v_add_f32_e32 v0, v1, v2
	s_addc_u32 s1, s3, s1
	v_mov_b32_e32 v1, 0
	global_store_dword v1, v0, s[0:1]
.LBB124_20:
	s_endpgm
	.section	.rodata,"a",@progbits
	.p2align	6, 0x0
	.amdhsa_kernel _ZL13mul_mat_vec_qIL9ggml_type12ELi1ELb0ELb0EEvPKvS2_PKi31ggml_cuda_mm_fusion_args_devicePfj15HIP_vector_typeIjLj3EEjjjS8_jjjS8_jjjj
		.amdhsa_group_segment_fixed_size 256
		.amdhsa_private_segment_fixed_size 0
		.amdhsa_kernarg_size 144
		.amdhsa_user_sgpr_count 6
		.amdhsa_user_sgpr_private_segment_buffer 1
		.amdhsa_user_sgpr_dispatch_ptr 0
		.amdhsa_user_sgpr_queue_ptr 0
		.amdhsa_user_sgpr_kernarg_segment_ptr 1
		.amdhsa_user_sgpr_dispatch_id 0
		.amdhsa_user_sgpr_flat_scratch_init 0
		.amdhsa_user_sgpr_private_segment_size 0
		.amdhsa_uses_dynamic_stack 0
		.amdhsa_system_sgpr_private_segment_wavefront_offset 0
		.amdhsa_system_sgpr_workgroup_id_x 1
		.amdhsa_system_sgpr_workgroup_id_y 1
		.amdhsa_system_sgpr_workgroup_id_z 1
		.amdhsa_system_sgpr_workgroup_info 0
		.amdhsa_system_vgpr_workitem_id 1
		.amdhsa_next_free_vgpr 26
		.amdhsa_next_free_sgpr 27
		.amdhsa_reserve_vcc 1
		.amdhsa_reserve_flat_scratch 0
		.amdhsa_float_round_mode_32 0
		.amdhsa_float_round_mode_16_64 0
		.amdhsa_float_denorm_mode_32 3
		.amdhsa_float_denorm_mode_16_64 3
		.amdhsa_dx10_clamp 1
		.amdhsa_ieee_mode 1
		.amdhsa_fp16_overflow 0
		.amdhsa_exception_fp_ieee_invalid_op 0
		.amdhsa_exception_fp_denorm_src 0
		.amdhsa_exception_fp_ieee_div_zero 0
		.amdhsa_exception_fp_ieee_overflow 0
		.amdhsa_exception_fp_ieee_underflow 0
		.amdhsa_exception_fp_ieee_inexact 0
		.amdhsa_exception_int_div_zero 0
	.end_amdhsa_kernel
	.section	.text._ZL13mul_mat_vec_qIL9ggml_type12ELi1ELb0ELb0EEvPKvS2_PKi31ggml_cuda_mm_fusion_args_devicePfj15HIP_vector_typeIjLj3EEjjjS8_jjjS8_jjjj,"axG",@progbits,_ZL13mul_mat_vec_qIL9ggml_type12ELi1ELb0ELb0EEvPKvS2_PKi31ggml_cuda_mm_fusion_args_devicePfj15HIP_vector_typeIjLj3EEjjjS8_jjjS8_jjjj,comdat
.Lfunc_end124:
	.size	_ZL13mul_mat_vec_qIL9ggml_type12ELi1ELb0ELb0EEvPKvS2_PKi31ggml_cuda_mm_fusion_args_devicePfj15HIP_vector_typeIjLj3EEjjjS8_jjjS8_jjjj, .Lfunc_end124-_ZL13mul_mat_vec_qIL9ggml_type12ELi1ELb0ELb0EEvPKvS2_PKi31ggml_cuda_mm_fusion_args_devicePfj15HIP_vector_typeIjLj3EEjjjS8_jjjS8_jjjj
                                        ; -- End function
	.set _ZL13mul_mat_vec_qIL9ggml_type12ELi1ELb0ELb0EEvPKvS2_PKi31ggml_cuda_mm_fusion_args_devicePfj15HIP_vector_typeIjLj3EEjjjS8_jjjS8_jjjj.num_vgpr, 26
	.set _ZL13mul_mat_vec_qIL9ggml_type12ELi1ELb0ELb0EEvPKvS2_PKi31ggml_cuda_mm_fusion_args_devicePfj15HIP_vector_typeIjLj3EEjjjS8_jjjS8_jjjj.num_agpr, 0
	.set _ZL13mul_mat_vec_qIL9ggml_type12ELi1ELb0ELb0EEvPKvS2_PKi31ggml_cuda_mm_fusion_args_devicePfj15HIP_vector_typeIjLj3EEjjjS8_jjjS8_jjjj.numbered_sgpr, 27
	.set _ZL13mul_mat_vec_qIL9ggml_type12ELi1ELb0ELb0EEvPKvS2_PKi31ggml_cuda_mm_fusion_args_devicePfj15HIP_vector_typeIjLj3EEjjjS8_jjjS8_jjjj.num_named_barrier, 0
	.set _ZL13mul_mat_vec_qIL9ggml_type12ELi1ELb0ELb0EEvPKvS2_PKi31ggml_cuda_mm_fusion_args_devicePfj15HIP_vector_typeIjLj3EEjjjS8_jjjS8_jjjj.private_seg_size, 0
	.set _ZL13mul_mat_vec_qIL9ggml_type12ELi1ELb0ELb0EEvPKvS2_PKi31ggml_cuda_mm_fusion_args_devicePfj15HIP_vector_typeIjLj3EEjjjS8_jjjS8_jjjj.uses_vcc, 1
	.set _ZL13mul_mat_vec_qIL9ggml_type12ELi1ELb0ELb0EEvPKvS2_PKi31ggml_cuda_mm_fusion_args_devicePfj15HIP_vector_typeIjLj3EEjjjS8_jjjS8_jjjj.uses_flat_scratch, 0
	.set _ZL13mul_mat_vec_qIL9ggml_type12ELi1ELb0ELb0EEvPKvS2_PKi31ggml_cuda_mm_fusion_args_devicePfj15HIP_vector_typeIjLj3EEjjjS8_jjjS8_jjjj.has_dyn_sized_stack, 0
	.set _ZL13mul_mat_vec_qIL9ggml_type12ELi1ELb0ELb0EEvPKvS2_PKi31ggml_cuda_mm_fusion_args_devicePfj15HIP_vector_typeIjLj3EEjjjS8_jjjS8_jjjj.has_recursion, 0
	.set _ZL13mul_mat_vec_qIL9ggml_type12ELi1ELb0ELb0EEvPKvS2_PKi31ggml_cuda_mm_fusion_args_devicePfj15HIP_vector_typeIjLj3EEjjjS8_jjjS8_jjjj.has_indirect_call, 0
	.section	.AMDGPU.csdata,"",@progbits
; Kernel info:
; codeLenInByte = 1380
; TotalNumSgprs: 31
; NumVgprs: 26
; ScratchSize: 0
; MemoryBound: 0
; FloatMode: 240
; IeeeMode: 1
; LDSByteSize: 256 bytes/workgroup (compile time only)
; SGPRBlocks: 3
; VGPRBlocks: 6
; NumSGPRsForWavesPerEU: 31
; NumVGPRsForWavesPerEU: 26
; Occupancy: 9
; WaveLimiterHint : 0
; COMPUTE_PGM_RSRC2:SCRATCH_EN: 0
; COMPUTE_PGM_RSRC2:USER_SGPR: 6
; COMPUTE_PGM_RSRC2:TRAP_HANDLER: 0
; COMPUTE_PGM_RSRC2:TGID_X_EN: 1
; COMPUTE_PGM_RSRC2:TGID_Y_EN: 1
; COMPUTE_PGM_RSRC2:TGID_Z_EN: 1
; COMPUTE_PGM_RSRC2:TIDIG_COMP_CNT: 1
	.section	.text._ZL13mul_mat_vec_qIL9ggml_type12ELi2ELb0ELb0EEvPKvS2_PKi31ggml_cuda_mm_fusion_args_devicePfj15HIP_vector_typeIjLj3EEjjjS8_jjjS8_jjjj,"axG",@progbits,_ZL13mul_mat_vec_qIL9ggml_type12ELi2ELb0ELb0EEvPKvS2_PKi31ggml_cuda_mm_fusion_args_devicePfj15HIP_vector_typeIjLj3EEjjjS8_jjjS8_jjjj,comdat
	.globl	_ZL13mul_mat_vec_qIL9ggml_type12ELi2ELb0ELb0EEvPKvS2_PKi31ggml_cuda_mm_fusion_args_devicePfj15HIP_vector_typeIjLj3EEjjjS8_jjjS8_jjjj ; -- Begin function _ZL13mul_mat_vec_qIL9ggml_type12ELi2ELb0ELb0EEvPKvS2_PKi31ggml_cuda_mm_fusion_args_devicePfj15HIP_vector_typeIjLj3EEjjjS8_jjjS8_jjjj
	.p2align	8
	.type	_ZL13mul_mat_vec_qIL9ggml_type12ELi2ELb0ELb0EEvPKvS2_PKi31ggml_cuda_mm_fusion_args_devicePfj15HIP_vector_typeIjLj3EEjjjS8_jjjS8_jjjj,@function
_ZL13mul_mat_vec_qIL9ggml_type12ELi2ELb0ELb0EEvPKvS2_PKi31ggml_cuda_mm_fusion_args_devicePfj15HIP_vector_typeIjLj3EEjjjS8_jjjS8_jjjj: ; @_ZL13mul_mat_vec_qIL9ggml_type12ELi2ELb0ELb0EEvPKvS2_PKi31ggml_cuda_mm_fusion_args_devicePfj15HIP_vector_typeIjLj3EEjjjS8_jjjS8_jjjj
; %bb.0:
	s_load_dword s9, s[4:5], 0x40
	s_load_dwordx4 s[12:15], s[4:5], 0x50
	s_load_dword s25, s[4:5], 0x60
	s_load_dwordx4 s[0:3], s[4:5], 0x68
	;; [unrolled: 2-line block ×3, first 2 shown]
	v_lshl_add_u32 v2, v1, 6, v0
	s_waitcnt lgkmcnt(0)
	s_lshr_b32 s9, s9, 8
	v_lshrrev_b32_e32 v18, 4, v2
	s_lshl_b32 s6, s6, 1
	v_cmp_gt_u32_e32 vcc, s9, v18
	v_mov_b32_e32 v17, 0
	v_mov_b32_e32 v16, 0
	;; [unrolled: 1-line block ×4, first 2 shown]
	s_and_saveexec_b64 s[10:11], vcc
	s_cbranch_execz .LBB125_20
; %bb.1:
	s_mul_hi_u32 s15, s15, s7
	s_add_i32 s15, s7, s15
	s_load_dwordx4 s[20:23], s[4:5], 0x0
	s_lshr_b32 s15, s15, s25
	s_mul_i32 s15, s15, s0
	s_mul_hi_u32 s0, s3, s8
	s_add_i32 s0, s8, s0
	s_lshr_b32 s0, s0, s24
	s_mul_i32 s3, s17, s8
	s_mul_i32 s0, s0, s16
	s_mul_hi_u32 s16, s3, 36
	s_mul_i32 s3, s3, 36
	s_waitcnt lgkmcnt(0)
	s_add_u32 s3, s22, s3
	s_mul_i32 s1, s1, s7
	s_addc_u32 s17, s23, s16
	s_mul_hi_u32 s19, s1, 36
	s_mul_i32 s1, s1, 36
	s_add_u32 s16, s3, s1
	s_addc_u32 s17, s17, s19
	s_add_i32 s19, s6, 1
	v_bfe_u32 v4, v0, 2, 2
	s_mul_i32 s3, s6, s12
	s_mul_i32 s12, s12, s19
	v_mul_hi_u32_u24_e32 v5, 0x48, v4
	v_mul_u32_u24_e32 v4, 0x48, v4
	s_movk_i32 s19, 0x120
	v_mad_u64_u32 v[4:5], s[22:23], v18, s19, v[4:5]
	v_lshlrev_b32_e32 v2, 1, v0
	v_bfe_u32 v8, v2, 3, 2
	v_and_b32_e32 v3, 30, v2
	v_lshlrev_b32_e32 v2, 1, v8
	s_add_i32 s15, s0, s15
	v_cmp_lt_u32_e64 s[0:1], 15, v3
	v_mad_u64_u32 v[2:3], s[22:23], v2, 36, s[16:17]
	v_mov_b32_e32 v7, s17
	v_add_co_u32_e32 v4, vcc, s16, v4
	v_and_b32_e32 v6, 3, v0
	v_addc_co_u32_e32 v5, vcc, v7, v5, vcc
	v_lshlrev_b32_e32 v20, 2, v6
	v_add_co_u32_e32 v4, vcc, 36, v4
	v_lshlrev_b32_e32 v22, 2, v6
	v_mov_b32_e32 v6, s20
	v_lshlrev_b32_e32 v19, 5, v8
	v_mov_b32_e32 v14, 0
	s_add_i32 s3, s15, s3
	s_add_i32 s15, s15, s12
	v_addc_co_u32_e32 v5, vcc, 0, v5, vcc
	v_lshl_add_u32 v21, v18, 3, s13
	s_mov_b64 s[12:13], 0
	s_movk_i32 s19, 0x90
	s_mov_b32 s22, 0x1010101
	s_mov_b32 s23, 0xffff
	v_mov_b32_e32 v7, s21
	v_lshlrev_b32_e32 v23, 1, v8
	v_mov_b32_e32 v15, 0
	v_mov_b32_e32 v16, 0
	;; [unrolled: 1-line block ×3, first 2 shown]
	s_branch .LBB125_3
.LBB125_2:                              ;   in Loop: Header=BB125_3 Depth=1
	s_or_b64 exec, exec, s[16:17]
	s_waitcnt vmcnt(11)
	v_and_b32_e32 v44, 0xf0f0f0f, v34
	s_waitcnt vmcnt(4)
	v_dot4_i32_i8 v10, s22, v40, 0
	v_and_b32_e32 v45, 0xf0f0f0f, v33
	v_lshrrev_b32_e32 v34, 4, v34
	v_dot4_i32_i8 v51, v44, v40, 0
	s_waitcnt vmcnt(3)
	v_dot4_i32_i8 v10, s22, v41, v10
	s_waitcnt vmcnt(2)
	v_dot4_i32_i8 v11, s22, v38, 0
	v_and_b32_e32 v34, 0xf0f0f0f, v34
	v_lshrrev_b32_e32 v33, 4, v33
	v_lshrrev_b16_e32 v47, 8, v48
	v_lshrrev_b16_e32 v50, 8, v49
	v_dot4_i32_i8 v51, v45, v41, v51
	v_and_b32_sdwa v49, s23, v49 dst_sel:DWORD dst_unused:UNUSED_PAD src0_sel:DWORD src1_sel:BYTE_0
	v_and_b32_sdwa v48, s23, v48 dst_sel:DWORD dst_unused:UNUSED_PAD src0_sel:DWORD src1_sel:BYTE_0
	s_waitcnt vmcnt(1)
	v_dot4_i32_i8 v11, s22, v39, v11
	v_and_b32_e32 v33, 0xf0f0f0f, v33
	v_mul_lo_u32 v49, v51, v49
	v_mul_lo_u32 v48, v10, v48
	v_dot4_i32_i8 v51, v34, v38, 0
	v_dot4_i32_i8 v51, v33, v39, v51
	v_mul_lo_u32 v47, v11, v47
	v_mul_lo_u32 v50, v51, v50
	v_cvt_f32_i32_e32 v48, v48
	v_cvt_f32_i32_e32 v49, v49
	;; [unrolled: 1-line block ×3, first 2 shown]
	v_cvt_f32_f16_sdwa v46, v32 dst_sel:DWORD dst_unused:UNUSED_PAD src0_sel:WORD_1
	v_cvt_f32_i32_e32 v50, v50
	v_fma_mix_f32 v48, v13, v48, 0 op_sel_hi:[1,0,0]
	v_fma_mix_f32 v49, v13, v49, 0 op_sel_hi:[1,0,0]
	s_waitcnt vmcnt(0)
	v_fma_mix_f32 v47, v37, v47, v48 op_sel_hi:[1,0,0]
	v_fma_mix_f32 v49, v37, v50, v49 op_sel_hi:[1,0,0]
	v_mul_f32_e32 v47, v47, v46
	v_fma_mix_f32 v47, v49, v32, -v47 op_sel_hi:[0,1,0]
	v_and_b32_e32 v49, 0xf0f0f0f, v36
	v_and_b32_e32 v50, 0xf0f0f0f, v35
	v_dot4_i32_i8 v51, v49, v28, 0
	v_add_f32_e32 v15, v15, v47
	v_dot4_i32_i8 v47, s22, v28, 0
	v_dot4_i32_i8 v51, v50, v29, v51
	v_and_b32_sdwa v52, s23, v43 dst_sel:DWORD dst_unused:UNUSED_PAD src0_sel:DWORD src1_sel:BYTE_0
	v_lshrrev_b32_e32 v36, 4, v36
	v_dot4_i32_i8 v47, s22, v29, v47
	v_dot4_i32_i8 v48, s22, v26, 0
	v_mul_lo_u32 v51, v51, v52
	v_lshrrev_b16_e32 v52, 8, v42
	v_and_b32_sdwa v42, s23, v42 dst_sel:DWORD dst_unused:UNUSED_PAD src0_sel:DWORD src1_sel:BYTE_0
	v_and_b32_e32 v36, 0xf0f0f0f, v36
	v_lshrrev_b32_e32 v35, 4, v35
	v_dot4_i32_i8 v48, s22, v27, v48
	v_mul_lo_u32 v42, v47, v42
	v_and_b32_e32 v35, 0xf0f0f0f, v35
	v_dot4_i32_i8 v53, v36, v26, 0
	v_lshrrev_b16_e32 v43, 8, v43
	v_dot4_i32_i8 v53, v35, v27, v53
	v_mul_lo_u32 v52, v48, v52
	v_mul_lo_u32 v43, v53, v43
	v_cvt_f32_i32_e32 v42, v42
	v_cvt_f32_i32_e32 v51, v51
	;; [unrolled: 1-line block ×4, first 2 shown]
	v_cvt_f32_f16_sdwa v53, v12 dst_sel:DWORD dst_unused:UNUSED_PAD src0_sel:WORD_1
	v_fma_mix_f32 v42, v24, v42, 0 op_sel_hi:[1,0,0]
	v_fma_mix_f32 v51, v24, v51, 0 op_sel_hi:[1,0,0]
	;; [unrolled: 1-line block ×3, first 2 shown]
	v_dot4_i32_i8 v28, v44, v28, 0
	v_fma_mix_f32 v43, v25, v43, v51 op_sel_hi:[1,0,0]
	v_mul_f32_e32 v42, v42, v53
	v_dot4_i32_i8 v28, v45, v29, v28
	v_and_b32_sdwa v29, s23, v30 dst_sel:DWORD dst_unused:UNUSED_PAD src0_sel:DWORD src1_sel:BYTE_0
	v_fma_mix_f32 v42, v43, v12, -v42 op_sel_hi:[0,1,0]
	v_mul_lo_u32 v28, v28, v29
	v_and_b32_sdwa v29, s23, v31 dst_sel:DWORD dst_unused:UNUSED_PAD src0_sel:DWORD src1_sel:BYTE_0
	v_add_f32_e32 v16, v16, v42
	v_lshrrev_b16_e32 v42, 8, v31
	v_mul_lo_u32 v29, v47, v29
	v_dot4_i32_i8 v26, v34, v26, 0
	v_lshrrev_b16_e32 v43, 8, v30
	v_dot4_i32_i8 v26, v33, v27, v26
	v_mul_lo_u32 v27, v48, v42
	v_mul_lo_u32 v26, v26, v43
	v_cvt_f32_i32_e32 v28, v28
	v_cvt_f32_i32_e32 v29, v29
	;; [unrolled: 1-line block ×4, first 2 shown]
	v_fma_mix_f32 v28, v24, v28, 0 op_sel_hi:[1,0,0]
	v_fma_mix_f32 v24, v24, v29, 0 op_sel_hi:[1,0,0]
	;; [unrolled: 1-line block ×4, first 2 shown]
	v_mul_f32_e32 v24, v24, v46
	v_fma_mix_f32 v24, v26, v32, -v24 op_sel_hi:[0,1,0]
	v_add_f32_e32 v17, v17, v24
	v_lshrrev_b16_e32 v24, 8, v9
	v_dot4_i32_i8 v25, v49, v40, 0
	v_and_b32_sdwa v9, s23, v9 dst_sel:DWORD dst_unused:UNUSED_PAD src0_sel:DWORD src1_sel:BYTE_0
	v_dot4_i32_i8 v25, v50, v41, v25
	v_mul_lo_u32 v9, v10, v9
	v_dot4_i32_i8 v10, v36, v38, 0
	v_lshrrev_b16_e32 v26, 8, v8
	v_and_b32_sdwa v8, s23, v8 dst_sel:DWORD dst_unused:UNUSED_PAD src0_sel:DWORD src1_sel:BYTE_0
	v_dot4_i32_i8 v10, v35, v39, v10
	v_mul_lo_u32 v8, v25, v8
	v_mul_lo_u32 v11, v11, v24
	;; [unrolled: 1-line block ×3, first 2 shown]
	v_cvt_f32_i32_e32 v9, v9
	v_cvt_f32_i32_e32 v8, v8
	;; [unrolled: 1-line block ×4, first 2 shown]
	v_fma_mix_f32 v9, v13, v9, 0 op_sel_hi:[1,0,0]
	v_fma_mix_f32 v8, v13, v8, 0 op_sel_hi:[1,0,0]
	;; [unrolled: 1-line block ×3, first 2 shown]
	v_add_co_u32_e32 v4, vcc, 0x900, v4
	v_fma_mix_f32 v8, v37, v10, v8 op_sel_hi:[1,0,0]
	v_mul_f32_e32 v9, v9, v53
	v_add_u32_e32 v18, 8, v18
	v_addc_co_u32_e32 v5, vcc, 0, v5, vcc
	v_fma_mix_f32 v8, v8, v12, -v9 op_sel_hi:[0,1,0]
	v_cmp_le_u32_e32 vcc, s9, v18
	v_add_f32_e32 v14, v14, v8
	s_or_b64 s[12:13], vcc, s[12:13]
	v_add_u32_e32 v21, 64, v21
	s_andn2_b64 exec, exec, s[12:13]
	s_cbranch_execz .LBB125_19
.LBB125_3:                              ; =>This Inner Loop Header: Depth=1
	v_add_u32_e32 v10, s3, v18
	v_mad_i64_i32 v[10:11], s[16:17], v10, s19, v[6:7]
	v_add_co_u32_e32 v8, vcc, v4, v20
	v_addc_co_u32_e32 v9, vcc, 0, v5, vcc
	global_load_dword v24, v[4:5], off offset:-36
	global_load_dword v25, v[4:5], off
	global_load_dword v28, v[8:9], off offset:-32
	global_load_dword v29, v[8:9], off offset:-16
	global_load_dword v26, v[8:9], off offset:4
	global_load_dword v27, v[8:9], off offset:20
	v_add_co_u32_e32 v8, vcc, v10, v19
	v_addc_co_u32_e32 v9, vcc, 0, v11, vcc
	v_add_co_u32_e32 v8, vcc, v8, v20
	v_addc_co_u32_e32 v9, vcc, 0, v9, vcc
	global_load_dword v34, v[8:9], off offset:16
	global_load_dword v33, v[8:9], off offset:32
	v_add_co_u32_e32 v8, vcc, v10, v23
	v_addc_co_u32_e32 v9, vcc, 0, v11, vcc
                                        ; implicit-def: $vgpr30
                                        ; implicit-def: $vgpr31
                                        ; implicit-def: $vgpr44
                                        ; implicit-def: $vgpr45
	s_and_saveexec_b64 s[16:17], s[0:1]
	s_xor_b64 s[16:17], exec, s[16:17]
	s_cbranch_execz .LBB125_5
; %bb.4:                                ;   in Loop: Header=BB125_3 Depth=1
	global_load_ushort v13, v[8:9], off
	global_load_ushort v44, v[8:9], off offset:8
	global_load_ushort v45, v[8:9], off offset:4
	s_waitcnt vmcnt(2)
	v_lshrrev_b16_e32 v13, 2, v13
	s_waitcnt vmcnt(1)
	v_and_b32_e32 v12, 0xf0f, v44
	v_and_b32_e32 v13, 0x3030, v13
	v_or_b32_e32 v30, v13, v12
	v_lshrrev_b16_e32 v12, 4, v44
	s_waitcnt vmcnt(0)
	v_lshrrev_b16_e32 v13, 2, v45
	v_and_b32_e32 v12, 0xf0f, v12
	v_and_b32_e32 v13, 0x3030, v13
	v_or_b32_e32 v31, v13, v12
.LBB125_5:                              ;   in Loop: Header=BB125_3 Depth=1
	s_andn2_saveexec_b64 s[16:17], s[16:17]
	s_cbranch_execz .LBB125_7
; %bb.6:                                ;   in Loop: Header=BB125_3 Depth=1
	global_load_ushort v45, v[8:9], off offset:4
	global_load_ushort v44, v[8:9], off offset:8
	s_waitcnt vmcnt(1)
	v_and_b32_e32 v30, 0x3f3f, v45
	s_waitcnt vmcnt(0)
	v_and_b32_e32 v31, 0x3f3f, v44
.LBB125_7:                              ;   in Loop: Header=BB125_3 Depth=1
	s_or_b64 exec, exec, s[16:17]
	v_mov_b32_e32 v12, s20
	v_add_u32_e32 v32, s15, v18
	v_mov_b32_e32 v13, s21
	v_mad_i64_i32 v[12:13], s[16:17], v32, s19, v[12:13]
                                        ; implicit-def: $vgpr43
                                        ; implicit-def: $vgpr42
                                        ; implicit-def: $vgpr46
                                        ; implicit-def: $vgpr47
	v_add_co_u32_e32 v32, vcc, v12, v19
	v_addc_co_u32_e32 v35, vcc, 0, v13, vcc
	v_add_co_u32_e32 v37, vcc, v32, v20
	v_addc_co_u32_e32 v38, vcc, 0, v35, vcc
	global_load_dword v32, v[10:11], off
	global_load_dword v36, v[37:38], off offset:16
	global_load_dword v35, v[37:38], off offset:32
	v_add_co_u32_e32 v10, vcc, v12, v23
	v_addc_co_u32_e32 v11, vcc, 0, v13, vcc
	s_and_saveexec_b64 s[16:17], s[0:1]
	s_xor_b64 s[16:17], exec, s[16:17]
	s_cbranch_execz .LBB125_9
; %bb.8:                                ;   in Loop: Header=BB125_3 Depth=1
	global_load_ushort v46, v[10:11], off offset:8
	global_load_ushort v37, v[10:11], off
	global_load_ushort v47, v[10:11], off offset:4
	s_waitcnt vmcnt(2)
	v_lshrrev_b16_e32 v39, 4, v46
	s_waitcnt vmcnt(1)
	v_lshrrev_b16_e32 v37, 2, v37
	;; [unrolled: 2-line block ×3, first 2 shown]
	v_and_b32_e32 v38, 0xf0f, v46
	v_and_b32_e32 v37, 0x3030, v37
	;; [unrolled: 1-line block ×4, first 2 shown]
	v_or_b32_e32 v43, v37, v38
	v_or_b32_e32 v42, v40, v39
.LBB125_9:                              ;   in Loop: Header=BB125_3 Depth=1
	s_andn2_saveexec_b64 s[16:17], s[16:17]
	s_cbranch_execz .LBB125_11
; %bb.10:                               ;   in Loop: Header=BB125_3 Depth=1
	global_load_ushort v47, v[10:11], off offset:4
	global_load_ushort v46, v[10:11], off offset:8
	s_waitcnt vmcnt(1)
	v_and_b32_e32 v43, 0x3f3f, v47
	s_waitcnt vmcnt(0)
	v_and_b32_e32 v42, 0x3f3f, v46
.LBB125_11:                             ;   in Loop: Header=BB125_3 Depth=1
	s_or_b64 exec, exec, s[16:17]
	v_mad_u64_u32 v[48:49], s[16:17], v21, 36, v[2:3]
	global_load_dword v12, v[12:13], off
	v_add_co_u32_e32 v50, vcc, v48, v22
	v_addc_co_u32_e32 v51, vcc, 0, v49, vcc
	global_load_dword v13, v[48:49], off
	global_load_dword v40, v[50:51], off offset:4
	global_load_dword v41, v[50:51], off offset:20
	;; [unrolled: 1-line block ×5, first 2 shown]
                                        ; implicit-def: $vgpr49
                                        ; implicit-def: $vgpr48
	s_and_saveexec_b64 s[16:17], s[0:1]
	s_xor_b64 s[16:17], exec, s[16:17]
	s_cbranch_execz .LBB125_13
; %bb.12:                               ;   in Loop: Header=BB125_3 Depth=1
	global_load_ushort v8, v[8:9], off
	v_and_b32_e32 v9, 0xf0f, v44
	v_lshrrev_b16_e32 v44, 4, v44
	v_lshrrev_b16_e32 v45, 2, v45
	v_and_b32_e32 v44, 0xf0f, v44
	v_and_b32_e32 v45, 0x3030, v45
	v_or_b32_e32 v48, v45, v44
                                        ; implicit-def: $vgpr45
                                        ; implicit-def: $vgpr44
	s_waitcnt vmcnt(0)
	v_lshrrev_b16_e32 v8, 2, v8
	v_and_b32_e32 v8, 0x3030, v8
	v_or_b32_e32 v49, v8, v9
	s_andn2_saveexec_b64 s[16:17], s[16:17]
	s_branch .LBB125_14
.LBB125_13:                             ;   in Loop: Header=BB125_3 Depth=1
	s_andn2_saveexec_b64 s[16:17], s[16:17]
.LBB125_14:                             ;   in Loop: Header=BB125_3 Depth=1
	v_and_b32_e32 v49, 0x3f3f, v45
	v_and_b32_e32 v48, 0x3f3f, v44
; %bb.15:                               ;   in Loop: Header=BB125_3 Depth=1
	s_or_b64 exec, exec, s[16:17]
                                        ; implicit-def: $vgpr8
                                        ; implicit-def: $vgpr9
	s_and_saveexec_b64 s[16:17], s[0:1]
	s_xor_b64 s[16:17], exec, s[16:17]
	s_cbranch_execz .LBB125_17
; %bb.16:                               ;   in Loop: Header=BB125_3 Depth=1
	global_load_ushort v8, v[10:11], off
	v_lshrrev_b16_e32 v10, 4, v46
	v_lshrrev_b16_e32 v11, 2, v47
	v_and_b32_e32 v9, 0xf0f, v46
	v_and_b32_e32 v10, 0xf0f, v10
	;; [unrolled: 1-line block ×3, first 2 shown]
                                        ; implicit-def: $vgpr47
                                        ; implicit-def: $vgpr46
	s_waitcnt vmcnt(0)
	v_lshrrev_b16_e32 v8, 2, v8
	v_and_b32_e32 v8, 0x3030, v8
	v_or_b32_e32 v8, v8, v9
	v_or_b32_e32 v9, v11, v10
	s_andn2_saveexec_b64 s[16:17], s[16:17]
	s_cbranch_execz .LBB125_2
	s_branch .LBB125_18
.LBB125_17:                             ;   in Loop: Header=BB125_3 Depth=1
	s_andn2_saveexec_b64 s[16:17], s[16:17]
	s_cbranch_execz .LBB125_2
.LBB125_18:                             ;   in Loop: Header=BB125_3 Depth=1
	v_and_b32_e32 v8, 0x3f3f, v47
	v_and_b32_e32 v9, 0x3f3f, v46
	s_branch .LBB125_2
.LBB125_19:
	s_or_b64 exec, exec, s[12:13]
.LBB125_20:
	s_or_b64 exec, exec, s[10:11]
	v_cmp_eq_u32_e32 vcc, 0, v1
	v_cmp_ne_u32_e64 s[0:1], 0, v1
	v_lshlrev_b32_e32 v2, 2, v0
	s_and_saveexec_b64 s[10:11], s[0:1]
	s_cbranch_execz .LBB125_22
; %bb.21:
	v_lshl_or_b32 v1, v1, 10, v2
	v_add_u32_e32 v1, 0xfffffc00, v1
	ds_write2st64_b32 v1, v17, v16 offset1:1
	ds_write2st64_b32 v1, v15, v14 offset0:2 offset1:3
.LBB125_22:
	s_or_b64 exec, exec, s[10:11]
	s_waitcnt lgkmcnt(0)
	s_barrier
	s_and_saveexec_b64 s[0:1], vcc
	s_cbranch_execz .LBB125_27
; %bb.23:
	v_mbcnt_lo_u32_b32 v1, -1, 0
	v_mbcnt_hi_u32_b32 v7, -1, v1
	ds_read2st64_b32 v[5:6], v2 offset1:1
	v_and_b32_e32 v1, 64, v7
	v_add_u32_e32 v8, 64, v1
	v_xor_b32_e32 v1, 32, v7
	v_cmp_lt_i32_e32 vcc, v1, v8
	v_cndmask_b32_e32 v1, v7, v1, vcc
	v_lshlrev_b32_e32 v1, 2, v1
	s_waitcnt lgkmcnt(0)
	v_add_f32_e32 v10, v5, v17
	v_add_f32_e32 v6, v6, v16
	ds_bpermute_b32 v11, v1, v10
	ds_bpermute_b32 v12, v1, v6
	v_xor_b32_e32 v3, 16, v7
	v_cmp_lt_i32_e32 vcc, v3, v8
	v_cndmask_b32_e32 v3, v7, v3, vcc
	v_lshlrev_b32_e32 v3, 2, v3
	s_waitcnt lgkmcnt(1)
	v_add_f32_e32 v10, v10, v11
	s_waitcnt lgkmcnt(0)
	v_add_f32_e32 v6, v6, v12
	ds_bpermute_b32 v11, v3, v10
	ds_bpermute_b32 v12, v3, v6
	v_xor_b32_e32 v4, 8, v7
	v_cmp_lt_i32_e32 vcc, v4, v8
	v_cndmask_b32_e32 v4, v7, v4, vcc
	v_lshlrev_b32_e32 v4, 2, v4
	s_waitcnt lgkmcnt(1)
	v_add_f32_e32 v10, v10, v11
	s_waitcnt lgkmcnt(0)
	;; [unrolled: 10-line block ×3, first 2 shown]
	v_add_f32_e32 v12, v12, v13
	ds_bpermute_b32 v11, v5, v10
	ds_bpermute_b32 v13, v5, v12
	v_xor_b32_e32 v9, 2, v7
	v_cmp_lt_i32_e32 vcc, v9, v8
	v_cndmask_b32_e32 v9, v7, v9, vcc
	v_lshlrev_b32_e32 v6, 2, v9
	v_xor_b32_e32 v9, 1, v7
	v_cmp_lt_i32_e32 vcc, v9, v8
	s_waitcnt lgkmcnt(1)
	v_add_f32_e32 v8, v10, v11
	s_waitcnt lgkmcnt(0)
	v_add_f32_e32 v11, v12, v13
	ds_bpermute_b32 v10, v6, v8
	ds_bpermute_b32 v12, v6, v11
	s_load_dwordx2 s[0:1], s[4:5], 0x38
	v_cndmask_b32_e32 v7, v7, v9, vcc
	s_mul_i32 s2, s2, s7
	v_lshlrev_b32_e32 v9, 2, v7
	s_waitcnt lgkmcnt(0)
	v_add_f32_e32 v7, v8, v10
	v_add_f32_e32 v10, v11, v12
	s_mul_i32 s3, s18, s8
	s_add_i32 s2, s2, s6
	ds_bpermute_b32 v8, v9, v7
	ds_bpermute_b32 v11, v9, v10
	s_add_i32 s2, s2, s3
	s_mov_b32 s3, 0
	s_lshl_b64 s[2:3], s[2:3], 2
	s_add_u32 s2, s0, s2
	v_add_u32_e32 v12, s6, v0
	s_addc_u32 s3, s1, s3
	v_cmp_gt_u32_e32 vcc, 2, v0
	v_cmp_gt_u32_e64 s[0:1], s14, v12
	s_and_b64 s[0:1], vcc, s[0:1]
	s_waitcnt lgkmcnt(1)
	v_add_f32_e32 v7, v7, v8
	s_waitcnt lgkmcnt(0)
	v_add_f32_e32 v8, v10, v11
	s_and_saveexec_b64 s[4:5], s[0:1]
	s_cbranch_execz .LBB125_25
; %bb.24:
	v_cmp_eq_u32_e32 vcc, 1, v0
	v_cndmask_b32_e32 v10, v7, v8, vcc
	v_cmp_eq_u32_e32 vcc, 2, v0
	v_cndmask_b32_e32 v10, v10, v15, vcc
	;; [unrolled: 2-line block ×3, first 2 shown]
	global_store_dword v2, v10, s[2:3]
.LBB125_25:
	s_or_b64 exec, exec, s[4:5]
	ds_read2st64_b32 v[10:11], v2 offset0:2 offset1:3
	s_waitcnt lgkmcnt(0)
	v_add_f32_e32 v2, v10, v15
	v_add_f32_e32 v10, v11, v14
	ds_bpermute_b32 v11, v1, v2
	ds_bpermute_b32 v1, v1, v10
	s_waitcnt lgkmcnt(1)
	v_add_f32_e32 v2, v2, v11
	s_waitcnt lgkmcnt(0)
	v_add_f32_e32 v1, v10, v1
	ds_bpermute_b32 v10, v3, v2
	ds_bpermute_b32 v3, v3, v1
	s_waitcnt lgkmcnt(1)
	v_add_f32_e32 v2, v2, v10
	s_waitcnt lgkmcnt(0)
	;; [unrolled: 6-line block ×5, first 2 shown]
	v_add_f32_e32 v2, v3, v4
	ds_bpermute_b32 v3, v9, v1
	ds_bpermute_b32 v4, v9, v2
	s_and_b64 exec, exec, s[0:1]
	s_cbranch_execz .LBB125_27
; %bb.26:
	s_waitcnt lgkmcnt(1)
	v_add_f32_e32 v1, v1, v3
	v_add_u32_e32 v3, 2, v0
	v_cmp_eq_u32_e32 vcc, 1, v3
	s_waitcnt lgkmcnt(0)
	v_add_f32_e32 v2, v2, v4
	v_cndmask_b32_e32 v4, v7, v8, vcc
	v_cmp_eq_u32_e32 vcc, 2, v3
	v_cndmask_b32_e32 v1, v4, v1, vcc
	v_cmp_eq_u32_e32 vcc, 3, v3
	v_cndmask_b32_e32 v2, v1, v2, vcc
	v_add_u32_e32 v0, s14, v0
	v_mov_b32_e32 v1, 0
	v_lshlrev_b64 v[0:1], 2, v[0:1]
	v_mov_b32_e32 v3, s3
	v_add_co_u32_e32 v0, vcc, s2, v0
	v_addc_co_u32_e32 v1, vcc, v3, v1, vcc
	global_store_dword v[0:1], v2, off
.LBB125_27:
	s_endpgm
	.section	.rodata,"a",@progbits
	.p2align	6, 0x0
	.amdhsa_kernel _ZL13mul_mat_vec_qIL9ggml_type12ELi2ELb0ELb0EEvPKvS2_PKi31ggml_cuda_mm_fusion_args_devicePfj15HIP_vector_typeIjLj3EEjjjS8_jjjS8_jjjj
		.amdhsa_group_segment_fixed_size 1024
		.amdhsa_private_segment_fixed_size 0
		.amdhsa_kernarg_size 144
		.amdhsa_user_sgpr_count 6
		.amdhsa_user_sgpr_private_segment_buffer 1
		.amdhsa_user_sgpr_dispatch_ptr 0
		.amdhsa_user_sgpr_queue_ptr 0
		.amdhsa_user_sgpr_kernarg_segment_ptr 1
		.amdhsa_user_sgpr_dispatch_id 0
		.amdhsa_user_sgpr_flat_scratch_init 0
		.amdhsa_user_sgpr_private_segment_size 0
		.amdhsa_uses_dynamic_stack 0
		.amdhsa_system_sgpr_private_segment_wavefront_offset 0
		.amdhsa_system_sgpr_workgroup_id_x 1
		.amdhsa_system_sgpr_workgroup_id_y 1
		.amdhsa_system_sgpr_workgroup_id_z 1
		.amdhsa_system_sgpr_workgroup_info 0
		.amdhsa_system_vgpr_workitem_id 1
		.amdhsa_next_free_vgpr 54
		.amdhsa_next_free_sgpr 26
		.amdhsa_reserve_vcc 1
		.amdhsa_reserve_flat_scratch 0
		.amdhsa_float_round_mode_32 0
		.amdhsa_float_round_mode_16_64 0
		.amdhsa_float_denorm_mode_32 3
		.amdhsa_float_denorm_mode_16_64 3
		.amdhsa_dx10_clamp 1
		.amdhsa_ieee_mode 1
		.amdhsa_fp16_overflow 0
		.amdhsa_exception_fp_ieee_invalid_op 0
		.amdhsa_exception_fp_denorm_src 0
		.amdhsa_exception_fp_ieee_div_zero 0
		.amdhsa_exception_fp_ieee_overflow 0
		.amdhsa_exception_fp_ieee_underflow 0
		.amdhsa_exception_fp_ieee_inexact 0
		.amdhsa_exception_int_div_zero 0
	.end_amdhsa_kernel
	.section	.text._ZL13mul_mat_vec_qIL9ggml_type12ELi2ELb0ELb0EEvPKvS2_PKi31ggml_cuda_mm_fusion_args_devicePfj15HIP_vector_typeIjLj3EEjjjS8_jjjS8_jjjj,"axG",@progbits,_ZL13mul_mat_vec_qIL9ggml_type12ELi2ELb0ELb0EEvPKvS2_PKi31ggml_cuda_mm_fusion_args_devicePfj15HIP_vector_typeIjLj3EEjjjS8_jjjS8_jjjj,comdat
.Lfunc_end125:
	.size	_ZL13mul_mat_vec_qIL9ggml_type12ELi2ELb0ELb0EEvPKvS2_PKi31ggml_cuda_mm_fusion_args_devicePfj15HIP_vector_typeIjLj3EEjjjS8_jjjS8_jjjj, .Lfunc_end125-_ZL13mul_mat_vec_qIL9ggml_type12ELi2ELb0ELb0EEvPKvS2_PKi31ggml_cuda_mm_fusion_args_devicePfj15HIP_vector_typeIjLj3EEjjjS8_jjjS8_jjjj
                                        ; -- End function
	.set _ZL13mul_mat_vec_qIL9ggml_type12ELi2ELb0ELb0EEvPKvS2_PKi31ggml_cuda_mm_fusion_args_devicePfj15HIP_vector_typeIjLj3EEjjjS8_jjjS8_jjjj.num_vgpr, 54
	.set _ZL13mul_mat_vec_qIL9ggml_type12ELi2ELb0ELb0EEvPKvS2_PKi31ggml_cuda_mm_fusion_args_devicePfj15HIP_vector_typeIjLj3EEjjjS8_jjjS8_jjjj.num_agpr, 0
	.set _ZL13mul_mat_vec_qIL9ggml_type12ELi2ELb0ELb0EEvPKvS2_PKi31ggml_cuda_mm_fusion_args_devicePfj15HIP_vector_typeIjLj3EEjjjS8_jjjS8_jjjj.numbered_sgpr, 26
	.set _ZL13mul_mat_vec_qIL9ggml_type12ELi2ELb0ELb0EEvPKvS2_PKi31ggml_cuda_mm_fusion_args_devicePfj15HIP_vector_typeIjLj3EEjjjS8_jjjS8_jjjj.num_named_barrier, 0
	.set _ZL13mul_mat_vec_qIL9ggml_type12ELi2ELb0ELb0EEvPKvS2_PKi31ggml_cuda_mm_fusion_args_devicePfj15HIP_vector_typeIjLj3EEjjjS8_jjjS8_jjjj.private_seg_size, 0
	.set _ZL13mul_mat_vec_qIL9ggml_type12ELi2ELb0ELb0EEvPKvS2_PKi31ggml_cuda_mm_fusion_args_devicePfj15HIP_vector_typeIjLj3EEjjjS8_jjjS8_jjjj.uses_vcc, 1
	.set _ZL13mul_mat_vec_qIL9ggml_type12ELi2ELb0ELb0EEvPKvS2_PKi31ggml_cuda_mm_fusion_args_devicePfj15HIP_vector_typeIjLj3EEjjjS8_jjjS8_jjjj.uses_flat_scratch, 0
	.set _ZL13mul_mat_vec_qIL9ggml_type12ELi2ELb0ELb0EEvPKvS2_PKi31ggml_cuda_mm_fusion_args_devicePfj15HIP_vector_typeIjLj3EEjjjS8_jjjS8_jjjj.has_dyn_sized_stack, 0
	.set _ZL13mul_mat_vec_qIL9ggml_type12ELi2ELb0ELb0EEvPKvS2_PKi31ggml_cuda_mm_fusion_args_devicePfj15HIP_vector_typeIjLj3EEjjjS8_jjjS8_jjjj.has_recursion, 0
	.set _ZL13mul_mat_vec_qIL9ggml_type12ELi2ELb0ELb0EEvPKvS2_PKi31ggml_cuda_mm_fusion_args_devicePfj15HIP_vector_typeIjLj3EEjjjS8_jjjS8_jjjj.has_indirect_call, 0
	.section	.AMDGPU.csdata,"",@progbits
; Kernel info:
; codeLenInByte = 2792
; TotalNumSgprs: 30
; NumVgprs: 54
; ScratchSize: 0
; MemoryBound: 0
; FloatMode: 240
; IeeeMode: 1
; LDSByteSize: 1024 bytes/workgroup (compile time only)
; SGPRBlocks: 3
; VGPRBlocks: 13
; NumSGPRsForWavesPerEU: 30
; NumVGPRsForWavesPerEU: 54
; Occupancy: 4
; WaveLimiterHint : 0
; COMPUTE_PGM_RSRC2:SCRATCH_EN: 0
; COMPUTE_PGM_RSRC2:USER_SGPR: 6
; COMPUTE_PGM_RSRC2:TRAP_HANDLER: 0
; COMPUTE_PGM_RSRC2:TGID_X_EN: 1
; COMPUTE_PGM_RSRC2:TGID_Y_EN: 1
; COMPUTE_PGM_RSRC2:TGID_Z_EN: 1
; COMPUTE_PGM_RSRC2:TIDIG_COMP_CNT: 1
	.section	.text._ZL13mul_mat_vec_qIL9ggml_type12ELi3ELb0ELb0EEvPKvS2_PKi31ggml_cuda_mm_fusion_args_devicePfj15HIP_vector_typeIjLj3EEjjjS8_jjjS8_jjjj,"axG",@progbits,_ZL13mul_mat_vec_qIL9ggml_type12ELi3ELb0ELb0EEvPKvS2_PKi31ggml_cuda_mm_fusion_args_devicePfj15HIP_vector_typeIjLj3EEjjjS8_jjjS8_jjjj,comdat
	.globl	_ZL13mul_mat_vec_qIL9ggml_type12ELi3ELb0ELb0EEvPKvS2_PKi31ggml_cuda_mm_fusion_args_devicePfj15HIP_vector_typeIjLj3EEjjjS8_jjjS8_jjjj ; -- Begin function _ZL13mul_mat_vec_qIL9ggml_type12ELi3ELb0ELb0EEvPKvS2_PKi31ggml_cuda_mm_fusion_args_devicePfj15HIP_vector_typeIjLj3EEjjjS8_jjjS8_jjjj
	.p2align	8
	.type	_ZL13mul_mat_vec_qIL9ggml_type12ELi3ELb0ELb0EEvPKvS2_PKi31ggml_cuda_mm_fusion_args_devicePfj15HIP_vector_typeIjLj3EEjjjS8_jjjS8_jjjj,@function
_ZL13mul_mat_vec_qIL9ggml_type12ELi3ELb0ELb0EEvPKvS2_PKi31ggml_cuda_mm_fusion_args_devicePfj15HIP_vector_typeIjLj3EEjjjS8_jjjS8_jjjj: ; @_ZL13mul_mat_vec_qIL9ggml_type12ELi3ELb0ELb0EEvPKvS2_PKi31ggml_cuda_mm_fusion_args_devicePfj15HIP_vector_typeIjLj3EEjjjS8_jjjS8_jjjj
; %bb.0:
	s_load_dword s9, s[4:5], 0x40
	s_load_dwordx4 s[12:15], s[4:5], 0x50
	s_load_dword s25, s[4:5], 0x60
	s_load_dwordx4 s[0:3], s[4:5], 0x68
	;; [unrolled: 2-line block ×3, first 2 shown]
	v_lshl_add_u32 v2, v1, 6, v0
	s_waitcnt lgkmcnt(0)
	s_lshr_b32 s9, s9, 8
	v_lshrrev_b32_e32 v20, 4, v2
	v_mov_b32_e32 v19, 0
	s_lshl_b32 s6, s6, 1
	v_cmp_gt_u32_e32 vcc, s9, v20
	v_mov_b32_e32 v18, 0
	v_mov_b32_e32 v17, 0
	;; [unrolled: 1-line block ×5, first 2 shown]
	s_and_saveexec_b64 s[10:11], vcc
	s_cbranch_execz .LBB126_24
; %bb.1:
	s_mul_hi_u32 s15, s15, s7
	s_add_i32 s15, s7, s15
	s_load_dwordx4 s[20:23], s[4:5], 0x0
	s_lshr_b32 s15, s15, s25
	s_mul_i32 s15, s15, s0
	s_mul_hi_u32 s0, s3, s8
	s_add_i32 s0, s8, s0
	s_lshr_b32 s0, s0, s24
	s_mul_i32 s3, s17, s8
	s_mul_i32 s0, s0, s16
	s_mul_hi_u32 s16, s3, 36
	s_mul_i32 s3, s3, 36
	s_waitcnt lgkmcnt(0)
	s_add_u32 s3, s22, s3
	s_mul_i32 s1, s1, s7
	s_addc_u32 s17, s23, s16
	s_mul_hi_u32 s19, s1, 36
	s_mul_i32 s1, s1, 36
	s_add_u32 s16, s3, s1
	s_addc_u32 s17, s17, s19
	s_add_i32 s19, s6, 1
	v_bfe_u32 v4, v0, 2, 2
	s_mul_i32 s3, s6, s12
	s_mul_i32 s12, s12, s19
	v_mul_hi_u32_u24_e32 v5, 0x48, v4
	v_mul_u32_u24_e32 v4, 0x48, v4
	s_movk_i32 s19, 0x120
	v_mad_u64_u32 v[4:5], s[22:23], v20, s19, v[4:5]
	v_lshlrev_b32_e32 v2, 1, v0
	v_bfe_u32 v8, v2, 3, 2
	v_and_b32_e32 v3, 30, v2
	v_lshlrev_b32_e32 v2, 1, v8
	s_add_i32 s15, s0, s15
	v_cmp_lt_u32_e64 s[0:1], 15, v3
	v_mad_u64_u32 v[2:3], s[22:23], v2, 36, s[16:17]
	v_mov_b32_e32 v6, s17
	v_add_co_u32_e32 v4, vcc, s16, v4
	v_addc_co_u32_e32 v5, vcc, v6, v5, vcc
	v_lshlrev_b32_e32 v6, 3, v20
	v_mov_b32_e32 v14, 0
	v_and_b32_e32 v22, 3, v0
	v_add_co_u32_e32 v4, vcc, 36, v4
	v_lshl_add_u32 v24, s13, 1, v6
	v_add_u32_e32 v25, s13, v6
	v_mov_b32_e32 v6, s20
	v_lshlrev_b32_e32 v21, 5, v8
	v_lshlrev_b32_e32 v23, 2, v22
	s_add_i32 s3, s15, s3
	s_add_i32 s15, s15, s12
	v_addc_co_u32_e32 v5, vcc, 0, v5, vcc
	s_mov_b64 s[12:13], 0
	s_movk_i32 s19, 0x90
	s_mov_b32 s22, 0x1010101
	s_mov_b32 s23, 0xffff
	v_mov_b32_e32 v7, s21
	v_lshlrev_b32_e32 v26, 1, v8
	v_mov_b32_e32 v15, v14
	v_mov_b32_e32 v16, v14
	;; [unrolled: 1-line block ×5, first 2 shown]
	s_branch .LBB126_3
.LBB126_2:                              ;   in Loop: Header=BB126_3 Depth=1
	s_andn2_saveexec_b64 s[16:17], s[16:17]
	s_or_b64 exec, exec, s[16:17]
	s_waitcnt vmcnt(17)
	v_and_b32_e32 v10, 0xf0f0f0f, v38
	s_waitcnt vmcnt(4)
	v_dot4_i32_i8 v8, s22, v53, 0
	v_and_b32_e32 v11, 0xf0f0f0f, v37
	v_lshrrev_b32_e32 v38, 4, v38
	v_dot4_i32_i8 v64, v10, v53, 0
	s_waitcnt vmcnt(3)
	v_dot4_i32_i8 v8, s22, v54, v8
	s_waitcnt vmcnt(2)
	v_dot4_i32_i8 v9, s22, v51, 0
	v_and_b32_e32 v38, 0xf0f0f0f, v38
	v_lshrrev_b32_e32 v37, 4, v37
	v_lshrrev_b16_e32 v62, 8, v60
	v_lshrrev_b16_e32 v63, 8, v59
	v_dot4_i32_i8 v64, v11, v54, v64
	v_and_b32_sdwa v59, s23, v59 dst_sel:DWORD dst_unused:UNUSED_PAD src0_sel:DWORD src1_sel:BYTE_0
	v_and_b32_sdwa v60, s23, v60 dst_sel:DWORD dst_unused:UNUSED_PAD src0_sel:DWORD src1_sel:BYTE_0
	s_waitcnt vmcnt(1)
	v_dot4_i32_i8 v9, s22, v52, v9
	v_and_b32_e32 v37, 0xf0f0f0f, v37
	v_mul_lo_u32 v59, v64, v59
	v_mul_lo_u32 v60, v8, v60
	v_dot4_i32_i8 v64, v38, v51, 0
	v_dot4_i32_i8 v64, v37, v52, v64
	v_mul_lo_u32 v62, v9, v62
	v_mul_lo_u32 v63, v64, v63
	v_cvt_f32_i32_e32 v60, v60
	v_cvt_f32_i32_e32 v59, v59
	;; [unrolled: 1-line block ×3, first 2 shown]
	v_cvt_f32_f16_sdwa v61, v35 dst_sel:DWORD dst_unused:UNUSED_PAD src0_sel:WORD_1
	v_cvt_f32_i32_e32 v63, v63
	v_fma_mix_f32 v60, v44, v60, 0 op_sel_hi:[1,0,0]
	v_fma_mix_f32 v59, v44, v59, 0 op_sel_hi:[1,0,0]
	s_waitcnt vmcnt(0)
	v_fma_mix_f32 v60, v45, v62, v60 op_sel_hi:[1,0,0]
	v_fma_mix_f32 v59, v45, v63, v59 op_sel_hi:[1,0,0]
	v_mul_f32_e32 v60, v60, v61
	v_fma_mix_f32 v59, v59, v35, -v60 op_sel_hi:[0,1,0]
	v_and_b32_e32 v62, 0xf0f0f0f, v41
	v_add_f32_e32 v15, v15, v59
	v_dot4_i32_i8 v59, s22, v49, 0
	v_and_b32_e32 v63, 0xf0f0f0f, v40
	v_lshrrev_b32_e32 v41, 4, v41
	v_dot4_i32_i8 v67, v62, v49, 0
	v_dot4_i32_i8 v59, s22, v50, v59
	;; [unrolled: 1-line block ×3, first 2 shown]
	v_and_b32_e32 v41, 0xf0f0f0f, v41
	v_lshrrev_b32_e32 v40, 4, v40
	v_lshrrev_b16_e32 v65, 8, v57
	v_lshrrev_b16_e32 v66, 8, v58
	v_dot4_i32_i8 v67, v63, v50, v67
	v_and_b32_sdwa v58, s23, v58 dst_sel:DWORD dst_unused:UNUSED_PAD src0_sel:DWORD src1_sel:BYTE_0
	v_and_b32_sdwa v57, s23, v57 dst_sel:DWORD dst_unused:UNUSED_PAD src0_sel:DWORD src1_sel:BYTE_0
	v_dot4_i32_i8 v60, s22, v47, v60
	v_and_b32_e32 v40, 0xf0f0f0f, v40
	v_mul_lo_u32 v58, v67, v58
	v_mul_lo_u32 v57, v59, v57
	v_dot4_i32_i8 v67, v41, v46, 0
	v_dot4_i32_i8 v67, v40, v47, v67
	v_mul_lo_u32 v65, v60, v65
	v_mul_lo_u32 v66, v67, v66
	v_cvt_f32_i32_e32 v57, v57
	v_cvt_f32_i32_e32 v58, v58
	;; [unrolled: 1-line block ×3, first 2 shown]
	v_cvt_f32_f16_sdwa v64, v12 dst_sel:DWORD dst_unused:UNUSED_PAD src0_sel:WORD_1
	v_cvt_f32_i32_e32 v66, v66
	v_fma_mix_f32 v57, v13, v57, 0 op_sel_hi:[1,0,0]
	v_fma_mix_f32 v58, v13, v58, 0 op_sel_hi:[1,0,0]
	;; [unrolled: 1-line block ×3, first 2 shown]
	v_dot4_i32_i8 v49, v10, v49, 0
	v_fma_mix_f32 v58, v43, v66, v58 op_sel_hi:[1,0,0]
	v_mul_f32_e32 v57, v57, v64
	v_dot4_i32_i8 v49, v11, v50, v49
	v_and_b32_sdwa v50, s23, v56 dst_sel:DWORD dst_unused:UNUSED_PAD src0_sel:DWORD src1_sel:BYTE_0
	v_fma_mix_f32 v57, v58, v12, -v57 op_sel_hi:[0,1,0]
	v_mul_lo_u32 v49, v49, v50
	v_and_b32_sdwa v50, s23, v55 dst_sel:DWORD dst_unused:UNUSED_PAD src0_sel:DWORD src1_sel:BYTE_0
	v_add_f32_e32 v16, v16, v57
	v_lshrrev_b16_e32 v57, 8, v55
	v_mul_lo_u32 v50, v59, v50
	v_dot4_i32_i8 v46, v38, v46, 0
	v_lshrrev_b16_e32 v58, 8, v56
	v_dot4_i32_i8 v46, v37, v47, v46
	v_mul_lo_u32 v47, v60, v57
	v_mul_lo_u32 v46, v46, v58
	v_cvt_f32_i32_e32 v49, v49
	v_cvt_f32_i32_e32 v50, v50
	v_cvt_f32_i32_e32 v47, v47
	v_cvt_f32_i32_e32 v46, v46
	v_fma_mix_f32 v49, v13, v49, 0 op_sel_hi:[1,0,0]
	v_fma_mix_f32 v13, v13, v50, 0 op_sel_hi:[1,0,0]
	;; [unrolled: 1-line block ×4, first 2 shown]
	v_mul_f32_e32 v13, v13, v61
	v_fma_mix_f32 v13, v46, v35, -v13 op_sel_hi:[0,1,0]
	v_add_f32_e32 v17, v17, v13
	v_dot4_i32_i8 v13, s22, v31, 0
	v_dot4_i32_i8 v49, v62, v31, 0
	;; [unrolled: 1-line block ×4, first 2 shown]
	v_lshrrev_b16_e32 v46, 8, v39
	v_lshrrev_b16_e32 v47, 8, v36
	v_dot4_i32_i8 v49, v63, v32, v49
	v_and_b32_sdwa v36, s23, v36 dst_sel:DWORD dst_unused:UNUSED_PAD src0_sel:DWORD src1_sel:BYTE_0
	v_and_b32_sdwa v39, s23, v39 dst_sel:DWORD dst_unused:UNUSED_PAD src0_sel:DWORD src1_sel:BYTE_0
	v_dot4_i32_i8 v43, s22, v30, v43
	v_mul_lo_u32 v36, v49, v36
	v_mul_lo_u32 v39, v13, v39
	v_dot4_i32_i8 v49, v41, v29, 0
	v_dot4_i32_i8 v49, v40, v30, v49
	v_mul_lo_u32 v46, v43, v46
	v_mul_lo_u32 v47, v49, v47
	v_cvt_f32_i32_e32 v39, v39
	v_cvt_f32_i32_e32 v36, v36
	;; [unrolled: 1-line block ×4, first 2 shown]
	v_fma_mix_f32 v39, v27, v39, 0 op_sel_hi:[1,0,0]
	v_fma_mix_f32 v36, v27, v36, 0 op_sel_hi:[1,0,0]
	;; [unrolled: 1-line block ×3, first 2 shown]
	v_dot4_i32_i8 v10, v10, v31, 0
	v_fma_mix_f32 v36, v28, v47, v36 op_sel_hi:[1,0,0]
	v_mul_f32_e32 v39, v39, v64
	v_dot4_i32_i8 v10, v11, v32, v10
	v_and_b32_sdwa v11, s23, v34 dst_sel:DWORD dst_unused:UNUSED_PAD src0_sel:DWORD src1_sel:BYTE_0
	v_fma_mix_f32 v36, v36, v12, -v39 op_sel_hi:[0,1,0]
	v_mul_lo_u32 v10, v10, v11
	v_and_b32_sdwa v11, s23, v33 dst_sel:DWORD dst_unused:UNUSED_PAD src0_sel:DWORD src1_sel:BYTE_0
	v_add_f32_e32 v18, v18, v36
	v_lshrrev_b16_e32 v36, 8, v33
	v_mul_lo_u32 v11, v13, v11
	v_dot4_i32_i8 v13, v38, v29, 0
	v_lshrrev_b16_e32 v39, 8, v34
	v_dot4_i32_i8 v13, v37, v30, v13
	v_mul_lo_u32 v29, v43, v36
	v_mul_lo_u32 v13, v13, v39
	v_cvt_f32_i32_e32 v11, v11
	v_cvt_f32_i32_e32 v10, v10
	;; [unrolled: 1-line block ×4, first 2 shown]
	v_fma_mix_f32 v11, v27, v11, 0 op_sel_hi:[1,0,0]
	v_fma_mix_f32 v10, v27, v10, 0 op_sel_hi:[1,0,0]
	;; [unrolled: 1-line block ×4, first 2 shown]
	v_mul_f32_e32 v11, v11, v61
	v_fma_mix_f32 v10, v10, v35, -v11 op_sel_hi:[0,1,0]
	v_dot4_i32_i8 v11, v62, v53, 0
	v_and_b32_sdwa v13, s23, v48 dst_sel:DWORD dst_unused:UNUSED_PAD src0_sel:DWORD src1_sel:BYTE_0
	v_add_f32_e32 v19, v19, v10
	v_lshrrev_b16_e32 v10, 8, v48
	v_dot4_i32_i8 v11, v63, v54, v11
	v_mul_lo_u32 v8, v8, v13
	v_dot4_i32_i8 v13, v41, v51, 0
	v_and_b32_sdwa v28, s23, v42 dst_sel:DWORD dst_unused:UNUSED_PAD src0_sel:DWORD src1_sel:BYTE_0
	v_dot4_i32_i8 v13, v40, v52, v13
	v_lshrrev_b16_e32 v27, 8, v42
	v_mul_lo_u32 v11, v11, v28
	v_mul_lo_u32 v9, v9, v10
	;; [unrolled: 1-line block ×3, first 2 shown]
	v_cvt_f32_i32_e32 v8, v8
	v_cvt_f32_i32_e32 v10, v11
	;; [unrolled: 1-line block ×4, first 2 shown]
	v_fma_mix_f32 v8, v44, v8, 0 op_sel_hi:[1,0,0]
	v_fma_mix_f32 v10, v44, v10, 0 op_sel_hi:[1,0,0]
	;; [unrolled: 1-line block ×3, first 2 shown]
	v_add_co_u32_e32 v4, vcc, 0x900, v4
	v_fma_mix_f32 v10, v45, v11, v10 op_sel_hi:[1,0,0]
	v_mul_f32_e32 v8, v8, v64
	v_add_u32_e32 v20, 8, v20
	v_addc_co_u32_e32 v5, vcc, 0, v5, vcc
	v_fma_mix_f32 v8, v10, v12, -v8 op_sel_hi:[0,1,0]
	v_cmp_le_u32_e32 vcc, s9, v20
	v_add_f32_e32 v14, v14, v8
	v_add_u32_e32 v24, 64, v24
	s_or_b64 s[12:13], vcc, s[12:13]
	v_add_u32_e32 v25, 64, v25
	s_andn2_b64 exec, exec, s[12:13]
	s_cbranch_execz .LBB126_23
.LBB126_3:                              ; =>This Inner Loop Header: Depth=1
	v_add_u32_e32 v10, s3, v20
	v_mad_i64_i32 v[10:11], s[16:17], v10, s19, v[6:7]
	v_add_co_u32_e32 v8, vcc, v4, v23
	v_addc_co_u32_e32 v9, vcc, 0, v5, vcc
	global_load_dword v27, v[4:5], off offset:-36
	global_load_dword v28, v[4:5], off
	global_load_dword v31, v[8:9], off offset:-32
	global_load_dword v32, v[8:9], off offset:-16
	global_load_dword v29, v[8:9], off offset:4
	global_load_dword v30, v[8:9], off offset:20
	v_add_co_u32_e32 v8, vcc, v10, v21
	v_addc_co_u32_e32 v9, vcc, 0, v11, vcc
	v_add_co_u32_e32 v8, vcc, v8, v23
	v_addc_co_u32_e32 v9, vcc, 0, v9, vcc
	global_load_dword v38, v[8:9], off offset:16
	global_load_dword v37, v[8:9], off offset:32
	v_add_co_u32_e32 v8, vcc, v10, v26
	v_addc_co_u32_e32 v9, vcc, 0, v11, vcc
                                        ; implicit-def: $vgpr34
                                        ; implicit-def: $vgpr33
                                        ; implicit-def: $vgpr42
                                        ; implicit-def: $vgpr44
	s_and_saveexec_b64 s[16:17], s[0:1]
	s_xor_b64 s[16:17], exec, s[16:17]
	s_cbranch_execz .LBB126_5
; %bb.4:                                ;   in Loop: Header=BB126_3 Depth=1
	global_load_ushort v42, v[8:9], off offset:8
	global_load_ushort v12, v[8:9], off
	global_load_ushort v44, v[8:9], off offset:4
	s_waitcnt vmcnt(2)
	v_lshrrev_b16_e32 v33, 4, v42
	s_waitcnt vmcnt(1)
	v_lshrrev_b16_e32 v12, 2, v12
	;; [unrolled: 2-line block ×3, first 2 shown]
	v_and_b32_e32 v13, 0xf0f, v42
	v_and_b32_e32 v12, 0x3030, v12
	;; [unrolled: 1-line block ×4, first 2 shown]
	v_or_b32_e32 v34, v12, v13
	v_or_b32_e32 v33, v35, v33
.LBB126_5:                              ;   in Loop: Header=BB126_3 Depth=1
	s_andn2_saveexec_b64 s[16:17], s[16:17]
	s_cbranch_execz .LBB126_7
; %bb.6:                                ;   in Loop: Header=BB126_3 Depth=1
	global_load_ushort v44, v[8:9], off offset:4
	global_load_ushort v42, v[8:9], off offset:8
	s_waitcnt vmcnt(1)
	v_and_b32_e32 v34, 0x3f3f, v44
	s_waitcnt vmcnt(0)
	v_and_b32_e32 v33, 0x3f3f, v42
.LBB126_7:                              ;   in Loop: Header=BB126_3 Depth=1
	s_or_b64 exec, exec, s[16:17]
	v_mov_b32_e32 v12, s20
	v_add_u32_e32 v35, s15, v20
	v_mov_b32_e32 v13, s21
	v_mad_i64_i32 v[12:13], s[16:17], v35, s19, v[12:13]
                                        ; implicit-def: $vgpr39
                                        ; implicit-def: $vgpr51
	v_add_co_u32_e32 v35, vcc, v12, v21
	v_addc_co_u32_e32 v36, vcc, 0, v13, vcc
	v_add_co_u32_e32 v45, vcc, v35, v23
	v_addc_co_u32_e32 v46, vcc, 0, v36, vcc
	global_load_dword v35, v[10:11], off
	global_load_dword v41, v[45:46], off offset:16
	global_load_dword v40, v[45:46], off offset:32
	v_add_co_u32_e32 v10, vcc, v12, v26
	v_addc_co_u32_e32 v11, vcc, 0, v13, vcc
                                        ; implicit-def: $vgpr36
                                        ; implicit-def: $vgpr45
	s_and_saveexec_b64 s[16:17], s[0:1]
	s_xor_b64 s[16:17], exec, s[16:17]
	s_cbranch_execz .LBB126_9
; %bb.8:                                ;   in Loop: Header=BB126_3 Depth=1
	global_load_ushort v39, v[10:11], off
	global_load_ushort v45, v[10:11], off offset:8
	global_load_ushort v51, v[10:11], off offset:4
	s_waitcnt vmcnt(2)
	v_lshrrev_b16_e32 v39, 2, v39
	s_waitcnt vmcnt(1)
	v_and_b32_e32 v36, 0xf0f, v45
	v_and_b32_e32 v39, 0x3030, v39
	v_or_b32_e32 v36, v39, v36
	v_lshrrev_b16_e32 v39, 4, v45
	s_waitcnt vmcnt(0)
	v_lshrrev_b16_e32 v43, 2, v51
	v_and_b32_e32 v39, 0xf0f, v39
	v_and_b32_e32 v43, 0x3030, v43
	v_or_b32_e32 v39, v43, v39
.LBB126_9:                              ;   in Loop: Header=BB126_3 Depth=1
	s_andn2_saveexec_b64 s[16:17], s[16:17]
	s_cbranch_execz .LBB126_11
; %bb.10:                               ;   in Loop: Header=BB126_3 Depth=1
	global_load_ushort v51, v[10:11], off offset:4
	global_load_ushort v45, v[10:11], off offset:8
	s_waitcnt vmcnt(1)
	v_and_b32_e32 v36, 0x3f3f, v51
	s_waitcnt vmcnt(0)
	v_and_b32_e32 v39, 0x3f3f, v45
.LBB126_11:                             ;   in Loop: Header=BB126_3 Depth=1
	s_or_b64 exec, exec, s[16:17]
	v_mad_u64_u32 v[53:54], s[16:17], v25, 36, v[2:3]
	v_lshlrev_b32_e32 v52, 2, v22
	global_load_dword v12, v[12:13], off
	v_add_co_u32_e32 v55, vcc, v53, v52
	v_addc_co_u32_e32 v56, vcc, 0, v54, vcc
	global_load_dword v13, v[53:54], off
	global_load_dword v49, v[55:56], off offset:4
	global_load_dword v50, v[55:56], off offset:20
	;; [unrolled: 1-line block ×5, first 2 shown]
	v_lshrrev_b16_e32 v48, 4, v42
	v_lshrrev_b16_e32 v53, 2, v44
	v_and_b32_e32 v61, 0xf0f, v42
	v_and_b32_e32 v62, 0xf0f, v48
	;; [unrolled: 1-line block ×3, first 2 shown]
                                        ; implicit-def: $vgpr56
                                        ; implicit-def: $vgpr55
	s_and_saveexec_b64 s[16:17], s[0:1]
	s_xor_b64 s[16:17], exec, s[16:17]
	s_cbranch_execz .LBB126_13
; %bb.12:                               ;   in Loop: Header=BB126_3 Depth=1
	global_load_ushort v48, v[8:9], off
	v_or_b32_e32 v55, v63, v62
	s_waitcnt vmcnt(0)
	v_lshrrev_b16_e32 v48, 2, v48
	v_and_b32_e32 v48, 0x3030, v48
	v_or_b32_e32 v56, v48, v61
.LBB126_13:                             ;   in Loop: Header=BB126_3 Depth=1
	s_or_saveexec_b64 s[16:17], s[16:17]
	v_and_b32_e32 v59, 0x3f3f, v44
	v_and_b32_e32 v60, 0x3f3f, v42
	s_xor_b64 exec, exec, s[16:17]
; %bb.14:                               ;   in Loop: Header=BB126_3 Depth=1
	v_and_b32_e32 v56, 0x3f3f, v44
	v_and_b32_e32 v55, 0x3f3f, v42
; %bb.15:                               ;   in Loop: Header=BB126_3 Depth=1
	s_or_b64 exec, exec, s[16:17]
	v_lshrrev_b16_e32 v42, 4, v45
	v_lshrrev_b16_e32 v44, 2, v51
	v_and_b32_e32 v64, 0xf0f, v45
	v_and_b32_e32 v65, 0xf0f, v42
	;; [unrolled: 1-line block ×3, first 2 shown]
                                        ; implicit-def: $vgpr58
                                        ; implicit-def: $vgpr57
	s_and_saveexec_b64 s[16:17], s[0:1]
	s_xor_b64 s[16:17], exec, s[16:17]
	s_cbranch_execz .LBB126_17
; %bb.16:                               ;   in Loop: Header=BB126_3 Depth=1
	global_load_ushort v42, v[10:11], off
	v_or_b32_e32 v57, v66, v65
	s_waitcnt vmcnt(0)
	v_lshrrev_b16_e32 v42, 2, v42
	v_and_b32_e32 v42, 0x3030, v42
	v_or_b32_e32 v58, v42, v64
.LBB126_17:                             ;   in Loop: Header=BB126_3 Depth=1
	s_or_saveexec_b64 s[16:17], s[16:17]
	v_and_b32_e32 v42, 0x3f3f, v51
	v_and_b32_e32 v48, 0x3f3f, v45
	s_xor_b64 exec, exec, s[16:17]
; %bb.18:                               ;   in Loop: Header=BB126_3 Depth=1
	v_and_b32_e32 v58, 0x3f3f, v51
	v_and_b32_e32 v57, 0x3f3f, v45
; %bb.19:                               ;   in Loop: Header=BB126_3 Depth=1
	s_or_b64 exec, exec, s[16:17]
	v_mad_u64_u32 v[67:68], s[16:17], v24, 36, v[2:3]
	v_add_co_u32_e32 v69, vcc, v67, v52
	v_addc_co_u32_e32 v70, vcc, 0, v68, vcc
	global_load_dword v44, v[67:68], off
	global_load_dword v53, v[69:70], off offset:4
	global_load_dword v54, v[69:70], off offset:20
	;; [unrolled: 1-line block ×5, first 2 shown]
	s_and_saveexec_b64 s[16:17], s[0:1]
	s_xor_b64 s[16:17], exec, s[16:17]
	s_cbranch_execz .LBB126_21
; %bb.20:                               ;   in Loop: Header=BB126_3 Depth=1
	global_load_ushort v8, v[8:9], off
	v_or_b32_e32 v60, v63, v62
	s_waitcnt vmcnt(0)
	v_lshrrev_b16_e32 v8, 2, v8
	v_and_b32_e32 v8, 0x3030, v8
	v_or_b32_e32 v59, v8, v61
.LBB126_21:                             ;   in Loop: Header=BB126_3 Depth=1
	s_andn2_saveexec_b64 s[16:17], s[16:17]
	s_or_b64 exec, exec, s[16:17]
	s_and_saveexec_b64 s[16:17], s[0:1]
	s_xor_b64 s[16:17], exec, s[16:17]
	s_cbranch_execz .LBB126_2
; %bb.22:                               ;   in Loop: Header=BB126_3 Depth=1
	global_load_ushort v8, v[10:11], off
	v_or_b32_e32 v48, v66, v65
	s_waitcnt vmcnt(0)
	v_lshrrev_b16_e32 v8, 2, v8
	v_and_b32_e32 v8, 0x3030, v8
	v_or_b32_e32 v42, v8, v64
	s_branch .LBB126_2
.LBB126_23:
	s_or_b64 exec, exec, s[12:13]
.LBB126_24:
	s_or_b64 exec, exec, s[10:11]
	v_cmp_eq_u32_e32 vcc, 0, v1
	v_cmp_ne_u32_e64 s[0:1], 0, v1
	s_and_saveexec_b64 s[10:11], s[0:1]
	s_cbranch_execz .LBB126_26
; %bb.25:
	v_mul_u32_u24_e32 v1, 0x600, v1
	v_lshl_or_b32 v1, v0, 2, v1
	v_add_u32_e32 v1, 0xfffffa00, v1
	ds_write2st64_b32 v1, v19, v18 offset1:1
	ds_write2st64_b32 v1, v17, v16 offset0:2 offset1:3
	ds_write2st64_b32 v1, v15, v14 offset0:4 offset1:5
.LBB126_26:
	s_or_b64 exec, exec, s[10:11]
	s_waitcnt lgkmcnt(0)
	s_barrier
	s_and_saveexec_b64 s[0:1], vcc
	s_cbranch_execz .LBB126_33
; %bb.27:
	v_lshlrev_b32_e32 v3, 2, v0
	v_mbcnt_lo_u32_b32 v1, -1, 0
	v_mbcnt_hi_u32_b32 v7, -1, v1
	ds_read2st64_b32 v[5:6], v3 offset1:1
	v_and_b32_e32 v1, 64, v7
	v_add_u32_e32 v8, 64, v1
	v_xor_b32_e32 v1, 32, v7
	v_cmp_lt_i32_e32 vcc, v1, v8
	v_cndmask_b32_e32 v1, v7, v1, vcc
	v_lshlrev_b32_e32 v1, 2, v1
	s_waitcnt lgkmcnt(0)
	v_add_f32_e32 v10, v5, v19
	v_add_f32_e32 v6, v6, v18
	ds_bpermute_b32 v11, v1, v10
	ds_bpermute_b32 v12, v1, v6
	v_xor_b32_e32 v2, 16, v7
	v_cmp_lt_i32_e32 vcc, v2, v8
	v_cndmask_b32_e32 v2, v7, v2, vcc
	v_lshlrev_b32_e32 v2, 2, v2
	s_waitcnt lgkmcnt(1)
	v_add_f32_e32 v10, v10, v11
	s_waitcnt lgkmcnt(0)
	v_add_f32_e32 v6, v6, v12
	ds_bpermute_b32 v11, v2, v10
	ds_bpermute_b32 v12, v2, v6
	v_xor_b32_e32 v4, 8, v7
	v_cmp_lt_i32_e32 vcc, v4, v8
	v_cndmask_b32_e32 v4, v7, v4, vcc
	v_lshlrev_b32_e32 v4, 2, v4
	s_waitcnt lgkmcnt(1)
	v_add_f32_e32 v10, v10, v11
	s_waitcnt lgkmcnt(0)
	;; [unrolled: 10-line block ×3, first 2 shown]
	v_add_f32_e32 v12, v12, v13
	ds_bpermute_b32 v11, v5, v10
	ds_bpermute_b32 v13, v5, v12
	v_xor_b32_e32 v9, 2, v7
	v_cmp_lt_i32_e32 vcc, v9, v8
	v_cndmask_b32_e32 v9, v7, v9, vcc
	v_lshlrev_b32_e32 v6, 2, v9
	v_xor_b32_e32 v9, 1, v7
	v_cmp_lt_i32_e32 vcc, v9, v8
	s_waitcnt lgkmcnt(1)
	v_add_f32_e32 v8, v10, v11
	s_waitcnt lgkmcnt(0)
	v_add_f32_e32 v11, v12, v13
	ds_bpermute_b32 v10, v6, v8
	ds_bpermute_b32 v12, v6, v11
	s_load_dwordx2 s[0:1], s[4:5], 0x38
	v_cndmask_b32_e32 v7, v7, v9, vcc
	s_mul_i32 s2, s2, s7
	v_lshlrev_b32_e32 v9, 2, v7
	s_waitcnt lgkmcnt(0)
	v_add_f32_e32 v7, v8, v10
	v_add_f32_e32 v10, v11, v12
	s_mul_i32 s3, s18, s8
	s_add_i32 s2, s2, s6
	ds_bpermute_b32 v8, v9, v7
	ds_bpermute_b32 v11, v9, v10
	s_add_i32 s2, s2, s3
	s_mov_b32 s3, 0
	s_lshl_b64 s[2:3], s[2:3], 2
	s_add_u32 s2, s0, s2
	v_add_u32_e32 v12, s6, v0
	s_addc_u32 s3, s1, s3
	v_cmp_gt_u32_e32 vcc, 2, v0
	v_cmp_gt_u32_e64 s[0:1], s14, v12
	s_and_b64 s[0:1], vcc, s[0:1]
	s_waitcnt lgkmcnt(1)
	v_add_f32_e32 v7, v7, v8
	s_waitcnt lgkmcnt(0)
	v_add_f32_e32 v8, v10, v11
	s_and_saveexec_b64 s[4:5], s[0:1]
	s_cbranch_execz .LBB126_29
; %bb.28:
	v_cmp_eq_u32_e32 vcc, 1, v0
	v_cndmask_b32_e32 v10, v7, v8, vcc
	v_cmp_eq_u32_e32 vcc, 2, v0
	v_cndmask_b32_e32 v10, v10, v17, vcc
	;; [unrolled: 2-line block ×5, first 2 shown]
	global_store_dword v3, v10, s[2:3]
.LBB126_29:
	s_or_b64 exec, exec, s[4:5]
	ds_read2st64_b32 v[10:11], v3 offset0:2 offset1:3
	s_waitcnt lgkmcnt(0)
	v_add_f32_e32 v10, v10, v17
	v_add_f32_e32 v11, v11, v16
	ds_bpermute_b32 v12, v1, v10
	ds_bpermute_b32 v13, v1, v11
	s_waitcnt lgkmcnt(1)
	v_add_f32_e32 v10, v10, v12
	s_waitcnt lgkmcnt(0)
	v_add_f32_e32 v11, v11, v13
	ds_bpermute_b32 v12, v2, v10
	ds_bpermute_b32 v13, v2, v11
	s_waitcnt lgkmcnt(1)
	v_add_f32_e32 v10, v10, v12
	s_waitcnt lgkmcnt(0)
	;; [unrolled: 6-line block ×6, first 2 shown]
	v_add_f32_e32 v10, v12, v13
	s_and_saveexec_b64 s[4:5], s[0:1]
	s_cbranch_execz .LBB126_31
; %bb.30:
	v_add_u32_e32 v12, 2, v0
	v_cmp_eq_u32_e32 vcc, 1, v12
	v_cndmask_b32_e32 v13, v7, v8, vcc
	v_cmp_eq_u32_e32 vcc, 2, v12
	v_cndmask_b32_e32 v13, v13, v11, vcc
	v_cmp_eq_u32_e32 vcc, 3, v12
	v_cndmask_b32_e32 v13, v13, v10, vcc
	v_cmp_eq_u32_e32 vcc, 4, v12
	v_cndmask_b32_e32 v13, v13, v15, vcc
	v_cmp_eq_u32_e32 vcc, 5, v12
	v_cndmask_b32_e32 v16, v13, v14, vcc
	v_add_u32_e32 v12, s14, v0
	v_mov_b32_e32 v13, 0
	v_lshlrev_b64 v[12:13], 2, v[12:13]
	v_mov_b32_e32 v17, s3
	v_add_co_u32_e32 v12, vcc, s2, v12
	v_addc_co_u32_e32 v13, vcc, v17, v13, vcc
	global_store_dword v[12:13], v16, off
.LBB126_31:
	s_or_b64 exec, exec, s[4:5]
	ds_read2st64_b32 v[12:13], v3 offset0:4 offset1:5
	s_waitcnt lgkmcnt(0)
	v_add_f32_e32 v3, v12, v15
	v_add_f32_e32 v12, v13, v14
	ds_bpermute_b32 v13, v1, v3
	ds_bpermute_b32 v1, v1, v12
	s_waitcnt lgkmcnt(1)
	v_add_f32_e32 v3, v3, v13
	s_waitcnt lgkmcnt(0)
	v_add_f32_e32 v1, v12, v1
	ds_bpermute_b32 v12, v2, v3
	ds_bpermute_b32 v2, v2, v1
	s_waitcnt lgkmcnt(1)
	v_add_f32_e32 v3, v3, v12
	s_waitcnt lgkmcnt(0)
	v_add_f32_e32 v1, v1, v2
	ds_bpermute_b32 v2, v4, v3
	ds_bpermute_b32 v4, v4, v1
	s_waitcnt lgkmcnt(1)
	v_add_f32_e32 v2, v3, v2
	s_waitcnt lgkmcnt(0)
	v_add_f32_e32 v1, v1, v4
	ds_bpermute_b32 v3, v5, v2
	ds_bpermute_b32 v4, v5, v1
	s_waitcnt lgkmcnt(1)
	v_add_f32_e32 v2, v2, v3
	s_waitcnt lgkmcnt(0)
	v_add_f32_e32 v3, v1, v4
	ds_bpermute_b32 v1, v6, v2
	ds_bpermute_b32 v4, v6, v3
	s_waitcnt lgkmcnt(1)
	v_add_f32_e32 v1, v2, v1
	s_waitcnt lgkmcnt(0)
	v_add_f32_e32 v2, v3, v4
	ds_bpermute_b32 v3, v9, v1
	ds_bpermute_b32 v4, v9, v2
	s_and_b64 exec, exec, s[0:1]
	s_cbranch_execz .LBB126_33
; %bb.32:
	s_waitcnt lgkmcnt(1)
	v_add_f32_e32 v1, v1, v3
	v_add_u32_e32 v3, 4, v0
	v_cmp_eq_u32_e32 vcc, 1, v3
	s_waitcnt lgkmcnt(0)
	v_add_f32_e32 v2, v2, v4
	v_cndmask_b32_e32 v4, v7, v8, vcc
	v_cmp_eq_u32_e32 vcc, 2, v3
	v_cndmask_b32_e32 v4, v4, v11, vcc
	v_cmp_eq_u32_e32 vcc, 3, v3
	;; [unrolled: 2-line block ×4, first 2 shown]
	v_cndmask_b32_e32 v2, v1, v2, vcc
	v_lshl_or_b32 v0, s14, 1, v0
	v_mov_b32_e32 v1, 0
	v_lshlrev_b64 v[0:1], 2, v[0:1]
	v_mov_b32_e32 v3, s3
	v_add_co_u32_e32 v0, vcc, s2, v0
	v_addc_co_u32_e32 v1, vcc, v3, v1, vcc
	global_store_dword v[0:1], v2, off
.LBB126_33:
	s_endpgm
	.section	.rodata,"a",@progbits
	.p2align	6, 0x0
	.amdhsa_kernel _ZL13mul_mat_vec_qIL9ggml_type12ELi3ELb0ELb0EEvPKvS2_PKi31ggml_cuda_mm_fusion_args_devicePfj15HIP_vector_typeIjLj3EEjjjS8_jjjS8_jjjj
		.amdhsa_group_segment_fixed_size 1536
		.amdhsa_private_segment_fixed_size 0
		.amdhsa_kernarg_size 144
		.amdhsa_user_sgpr_count 6
		.amdhsa_user_sgpr_private_segment_buffer 1
		.amdhsa_user_sgpr_dispatch_ptr 0
		.amdhsa_user_sgpr_queue_ptr 0
		.amdhsa_user_sgpr_kernarg_segment_ptr 1
		.amdhsa_user_sgpr_dispatch_id 0
		.amdhsa_user_sgpr_flat_scratch_init 0
		.amdhsa_user_sgpr_private_segment_size 0
		.amdhsa_uses_dynamic_stack 0
		.amdhsa_system_sgpr_private_segment_wavefront_offset 0
		.amdhsa_system_sgpr_workgroup_id_x 1
		.amdhsa_system_sgpr_workgroup_id_y 1
		.amdhsa_system_sgpr_workgroup_id_z 1
		.amdhsa_system_sgpr_workgroup_info 0
		.amdhsa_system_vgpr_workitem_id 1
		.amdhsa_next_free_vgpr 71
		.amdhsa_next_free_sgpr 26
		.amdhsa_reserve_vcc 1
		.amdhsa_reserve_flat_scratch 0
		.amdhsa_float_round_mode_32 0
		.amdhsa_float_round_mode_16_64 0
		.amdhsa_float_denorm_mode_32 3
		.amdhsa_float_denorm_mode_16_64 3
		.amdhsa_dx10_clamp 1
		.amdhsa_ieee_mode 1
		.amdhsa_fp16_overflow 0
		.amdhsa_exception_fp_ieee_invalid_op 0
		.amdhsa_exception_fp_denorm_src 0
		.amdhsa_exception_fp_ieee_div_zero 0
		.amdhsa_exception_fp_ieee_overflow 0
		.amdhsa_exception_fp_ieee_underflow 0
		.amdhsa_exception_fp_ieee_inexact 0
		.amdhsa_exception_int_div_zero 0
	.end_amdhsa_kernel
	.section	.text._ZL13mul_mat_vec_qIL9ggml_type12ELi3ELb0ELb0EEvPKvS2_PKi31ggml_cuda_mm_fusion_args_devicePfj15HIP_vector_typeIjLj3EEjjjS8_jjjS8_jjjj,"axG",@progbits,_ZL13mul_mat_vec_qIL9ggml_type12ELi3ELb0ELb0EEvPKvS2_PKi31ggml_cuda_mm_fusion_args_devicePfj15HIP_vector_typeIjLj3EEjjjS8_jjjS8_jjjj,comdat
.Lfunc_end126:
	.size	_ZL13mul_mat_vec_qIL9ggml_type12ELi3ELb0ELb0EEvPKvS2_PKi31ggml_cuda_mm_fusion_args_devicePfj15HIP_vector_typeIjLj3EEjjjS8_jjjS8_jjjj, .Lfunc_end126-_ZL13mul_mat_vec_qIL9ggml_type12ELi3ELb0ELb0EEvPKvS2_PKi31ggml_cuda_mm_fusion_args_devicePfj15HIP_vector_typeIjLj3EEjjjS8_jjjS8_jjjj
                                        ; -- End function
	.set _ZL13mul_mat_vec_qIL9ggml_type12ELi3ELb0ELb0EEvPKvS2_PKi31ggml_cuda_mm_fusion_args_devicePfj15HIP_vector_typeIjLj3EEjjjS8_jjjS8_jjjj.num_vgpr, 71
	.set _ZL13mul_mat_vec_qIL9ggml_type12ELi3ELb0ELb0EEvPKvS2_PKi31ggml_cuda_mm_fusion_args_devicePfj15HIP_vector_typeIjLj3EEjjjS8_jjjS8_jjjj.num_agpr, 0
	.set _ZL13mul_mat_vec_qIL9ggml_type12ELi3ELb0ELb0EEvPKvS2_PKi31ggml_cuda_mm_fusion_args_devicePfj15HIP_vector_typeIjLj3EEjjjS8_jjjS8_jjjj.numbered_sgpr, 26
	.set _ZL13mul_mat_vec_qIL9ggml_type12ELi3ELb0ELb0EEvPKvS2_PKi31ggml_cuda_mm_fusion_args_devicePfj15HIP_vector_typeIjLj3EEjjjS8_jjjS8_jjjj.num_named_barrier, 0
	.set _ZL13mul_mat_vec_qIL9ggml_type12ELi3ELb0ELb0EEvPKvS2_PKi31ggml_cuda_mm_fusion_args_devicePfj15HIP_vector_typeIjLj3EEjjjS8_jjjS8_jjjj.private_seg_size, 0
	.set _ZL13mul_mat_vec_qIL9ggml_type12ELi3ELb0ELb0EEvPKvS2_PKi31ggml_cuda_mm_fusion_args_devicePfj15HIP_vector_typeIjLj3EEjjjS8_jjjS8_jjjj.uses_vcc, 1
	.set _ZL13mul_mat_vec_qIL9ggml_type12ELi3ELb0ELb0EEvPKvS2_PKi31ggml_cuda_mm_fusion_args_devicePfj15HIP_vector_typeIjLj3EEjjjS8_jjjS8_jjjj.uses_flat_scratch, 0
	.set _ZL13mul_mat_vec_qIL9ggml_type12ELi3ELb0ELb0EEvPKvS2_PKi31ggml_cuda_mm_fusion_args_devicePfj15HIP_vector_typeIjLj3EEjjjS8_jjjS8_jjjj.has_dyn_sized_stack, 0
	.set _ZL13mul_mat_vec_qIL9ggml_type12ELi3ELb0ELb0EEvPKvS2_PKi31ggml_cuda_mm_fusion_args_devicePfj15HIP_vector_typeIjLj3EEjjjS8_jjjS8_jjjj.has_recursion, 0
	.set _ZL13mul_mat_vec_qIL9ggml_type12ELi3ELb0ELb0EEvPKvS2_PKi31ggml_cuda_mm_fusion_args_devicePfj15HIP_vector_typeIjLj3EEjjjS8_jjjS8_jjjj.has_indirect_call, 0
	.section	.AMDGPU.csdata,"",@progbits
; Kernel info:
; codeLenInByte = 3696
; TotalNumSgprs: 30
; NumVgprs: 71
; ScratchSize: 0
; MemoryBound: 0
; FloatMode: 240
; IeeeMode: 1
; LDSByteSize: 1536 bytes/workgroup (compile time only)
; SGPRBlocks: 3
; VGPRBlocks: 17
; NumSGPRsForWavesPerEU: 30
; NumVGPRsForWavesPerEU: 71
; Occupancy: 3
; WaveLimiterHint : 0
; COMPUTE_PGM_RSRC2:SCRATCH_EN: 0
; COMPUTE_PGM_RSRC2:USER_SGPR: 6
; COMPUTE_PGM_RSRC2:TRAP_HANDLER: 0
; COMPUTE_PGM_RSRC2:TGID_X_EN: 1
; COMPUTE_PGM_RSRC2:TGID_Y_EN: 1
; COMPUTE_PGM_RSRC2:TGID_Z_EN: 1
; COMPUTE_PGM_RSRC2:TIDIG_COMP_CNT: 1
	.section	.text._ZL13mul_mat_vec_qIL9ggml_type12ELi4ELb0ELb0EEvPKvS2_PKi31ggml_cuda_mm_fusion_args_devicePfj15HIP_vector_typeIjLj3EEjjjS8_jjjS8_jjjj,"axG",@progbits,_ZL13mul_mat_vec_qIL9ggml_type12ELi4ELb0ELb0EEvPKvS2_PKi31ggml_cuda_mm_fusion_args_devicePfj15HIP_vector_typeIjLj3EEjjjS8_jjjS8_jjjj,comdat
	.globl	_ZL13mul_mat_vec_qIL9ggml_type12ELi4ELb0ELb0EEvPKvS2_PKi31ggml_cuda_mm_fusion_args_devicePfj15HIP_vector_typeIjLj3EEjjjS8_jjjS8_jjjj ; -- Begin function _ZL13mul_mat_vec_qIL9ggml_type12ELi4ELb0ELb0EEvPKvS2_PKi31ggml_cuda_mm_fusion_args_devicePfj15HIP_vector_typeIjLj3EEjjjS8_jjjS8_jjjj
	.p2align	8
	.type	_ZL13mul_mat_vec_qIL9ggml_type12ELi4ELb0ELb0EEvPKvS2_PKi31ggml_cuda_mm_fusion_args_devicePfj15HIP_vector_typeIjLj3EEjjjS8_jjjS8_jjjj,@function
_ZL13mul_mat_vec_qIL9ggml_type12ELi4ELb0ELb0EEvPKvS2_PKi31ggml_cuda_mm_fusion_args_devicePfj15HIP_vector_typeIjLj3EEjjjS8_jjjS8_jjjj: ; @_ZL13mul_mat_vec_qIL9ggml_type12ELi4ELb0ELb0EEvPKvS2_PKi31ggml_cuda_mm_fusion_args_devicePfj15HIP_vector_typeIjLj3EEjjjS8_jjjS8_jjjj
; %bb.0:
	s_load_dword s9, s[4:5], 0x40
	s_load_dwordx4 s[12:15], s[4:5], 0x50
	s_load_dword s25, s[4:5], 0x60
	s_load_dwordx4 s[0:3], s[4:5], 0x68
	;; [unrolled: 2-line block ×3, first 2 shown]
	v_lshl_add_u32 v2, v1, 6, v0
	s_waitcnt lgkmcnt(0)
	s_lshr_b32 s9, s9, 8
	v_lshrrev_b32_e32 v21, 4, v2
	v_mov_b32_e32 v20, 0
	s_lshl_b32 s6, s6, 1
	v_cmp_gt_u32_e32 vcc, s9, v21
	v_mov_b32_e32 v19, 0
	v_mov_b32_e32 v18, 0
	;; [unrolled: 1-line block ×7, first 2 shown]
	s_and_saveexec_b64 s[10:11], vcc
	s_cbranch_execz .LBB127_32
; %bb.1:
	s_mul_hi_u32 s15, s15, s7
	s_add_i32 s15, s7, s15
	s_load_dwordx4 s[20:23], s[4:5], 0x0
	s_lshr_b32 s15, s15, s25
	s_mul_i32 s15, s15, s0
	s_mul_hi_u32 s0, s3, s8
	s_add_i32 s0, s8, s0
	s_lshr_b32 s0, s0, s24
	s_mul_i32 s3, s17, s8
	s_mul_i32 s0, s0, s16
	s_mul_hi_u32 s16, s3, 36
	s_mul_i32 s3, s3, 36
	s_waitcnt lgkmcnt(0)
	s_add_u32 s3, s22, s3
	s_mul_i32 s1, s1, s7
	s_addc_u32 s17, s23, s16
	s_mul_hi_u32 s19, s1, 36
	s_mul_i32 s1, s1, 36
	s_add_u32 s16, s3, s1
	s_addc_u32 s17, s17, s19
	s_add_i32 s19, s6, 1
	v_bfe_u32 v4, v0, 2, 2
	s_mul_i32 s3, s6, s12
	s_mul_i32 s12, s12, s19
	v_mul_hi_u32_u24_e32 v5, 0x48, v4
	v_mul_u32_u24_e32 v4, 0x48, v4
	s_movk_i32 s19, 0x120
	v_mad_u64_u32 v[4:5], s[22:23], v21, s19, v[4:5]
	v_lshlrev_b32_e32 v2, 1, v0
	v_bfe_u32 v9, v2, 3, 2
	v_and_b32_e32 v3, 30, v2
	v_lshlrev_b32_e32 v2, 1, v9
	v_mov_b32_e32 v6, s17
	v_add_co_u32_e32 v4, vcc, s16, v4
	v_lshlrev_b32_e32 v8, 3, v21
	s_add_i32 s15, s0, s15
	v_cmp_lt_u32_e64 s[0:1], 15, v3
	v_mad_u64_u32 v[2:3], s[22:23], v2, 36, s[16:17]
	v_addc_co_u32_e32 v5, vcc, v6, v5, vcc
	v_mad_u64_u32 v[6:7], s[16:17], s13, 3, v[8:9]
	v_mov_b32_e32 v13, 0
	v_and_b32_e32 v23, 3, v0
	v_add_co_u32_e32 v4, vcc, 36, v4
	v_lshlrev_b32_e32 v22, 5, v9
	v_lshlrev_b32_e32 v24, 2, v23
	s_add_i32 s3, s15, s3
	s_add_i32 s15, s15, s12
	v_addc_co_u32_e32 v5, vcc, 0, v5, vcc
	v_lshl_add_u32 v25, s13, 1, v8
	v_add_u32_e32 v26, s13, v8
	s_mov_b64 s[12:13], 0
	s_movk_i32 s19, 0x90
	s_mov_b32 s22, 0x1010101
	s_mov_b32 s23, 0xffff
	v_lshlrev_b32_e32 v27, 1, v9
	v_mov_b32_e32 v14, v13
	v_mov_b32_e32 v15, v13
	;; [unrolled: 1-line block ×7, first 2 shown]
	s_branch .LBB127_3
.LBB127_2:                              ;   in Loop: Header=BB127_3 Depth=1
	s_andn2_saveexec_b64 s[16:17], s[16:17]
	s_or_b64 exec, exec, s[16:17]
	s_waitcnt vmcnt(23)
	v_and_b32_e32 v9, 0xf0f0f0f, v40
	s_waitcnt vmcnt(4)
	v_dot4_i32_i8 v7, s22, v58, 0
	v_and_b32_e32 v10, 0xf0f0f0f, v39
	v_lshrrev_b32_e32 v40, 4, v40
	v_dot4_i32_i8 v73, v9, v58, 0
	s_waitcnt vmcnt(3)
	v_dot4_i32_i8 v7, s22, v59, v7
	s_waitcnt vmcnt(2)
	v_dot4_i32_i8 v8, s22, v56, 0
	v_and_b32_e32 v40, 0xf0f0f0f, v40
	v_lshrrev_b32_e32 v39, 4, v39
	v_lshrrev_b16_e32 v71, 8, v67
	v_lshrrev_b16_e32 v72, 8, v66
	v_dot4_i32_i8 v73, v10, v59, v73
	v_and_b32_sdwa v66, s23, v66 dst_sel:DWORD dst_unused:UNUSED_PAD src0_sel:DWORD src1_sel:BYTE_0
	v_and_b32_sdwa v67, s23, v67 dst_sel:DWORD dst_unused:UNUSED_PAD src0_sel:DWORD src1_sel:BYTE_0
	s_waitcnt vmcnt(1)
	v_dot4_i32_i8 v8, s22, v57, v8
	v_and_b32_e32 v39, 0xf0f0f0f, v39
	v_mul_lo_u32 v66, v73, v66
	v_mul_lo_u32 v67, v7, v67
	v_dot4_i32_i8 v73, v40, v56, 0
	v_dot4_i32_i8 v73, v39, v57, v73
	v_mul_lo_u32 v71, v8, v71
	v_mul_lo_u32 v72, v73, v72
	v_cvt_f32_i32_e32 v67, v67
	v_cvt_f32_i32_e32 v66, v66
	v_cvt_f32_i32_e32 v71, v71
	v_cvt_f32_f16_sdwa v70, v36 dst_sel:DWORD dst_unused:UNUSED_PAD src0_sel:WORD_1
	v_cvt_f32_i32_e32 v72, v72
	v_fma_mix_f32 v67, v52, v67, 0 op_sel_hi:[1,0,0]
	v_fma_mix_f32 v66, v52, v66, 0 op_sel_hi:[1,0,0]
	s_waitcnt vmcnt(0)
	v_fma_mix_f32 v67, v55, v71, v67 op_sel_hi:[1,0,0]
	v_fma_mix_f32 v66, v55, v72, v66 op_sel_hi:[1,0,0]
	v_mul_f32_e32 v67, v67, v70
	v_fma_mix_f32 v66, v66, v36, -v67 op_sel_hi:[0,1,0]
	v_and_b32_e32 v71, 0xf0f0f0f, v51
	v_add_f32_e32 v14, v14, v66
	v_dot4_i32_i8 v66, s22, v64, 0
	v_and_b32_e32 v72, 0xf0f0f0f, v49
	v_lshrrev_b32_e32 v51, 4, v51
	v_dot4_i32_i8 v78, v71, v64, 0
	v_dot4_i32_i8 v66, s22, v65, v66
	;; [unrolled: 1-line block ×3, first 2 shown]
	v_and_b32_e32 v51, 0xf0f0f0f, v51
	v_lshrrev_b32_e32 v49, 4, v49
	v_lshrrev_b16_e32 v74, 8, v76
	v_lshrrev_b16_e32 v75, 8, v77
	v_dot4_i32_i8 v78, v72, v65, v78
	v_and_b32_sdwa v77, s23, v77 dst_sel:DWORD dst_unused:UNUSED_PAD src0_sel:DWORD src1_sel:BYTE_0
	v_and_b32_sdwa v76, s23, v76 dst_sel:DWORD dst_unused:UNUSED_PAD src0_sel:DWORD src1_sel:BYTE_0
	v_dot4_i32_i8 v67, s22, v63, v67
	v_and_b32_e32 v49, 0xf0f0f0f, v49
	v_mul_lo_u32 v77, v78, v77
	v_mul_lo_u32 v76, v66, v76
	v_dot4_i32_i8 v78, v51, v62, 0
	v_dot4_i32_i8 v78, v49, v63, v78
	v_mul_lo_u32 v74, v67, v74
	v_mul_lo_u32 v75, v78, v75
	v_cvt_f32_i32_e32 v76, v76
	v_cvt_f32_i32_e32 v77, v77
	v_cvt_f32_i32_e32 v74, v74
	v_cvt_f32_f16_sdwa v73, v11 dst_sel:DWORD dst_unused:UNUSED_PAD src0_sel:WORD_1
	v_cvt_f32_i32_e32 v75, v75
	v_fma_mix_f32 v76, v60, v76, 0 op_sel_hi:[1,0,0]
	v_fma_mix_f32 v77, v60, v77, 0 op_sel_hi:[1,0,0]
	;; [unrolled: 1-line block ×3, first 2 shown]
	v_dot4_i32_i8 v64, v9, v64, 0
	v_fma_mix_f32 v75, v61, v75, v77 op_sel_hi:[1,0,0]
	v_mul_f32_e32 v74, v74, v73
	v_dot4_i32_i8 v64, v10, v65, v64
	v_and_b32_sdwa v65, s23, v69 dst_sel:DWORD dst_unused:UNUSED_PAD src0_sel:DWORD src1_sel:BYTE_0
	v_fma_mix_f32 v74, v75, v11, -v74 op_sel_hi:[0,1,0]
	v_mul_lo_u32 v64, v64, v65
	v_and_b32_sdwa v65, s23, v68 dst_sel:DWORD dst_unused:UNUSED_PAD src0_sel:DWORD src1_sel:BYTE_0
	v_add_f32_e32 v15, v15, v74
	v_lshrrev_b16_e32 v74, 8, v68
	v_mul_lo_u32 v65, v66, v65
	v_dot4_i32_i8 v62, v40, v62, 0
	v_lshrrev_b16_e32 v75, 8, v69
	v_dot4_i32_i8 v62, v39, v63, v62
	v_mul_lo_u32 v63, v67, v74
	v_mul_lo_u32 v62, v62, v75
	v_cvt_f32_i32_e32 v64, v64
	v_cvt_f32_i32_e32 v65, v65
	;; [unrolled: 1-line block ×4, first 2 shown]
	v_fma_mix_f32 v64, v60, v64, 0 op_sel_hi:[1,0,0]
	v_fma_mix_f32 v60, v60, v65, 0 op_sel_hi:[1,0,0]
	;; [unrolled: 1-line block ×4, first 2 shown]
	v_mul_f32_e32 v60, v60, v70
	v_fma_mix_f32 v60, v62, v36, -v60 op_sel_hi:[0,1,0]
	v_add_f32_e32 v16, v16, v60
	v_dot4_i32_i8 v60, s22, v46, 0
	v_dot4_i32_i8 v64, v71, v46, 0
	;; [unrolled: 1-line block ×4, first 2 shown]
	v_lshrrev_b16_e32 v62, 8, v53
	v_lshrrev_b16_e32 v63, 8, v54
	v_dot4_i32_i8 v64, v72, v47, v64
	v_and_b32_sdwa v54, s23, v54 dst_sel:DWORD dst_unused:UNUSED_PAD src0_sel:DWORD src1_sel:BYTE_0
	v_and_b32_sdwa v53, s23, v53 dst_sel:DWORD dst_unused:UNUSED_PAD src0_sel:DWORD src1_sel:BYTE_0
	v_dot4_i32_i8 v61, s22, v44, v61
	v_mul_lo_u32 v54, v64, v54
	v_mul_lo_u32 v53, v60, v53
	v_dot4_i32_i8 v64, v51, v43, 0
	v_dot4_i32_i8 v64, v49, v44, v64
	v_mul_lo_u32 v62, v61, v62
	v_mul_lo_u32 v63, v64, v63
	v_cvt_f32_i32_e32 v53, v53
	v_cvt_f32_i32_e32 v54, v54
	;; [unrolled: 1-line block ×4, first 2 shown]
	v_fma_mix_f32 v53, v12, v53, 0 op_sel_hi:[1,0,0]
	v_fma_mix_f32 v54, v12, v54, 0 op_sel_hi:[1,0,0]
	;; [unrolled: 1-line block ×3, first 2 shown]
	v_dot4_i32_i8 v46, v9, v46, 0
	v_fma_mix_f32 v54, v42, v63, v54 op_sel_hi:[1,0,0]
	v_mul_f32_e32 v53, v53, v73
	v_dot4_i32_i8 v46, v10, v47, v46
	v_and_b32_sdwa v47, s23, v50 dst_sel:DWORD dst_unused:UNUSED_PAD src0_sel:DWORD src1_sel:BYTE_0
	v_fma_mix_f32 v53, v54, v11, -v53 op_sel_hi:[0,1,0]
	v_mul_lo_u32 v46, v46, v47
	v_and_b32_sdwa v47, s23, v48 dst_sel:DWORD dst_unused:UNUSED_PAD src0_sel:DWORD src1_sel:BYTE_0
	v_add_f32_e32 v17, v17, v53
	v_lshrrev_b16_e32 v53, 8, v48
	v_mul_lo_u32 v47, v60, v47
	v_dot4_i32_i8 v43, v40, v43, 0
	v_lshrrev_b16_e32 v54, 8, v50
	v_dot4_i32_i8 v43, v39, v44, v43
	v_mul_lo_u32 v44, v61, v53
	v_mul_lo_u32 v43, v43, v54
	v_cvt_f32_i32_e32 v46, v46
	v_cvt_f32_i32_e32 v47, v47
	;; [unrolled: 1-line block ×4, first 2 shown]
	v_fma_mix_f32 v46, v12, v46, 0 op_sel_hi:[1,0,0]
	v_fma_mix_f32 v12, v12, v47, 0 op_sel_hi:[1,0,0]
	;; [unrolled: 1-line block ×4, first 2 shown]
	v_mul_f32_e32 v12, v12, v70
	v_fma_mix_f32 v12, v43, v36, -v12 op_sel_hi:[0,1,0]
	v_add_f32_e32 v18, v18, v12
	v_dot4_i32_i8 v12, s22, v32, 0
	v_dot4_i32_i8 v46, v71, v32, 0
	;; [unrolled: 1-line block ×4, first 2 shown]
	v_lshrrev_b16_e32 v43, 8, v37
	v_lshrrev_b16_e32 v44, 8, v38
	v_dot4_i32_i8 v46, v72, v33, v46
	v_and_b32_sdwa v38, s23, v38 dst_sel:DWORD dst_unused:UNUSED_PAD src0_sel:DWORD src1_sel:BYTE_0
	v_and_b32_sdwa v37, s23, v37 dst_sel:DWORD dst_unused:UNUSED_PAD src0_sel:DWORD src1_sel:BYTE_0
	v_dot4_i32_i8 v42, s22, v31, v42
	v_mul_lo_u32 v38, v46, v38
	v_mul_lo_u32 v37, v12, v37
	v_dot4_i32_i8 v46, v51, v30, 0
	v_dot4_i32_i8 v46, v49, v31, v46
	v_mul_lo_u32 v43, v42, v43
	v_mul_lo_u32 v44, v46, v44
	v_cvt_f32_i32_e32 v37, v37
	v_cvt_f32_i32_e32 v38, v38
	;; [unrolled: 1-line block ×4, first 2 shown]
	v_fma_mix_f32 v37, v28, v37, 0 op_sel_hi:[1,0,0]
	v_fma_mix_f32 v38, v28, v38, 0 op_sel_hi:[1,0,0]
	;; [unrolled: 1-line block ×3, first 2 shown]
	v_dot4_i32_i8 v9, v9, v32, 0
	v_fma_mix_f32 v38, v29, v44, v38 op_sel_hi:[1,0,0]
	v_mul_f32_e32 v37, v37, v73
	v_dot4_i32_i8 v9, v10, v33, v9
	v_and_b32_sdwa v10, s23, v34 dst_sel:DWORD dst_unused:UNUSED_PAD src0_sel:DWORD src1_sel:BYTE_0
	v_fma_mix_f32 v37, v38, v11, -v37 op_sel_hi:[0,1,0]
	v_mul_lo_u32 v9, v9, v10
	v_and_b32_sdwa v10, s23, v35 dst_sel:DWORD dst_unused:UNUSED_PAD src0_sel:DWORD src1_sel:BYTE_0
	v_add_f32_e32 v19, v19, v37
	v_lshrrev_b16_e32 v37, 8, v35
	v_mul_lo_u32 v10, v12, v10
	v_dot4_i32_i8 v12, v40, v30, 0
	v_lshrrev_b16_e32 v38, 8, v34
	v_dot4_i32_i8 v12, v39, v31, v12
	v_mul_lo_u32 v30, v42, v37
	v_mul_lo_u32 v12, v12, v38
	v_cvt_f32_i32_e32 v10, v10
	v_cvt_f32_i32_e32 v9, v9
	;; [unrolled: 1-line block ×4, first 2 shown]
	v_fma_mix_f32 v10, v28, v10, 0 op_sel_hi:[1,0,0]
	v_fma_mix_f32 v9, v28, v9, 0 op_sel_hi:[1,0,0]
	;; [unrolled: 1-line block ×4, first 2 shown]
	v_mul_f32_e32 v10, v10, v70
	v_fma_mix_f32 v9, v9, v36, -v10 op_sel_hi:[0,1,0]
	v_dot4_i32_i8 v10, v71, v58, 0
	v_and_b32_sdwa v12, s23, v45 dst_sel:DWORD dst_unused:UNUSED_PAD src0_sel:DWORD src1_sel:BYTE_0
	v_add_f32_e32 v20, v20, v9
	v_lshrrev_b16_e32 v9, 8, v45
	v_dot4_i32_i8 v10, v72, v59, v10
	v_mul_lo_u32 v7, v7, v12
	v_dot4_i32_i8 v12, v51, v56, 0
	v_and_b32_sdwa v29, s23, v41 dst_sel:DWORD dst_unused:UNUSED_PAD src0_sel:DWORD src1_sel:BYTE_0
	v_dot4_i32_i8 v12, v49, v57, v12
	v_lshrrev_b16_e32 v28, 8, v41
	v_mul_lo_u32 v10, v10, v29
	v_mul_lo_u32 v8, v8, v9
	;; [unrolled: 1-line block ×3, first 2 shown]
	v_cvt_f32_i32_e32 v7, v7
	v_cvt_f32_i32_e32 v9, v10
	;; [unrolled: 1-line block ×4, first 2 shown]
	v_fma_mix_f32 v7, v52, v7, 0 op_sel_hi:[1,0,0]
	v_fma_mix_f32 v9, v52, v9, 0 op_sel_hi:[1,0,0]
	;; [unrolled: 1-line block ×3, first 2 shown]
	v_add_co_u32_e32 v4, vcc, 0x900, v4
	v_fma_mix_f32 v9, v55, v10, v9 op_sel_hi:[1,0,0]
	v_mul_f32_e32 v7, v7, v73
	v_add_u32_e32 v21, 8, v21
	v_addc_co_u32_e32 v5, vcc, 0, v5, vcc
	v_fma_mix_f32 v7, v9, v11, -v7 op_sel_hi:[0,1,0]
	v_cmp_le_u32_e32 vcc, s9, v21
	v_add_f32_e32 v13, v13, v7
	v_add_u32_e32 v25, 64, v25
	v_add_u32_e32 v6, 64, v6
	s_or_b64 s[12:13], vcc, s[12:13]
	v_add_u32_e32 v26, 64, v26
	s_andn2_b64 exec, exec, s[12:13]
	s_cbranch_execz .LBB127_31
.LBB127_3:                              ; =>This Inner Loop Header: Depth=1
	v_mov_b32_e32 v9, s20
	v_add_u32_e32 v11, s3, v21
	v_mov_b32_e32 v10, s21
	v_mad_i64_i32 v[9:10], s[16:17], v11, s19, v[9:10]
	v_add_co_u32_e32 v7, vcc, v4, v24
	v_addc_co_u32_e32 v8, vcc, 0, v5, vcc
	global_load_dword v28, v[4:5], off offset:-36
	global_load_dword v29, v[4:5], off
	global_load_dword v32, v[7:8], off offset:-32
	global_load_dword v33, v[7:8], off offset:-16
	global_load_dword v30, v[7:8], off offset:4
	global_load_dword v31, v[7:8], off offset:20
	v_add_co_u32_e32 v7, vcc, v9, v22
	v_addc_co_u32_e32 v8, vcc, 0, v10, vcc
	v_add_co_u32_e32 v7, vcc, v7, v24
	v_addc_co_u32_e32 v8, vcc, 0, v8, vcc
	global_load_dword v40, v[7:8], off offset:16
	global_load_dword v39, v[7:8], off offset:32
	v_add_co_u32_e32 v7, vcc, v9, v27
	v_addc_co_u32_e32 v8, vcc, 0, v10, vcc
                                        ; implicit-def: $vgpr34
                                        ; implicit-def: $vgpr35
                                        ; implicit-def: $vgpr52
                                        ; implicit-def: $vgpr55
	s_and_saveexec_b64 s[16:17], s[0:1]
	s_xor_b64 s[16:17], exec, s[16:17]
	s_cbranch_execz .LBB127_5
; %bb.4:                                ;   in Loop: Header=BB127_3 Depth=1
	global_load_ushort v12, v[7:8], off
	global_load_ushort v52, v[7:8], off offset:8
	global_load_ushort v55, v[7:8], off offset:4
	s_waitcnt vmcnt(2)
	v_lshrrev_b16_e32 v12, 2, v12
	s_waitcnt vmcnt(1)
	v_and_b32_e32 v11, 0xf0f, v52
	v_and_b32_e32 v12, 0x3030, v12
	v_or_b32_e32 v34, v12, v11
	v_lshrrev_b16_e32 v11, 4, v52
	s_waitcnt vmcnt(0)
	v_lshrrev_b16_e32 v12, 2, v55
	v_and_b32_e32 v11, 0xf0f, v11
	v_and_b32_e32 v12, 0x3030, v12
	v_or_b32_e32 v35, v12, v11
.LBB127_5:                              ;   in Loop: Header=BB127_3 Depth=1
	s_andn2_saveexec_b64 s[16:17], s[16:17]
	s_cbranch_execz .LBB127_7
; %bb.6:                                ;   in Loop: Header=BB127_3 Depth=1
	global_load_ushort v55, v[7:8], off offset:4
	global_load_ushort v52, v[7:8], off offset:8
	s_waitcnt vmcnt(1)
	v_and_b32_e32 v34, 0x3f3f, v55
	s_waitcnt vmcnt(0)
	v_and_b32_e32 v35, 0x3f3f, v52
.LBB127_7:                              ;   in Loop: Header=BB127_3 Depth=1
	s_or_b64 exec, exec, s[16:17]
	v_mov_b32_e32 v11, s20
	v_add_u32_e32 v36, s15, v21
	v_mov_b32_e32 v12, s21
	v_mad_i64_i32 v[11:12], s[16:17], v36, s19, v[11:12]
                                        ; implicit-def: $vgpr56
                                        ; implicit-def: $vgpr57
	v_add_co_u32_e32 v36, vcc, v11, v22
	v_addc_co_u32_e32 v38, vcc, 0, v12, vcc
	v_add_co_u32_e32 v37, vcc, v36, v24
	v_addc_co_u32_e32 v38, vcc, 0, v38, vcc
	global_load_dword v36, v[9:10], off
	global_load_dword v51, v[37:38], off offset:16
	global_load_dword v49, v[37:38], off offset:32
	v_add_co_u32_e32 v9, vcc, v11, v27
	v_addc_co_u32_e32 v10, vcc, 0, v12, vcc
                                        ; implicit-def: $vgpr38
                                        ; implicit-def: $vgpr37
	s_and_saveexec_b64 s[16:17], s[0:1]
	s_xor_b64 s[16:17], exec, s[16:17]
	s_cbranch_execz .LBB127_9
; %bb.8:                                ;   in Loop: Header=BB127_3 Depth=1
	global_load_ushort v56, v[9:10], off offset:8
	global_load_ushort v37, v[9:10], off
	global_load_ushort v57, v[9:10], off offset:4
	s_waitcnt vmcnt(2)
	v_lshrrev_b16_e32 v41, 4, v56
	s_waitcnt vmcnt(1)
	v_lshrrev_b16_e32 v37, 2, v37
	;; [unrolled: 2-line block ×3, first 2 shown]
	v_and_b32_e32 v38, 0xf0f, v56
	v_and_b32_e32 v37, 0x3030, v37
	;; [unrolled: 1-line block ×4, first 2 shown]
	v_or_b32_e32 v38, v37, v38
	v_or_b32_e32 v37, v42, v41
.LBB127_9:                              ;   in Loop: Header=BB127_3 Depth=1
	s_andn2_saveexec_b64 s[16:17], s[16:17]
	s_cbranch_execz .LBB127_11
; %bb.10:                               ;   in Loop: Header=BB127_3 Depth=1
	global_load_ushort v57, v[9:10], off offset:4
	global_load_ushort v56, v[9:10], off offset:8
	s_waitcnt vmcnt(1)
	v_and_b32_e32 v38, 0x3f3f, v57
	s_waitcnt vmcnt(0)
	v_and_b32_e32 v37, 0x3f3f, v56
.LBB127_11:                             ;   in Loop: Header=BB127_3 Depth=1
	s_or_b64 exec, exec, s[16:17]
	v_mad_u64_u32 v[53:54], s[16:17], v26, 36, v[2:3]
	v_lshlrev_b32_e32 v58, 2, v23
	global_load_dword v11, v[11:12], off
	v_add_co_u32_e32 v59, vcc, v53, v58
	v_addc_co_u32_e32 v60, vcc, 0, v54, vcc
	global_load_dword v12, v[53:54], off
	global_load_dword v46, v[59:60], off offset:4
	global_load_dword v47, v[59:60], off offset:20
	;; [unrolled: 1-line block ×5, first 2 shown]
	v_lshrrev_b16_e32 v41, 4, v52
	v_lshrrev_b16_e32 v45, 2, v55
	v_and_b32_e32 v70, 0xf0f, v52
	v_and_b32_e32 v71, 0xf0f, v41
	;; [unrolled: 1-line block ×3, first 2 shown]
                                        ; implicit-def: $vgpr50
                                        ; implicit-def: $vgpr48
	s_and_saveexec_b64 s[16:17], s[0:1]
	s_xor_b64 s[16:17], exec, s[16:17]
	s_cbranch_execz .LBB127_13
; %bb.12:                               ;   in Loop: Header=BB127_3 Depth=1
	global_load_ushort v41, v[7:8], off
	v_or_b32_e32 v48, v72, v71
	s_waitcnt vmcnt(0)
	v_lshrrev_b16_e32 v41, 2, v41
	v_and_b32_e32 v41, 0x3030, v41
	v_or_b32_e32 v50, v41, v70
.LBB127_13:                             ;   in Loop: Header=BB127_3 Depth=1
	s_or_saveexec_b64 s[16:17], s[16:17]
	v_and_b32_e32 v66, 0x3f3f, v55
	v_and_b32_e32 v67, 0x3f3f, v52
	s_xor_b64 exec, exec, s[16:17]
; %bb.14:                               ;   in Loop: Header=BB127_3 Depth=1
	v_and_b32_e32 v50, 0x3f3f, v55
	v_and_b32_e32 v48, 0x3f3f, v52
; %bb.15:                               ;   in Loop: Header=BB127_3 Depth=1
	s_or_b64 exec, exec, s[16:17]
	v_lshrrev_b16_e32 v41, 4, v56
	v_lshrrev_b16_e32 v45, 2, v57
	v_and_b32_e32 v73, 0xf0f, v56
	v_and_b32_e32 v74, 0xf0f, v41
	;; [unrolled: 1-line block ×3, first 2 shown]
                                        ; implicit-def: $vgpr54
                                        ; implicit-def: $vgpr53
	s_and_saveexec_b64 s[16:17], s[0:1]
	s_xor_b64 s[16:17], exec, s[16:17]
	s_cbranch_execz .LBB127_17
; %bb.16:                               ;   in Loop: Header=BB127_3 Depth=1
	global_load_ushort v41, v[9:10], off
	v_or_b32_e32 v53, v75, v74
	s_waitcnt vmcnt(0)
	v_lshrrev_b16_e32 v41, 2, v41
	v_and_b32_e32 v41, 0x3030, v41
	v_or_b32_e32 v54, v41, v73
.LBB127_17:                             ;   in Loop: Header=BB127_3 Depth=1
	s_or_saveexec_b64 s[16:17], s[16:17]
	v_and_b32_e32 v41, 0x3f3f, v57
	v_and_b32_e32 v45, 0x3f3f, v56
	s_xor_b64 exec, exec, s[16:17]
; %bb.18:                               ;   in Loop: Header=BB127_3 Depth=1
	v_and_b32_e32 v54, 0x3f3f, v57
	v_and_b32_e32 v53, 0x3f3f, v56
; %bb.19:                               ;   in Loop: Header=BB127_3 Depth=1
	s_or_b64 exec, exec, s[16:17]
	v_mad_u64_u32 v[68:69], s[16:17], v25, 36, v[2:3]
	v_add_co_u32_e32 v76, vcc, v68, v58
	v_addc_co_u32_e32 v77, vcc, 0, v69, vcc
	global_load_dword v60, v[68:69], off
	global_load_dword v64, v[76:77], off offset:4
	global_load_dword v65, v[76:77], off offset:20
	;; [unrolled: 1-line block ×5, first 2 shown]
                                        ; implicit-def: $vgpr69
                                        ; implicit-def: $vgpr68
	s_and_saveexec_b64 s[16:17], s[0:1]
	s_xor_b64 s[16:17], exec, s[16:17]
	s_cbranch_execz .LBB127_21
; %bb.20:                               ;   in Loop: Header=BB127_3 Depth=1
	global_load_ushort v52, v[7:8], off
	v_or_b32_e32 v68, v72, v71
                                        ; implicit-def: $vgpr55
	s_waitcnt vmcnt(0)
	v_lshrrev_b16_e32 v52, 2, v52
	v_and_b32_e32 v52, 0x3030, v52
	v_or_b32_e32 v69, v52, v70
                                        ; implicit-def: $vgpr52
	s_andn2_saveexec_b64 s[16:17], s[16:17]
	s_branch .LBB127_22
.LBB127_21:                             ;   in Loop: Header=BB127_3 Depth=1
	s_andn2_saveexec_b64 s[16:17], s[16:17]
.LBB127_22:                             ;   in Loop: Header=BB127_3 Depth=1
	v_and_b32_e32 v69, 0x3f3f, v55
	v_and_b32_e32 v68, 0x3f3f, v52
; %bb.23:                               ;   in Loop: Header=BB127_3 Depth=1
	s_or_b64 exec, exec, s[16:17]
                                        ; implicit-def: $vgpr77
                                        ; implicit-def: $vgpr76
	s_and_saveexec_b64 s[16:17], s[0:1]
	s_xor_b64 s[16:17], exec, s[16:17]
	s_cbranch_execz .LBB127_25
; %bb.24:                               ;   in Loop: Header=BB127_3 Depth=1
	global_load_ushort v52, v[9:10], off
	v_or_b32_e32 v76, v75, v74
                                        ; implicit-def: $vgpr57
                                        ; implicit-def: $vgpr56
	s_waitcnt vmcnt(0)
	v_lshrrev_b16_e32 v52, 2, v52
	v_and_b32_e32 v52, 0x3030, v52
	v_or_b32_e32 v77, v52, v73
	s_andn2_saveexec_b64 s[16:17], s[16:17]
	s_cbranch_execnz .LBB127_26
	s_branch .LBB127_27
.LBB127_25:                             ;   in Loop: Header=BB127_3 Depth=1
	s_andn2_saveexec_b64 s[16:17], s[16:17]
.LBB127_26:                             ;   in Loop: Header=BB127_3 Depth=1
	v_and_b32_e32 v77, 0x3f3f, v57
	v_and_b32_e32 v76, 0x3f3f, v56
.LBB127_27:                             ;   in Loop: Header=BB127_3 Depth=1
	s_or_b64 exec, exec, s[16:17]
	v_mad_u64_u32 v[78:79], s[16:17], v6, 36, v[2:3]
	v_add_co_u32_e32 v80, vcc, v78, v58
	v_addc_co_u32_e32 v81, vcc, 0, v79, vcc
	global_load_dword v52, v[78:79], off
	global_load_dword v58, v[80:81], off offset:4
	global_load_dword v59, v[80:81], off offset:20
	;; [unrolled: 1-line block ×5, first 2 shown]
	s_and_saveexec_b64 s[16:17], s[0:1]
	s_xor_b64 s[16:17], exec, s[16:17]
	s_cbranch_execz .LBB127_29
; %bb.28:                               ;   in Loop: Header=BB127_3 Depth=1
	global_load_ushort v7, v[7:8], off
	v_or_b32_e32 v67, v72, v71
	s_waitcnt vmcnt(0)
	v_lshrrev_b16_e32 v7, 2, v7
	v_and_b32_e32 v7, 0x3030, v7
	v_or_b32_e32 v66, v7, v70
.LBB127_29:                             ;   in Loop: Header=BB127_3 Depth=1
	s_andn2_saveexec_b64 s[16:17], s[16:17]
	s_or_b64 exec, exec, s[16:17]
	s_and_saveexec_b64 s[16:17], s[0:1]
	s_xor_b64 s[16:17], exec, s[16:17]
	s_cbranch_execz .LBB127_2
; %bb.30:                               ;   in Loop: Header=BB127_3 Depth=1
	global_load_ushort v7, v[9:10], off
	v_or_b32_e32 v45, v75, v74
	s_waitcnt vmcnt(0)
	v_lshrrev_b16_e32 v7, 2, v7
	v_and_b32_e32 v7, 0x3030, v7
	v_or_b32_e32 v41, v7, v73
	s_branch .LBB127_2
.LBB127_31:
	s_or_b64 exec, exec, s[12:13]
.LBB127_32:
	s_or_b64 exec, exec, s[10:11]
	v_cmp_eq_u32_e32 vcc, 0, v1
	v_cmp_ne_u32_e64 s[0:1], 0, v1
	v_lshlrev_b32_e32 v2, 2, v0
	s_and_saveexec_b64 s[10:11], s[0:1]
	s_cbranch_execz .LBB127_34
; %bb.33:
	v_lshl_or_b32 v1, v1, 11, v2
	v_add_u32_e32 v1, 0xfffff800, v1
	ds_write2st64_b32 v1, v20, v19 offset1:1
	ds_write2st64_b32 v1, v18, v17 offset0:2 offset1:3
	ds_write2st64_b32 v1, v16, v15 offset0:4 offset1:5
	;; [unrolled: 1-line block ×3, first 2 shown]
.LBB127_34:
	s_or_b64 exec, exec, s[10:11]
	s_waitcnt lgkmcnt(0)
	s_barrier
	s_and_saveexec_b64 s[0:1], vcc
	s_cbranch_execz .LBB127_43
; %bb.35:
	v_mbcnt_lo_u32_b32 v1, -1, 0
	v_mbcnt_hi_u32_b32 v7, -1, v1
	ds_read2st64_b32 v[5:6], v2 offset1:1
	v_and_b32_e32 v1, 64, v7
	v_add_u32_e32 v8, 64, v1
	v_xor_b32_e32 v1, 32, v7
	v_cmp_lt_i32_e32 vcc, v1, v8
	v_cndmask_b32_e32 v1, v7, v1, vcc
	v_lshlrev_b32_e32 v1, 2, v1
	s_waitcnt lgkmcnt(0)
	v_add_f32_e32 v10, v5, v20
	v_add_f32_e32 v6, v6, v19
	ds_bpermute_b32 v11, v1, v10
	ds_bpermute_b32 v12, v1, v6
	v_xor_b32_e32 v3, 16, v7
	v_cmp_lt_i32_e32 vcc, v3, v8
	v_cndmask_b32_e32 v3, v7, v3, vcc
	v_lshlrev_b32_e32 v3, 2, v3
	s_waitcnt lgkmcnt(1)
	v_add_f32_e32 v10, v10, v11
	s_waitcnt lgkmcnt(0)
	v_add_f32_e32 v6, v6, v12
	ds_bpermute_b32 v11, v3, v10
	ds_bpermute_b32 v12, v3, v6
	v_xor_b32_e32 v4, 8, v7
	v_cmp_lt_i32_e32 vcc, v4, v8
	v_cndmask_b32_e32 v4, v7, v4, vcc
	v_lshlrev_b32_e32 v4, 2, v4
	s_waitcnt lgkmcnt(1)
	v_add_f32_e32 v10, v10, v11
	s_waitcnt lgkmcnt(0)
	;; [unrolled: 10-line block ×3, first 2 shown]
	v_add_f32_e32 v12, v12, v19
	ds_bpermute_b32 v11, v5, v10
	ds_bpermute_b32 v19, v5, v12
	v_xor_b32_e32 v9, 2, v7
	v_cmp_lt_i32_e32 vcc, v9, v8
	v_cndmask_b32_e32 v9, v7, v9, vcc
	v_lshlrev_b32_e32 v6, 2, v9
	v_xor_b32_e32 v9, 1, v7
	v_cmp_lt_i32_e32 vcc, v9, v8
	s_waitcnt lgkmcnt(1)
	v_add_f32_e32 v8, v10, v11
	s_waitcnt lgkmcnt(0)
	v_add_f32_e32 v11, v12, v19
	ds_bpermute_b32 v10, v6, v8
	ds_bpermute_b32 v12, v6, v11
	s_load_dwordx2 s[0:1], s[4:5], 0x38
	v_cndmask_b32_e32 v7, v7, v9, vcc
	s_mul_i32 s2, s2, s7
	v_lshlrev_b32_e32 v9, 2, v7
	s_waitcnt lgkmcnt(0)
	v_add_f32_e32 v7, v8, v10
	v_add_f32_e32 v10, v11, v12
	s_mul_i32 s3, s18, s8
	s_add_i32 s2, s2, s6
	ds_bpermute_b32 v8, v9, v7
	ds_bpermute_b32 v11, v9, v10
	s_add_i32 s2, s2, s3
	s_mov_b32 s3, 0
	s_lshl_b64 s[2:3], s[2:3], 2
	s_add_u32 s2, s0, s2
	v_add_u32_e32 v12, s6, v0
	s_addc_u32 s3, s1, s3
	v_cmp_gt_u32_e32 vcc, 2, v0
	v_cmp_gt_u32_e64 s[0:1], s14, v12
	s_and_b64 s[0:1], vcc, s[0:1]
	s_waitcnt lgkmcnt(1)
	v_add_f32_e32 v7, v7, v8
	s_waitcnt lgkmcnt(0)
	v_add_f32_e32 v8, v10, v11
	s_and_saveexec_b64 s[4:5], s[0:1]
	s_cbranch_execz .LBB127_37
; %bb.36:
	v_cmp_eq_u32_e32 vcc, 1, v0
	v_cndmask_b32_e32 v10, v7, v8, vcc
	v_cmp_eq_u32_e32 vcc, 2, v0
	v_cndmask_b32_e32 v10, v10, v18, vcc
	;; [unrolled: 2-line block ×7, first 2 shown]
	global_store_dword v2, v10, s[2:3]
.LBB127_37:
	s_or_b64 exec, exec, s[4:5]
	ds_read2st64_b32 v[10:11], v2 offset0:2 offset1:3
	s_waitcnt lgkmcnt(0)
	v_add_f32_e32 v10, v10, v18
	v_add_f32_e32 v11, v11, v17
	ds_bpermute_b32 v12, v1, v10
	ds_bpermute_b32 v17, v1, v11
	s_waitcnt lgkmcnt(1)
	v_add_f32_e32 v10, v10, v12
	s_waitcnt lgkmcnt(0)
	v_add_f32_e32 v11, v11, v17
	ds_bpermute_b32 v12, v3, v10
	ds_bpermute_b32 v17, v3, v11
	s_waitcnt lgkmcnt(1)
	v_add_f32_e32 v10, v10, v12
	s_waitcnt lgkmcnt(0)
	;; [unrolled: 6-line block ×6, first 2 shown]
	v_add_f32_e32 v10, v12, v17
	s_and_saveexec_b64 s[4:5], s[0:1]
	s_cbranch_execz .LBB127_39
; %bb.38:
	v_add_u32_e32 v12, 2, v0
	v_cmp_eq_u32_e32 vcc, 1, v12
	v_cndmask_b32_e32 v17, v7, v8, vcc
	v_cmp_eq_u32_e32 vcc, 2, v12
	v_cndmask_b32_e32 v17, v17, v11, vcc
	;; [unrolled: 2-line block ×7, first 2 shown]
	v_add_u32_e32 v17, s14, v0
	v_mov_b32_e32 v18, 0
	v_lshlrev_b64 v[17:18], 2, v[17:18]
	v_mov_b32_e32 v19, s3
	v_add_co_u32_e32 v17, vcc, s2, v17
	v_addc_co_u32_e32 v18, vcc, v19, v18, vcc
	global_store_dword v[17:18], v12, off
.LBB127_39:
	s_or_b64 exec, exec, s[4:5]
	ds_read2st64_b32 v[17:18], v2 offset0:4 offset1:5
	s_waitcnt lgkmcnt(0)
	v_add_f32_e32 v12, v17, v16
	v_add_f32_e32 v15, v18, v15
	ds_bpermute_b32 v16, v1, v12
	ds_bpermute_b32 v17, v1, v15
	s_waitcnt lgkmcnt(1)
	v_add_f32_e32 v12, v12, v16
	s_waitcnt lgkmcnt(0)
	v_add_f32_e32 v15, v15, v17
	ds_bpermute_b32 v16, v3, v12
	ds_bpermute_b32 v17, v3, v15
	s_waitcnt lgkmcnt(1)
	v_add_f32_e32 v12, v12, v16
	s_waitcnt lgkmcnt(0)
	;; [unrolled: 6-line block ×6, first 2 shown]
	v_add_f32_e32 v12, v16, v17
	s_and_saveexec_b64 s[4:5], s[0:1]
	s_cbranch_execz .LBB127_41
; %bb.40:
	v_add_u32_e32 v16, 4, v0
	v_cmp_eq_u32_e32 vcc, 1, v16
	v_cndmask_b32_e32 v17, v7, v8, vcc
	v_cmp_eq_u32_e32 vcc, 2, v16
	v_cndmask_b32_e32 v17, v17, v11, vcc
	;; [unrolled: 2-line block ×7, first 2 shown]
	v_lshl_or_b32 v16, s14, 1, v0
	v_mov_b32_e32 v17, 0
	v_lshlrev_b64 v[16:17], 2, v[16:17]
	v_mov_b32_e32 v19, s3
	v_add_co_u32_e32 v16, vcc, s2, v16
	v_addc_co_u32_e32 v17, vcc, v19, v17, vcc
	global_store_dword v[16:17], v18, off
.LBB127_41:
	s_or_b64 exec, exec, s[4:5]
	ds_read2st64_b32 v[16:17], v2 offset0:6 offset1:7
	s_waitcnt lgkmcnt(0)
	v_add_f32_e32 v2, v16, v14
	v_add_f32_e32 v13, v17, v13
	ds_bpermute_b32 v14, v1, v2
	ds_bpermute_b32 v1, v1, v13
	s_waitcnt lgkmcnt(1)
	v_add_f32_e32 v2, v2, v14
	s_waitcnt lgkmcnt(0)
	v_add_f32_e32 v1, v13, v1
	ds_bpermute_b32 v13, v3, v2
	ds_bpermute_b32 v3, v3, v1
	s_waitcnt lgkmcnt(1)
	v_add_f32_e32 v2, v2, v13
	s_waitcnt lgkmcnt(0)
	;; [unrolled: 6-line block ×5, first 2 shown]
	v_add_f32_e32 v2, v3, v4
	ds_bpermute_b32 v3, v9, v1
	ds_bpermute_b32 v4, v9, v2
	s_and_b64 exec, exec, s[0:1]
	s_cbranch_execz .LBB127_43
; %bb.42:
	s_waitcnt lgkmcnt(1)
	v_add_f32_e32 v1, v1, v3
	v_add_u32_e32 v3, 6, v0
	v_cmp_eq_u32_e32 vcc, 1, v3
	s_waitcnt lgkmcnt(0)
	v_add_f32_e32 v2, v2, v4
	v_cndmask_b32_e32 v4, v7, v8, vcc
	v_cmp_eq_u32_e32 vcc, 2, v3
	v_cndmask_b32_e32 v4, v4, v11, vcc
	v_cmp_eq_u32_e32 vcc, 3, v3
	;; [unrolled: 2-line block ×5, first 2 shown]
	v_cndmask_b32_e32 v4, v4, v1, vcc
	v_mad_u64_u32 v[0:1], s[0:1], s14, 3, v[0:1]
	v_mov_b32_e32 v1, 0
	v_cmp_eq_u32_e32 vcc, 7, v3
	v_lshlrev_b64 v[0:1], 2, v[0:1]
	v_cndmask_b32_e32 v2, v4, v2, vcc
	v_mov_b32_e32 v3, s3
	v_add_co_u32_e32 v0, vcc, s2, v0
	v_addc_co_u32_e32 v1, vcc, v3, v1, vcc
	global_store_dword v[0:1], v2, off
.LBB127_43:
	s_endpgm
	.section	.rodata,"a",@progbits
	.p2align	6, 0x0
	.amdhsa_kernel _ZL13mul_mat_vec_qIL9ggml_type12ELi4ELb0ELb0EEvPKvS2_PKi31ggml_cuda_mm_fusion_args_devicePfj15HIP_vector_typeIjLj3EEjjjS8_jjjS8_jjjj
		.amdhsa_group_segment_fixed_size 2048
		.amdhsa_private_segment_fixed_size 0
		.amdhsa_kernarg_size 144
		.amdhsa_user_sgpr_count 6
		.amdhsa_user_sgpr_private_segment_buffer 1
		.amdhsa_user_sgpr_dispatch_ptr 0
		.amdhsa_user_sgpr_queue_ptr 0
		.amdhsa_user_sgpr_kernarg_segment_ptr 1
		.amdhsa_user_sgpr_dispatch_id 0
		.amdhsa_user_sgpr_flat_scratch_init 0
		.amdhsa_user_sgpr_private_segment_size 0
		.amdhsa_uses_dynamic_stack 0
		.amdhsa_system_sgpr_private_segment_wavefront_offset 0
		.amdhsa_system_sgpr_workgroup_id_x 1
		.amdhsa_system_sgpr_workgroup_id_y 1
		.amdhsa_system_sgpr_workgroup_id_z 1
		.amdhsa_system_sgpr_workgroup_info 0
		.amdhsa_system_vgpr_workitem_id 1
		.amdhsa_next_free_vgpr 82
		.amdhsa_next_free_sgpr 61
		.amdhsa_reserve_vcc 1
		.amdhsa_reserve_flat_scratch 0
		.amdhsa_float_round_mode_32 0
		.amdhsa_float_round_mode_16_64 0
		.amdhsa_float_denorm_mode_32 3
		.amdhsa_float_denorm_mode_16_64 3
		.amdhsa_dx10_clamp 1
		.amdhsa_ieee_mode 1
		.amdhsa_fp16_overflow 0
		.amdhsa_exception_fp_ieee_invalid_op 0
		.amdhsa_exception_fp_denorm_src 0
		.amdhsa_exception_fp_ieee_div_zero 0
		.amdhsa_exception_fp_ieee_overflow 0
		.amdhsa_exception_fp_ieee_underflow 0
		.amdhsa_exception_fp_ieee_inexact 0
		.amdhsa_exception_int_div_zero 0
	.end_amdhsa_kernel
	.section	.text._ZL13mul_mat_vec_qIL9ggml_type12ELi4ELb0ELb0EEvPKvS2_PKi31ggml_cuda_mm_fusion_args_devicePfj15HIP_vector_typeIjLj3EEjjjS8_jjjS8_jjjj,"axG",@progbits,_ZL13mul_mat_vec_qIL9ggml_type12ELi4ELb0ELb0EEvPKvS2_PKi31ggml_cuda_mm_fusion_args_devicePfj15HIP_vector_typeIjLj3EEjjjS8_jjjS8_jjjj,comdat
.Lfunc_end127:
	.size	_ZL13mul_mat_vec_qIL9ggml_type12ELi4ELb0ELb0EEvPKvS2_PKi31ggml_cuda_mm_fusion_args_devicePfj15HIP_vector_typeIjLj3EEjjjS8_jjjS8_jjjj, .Lfunc_end127-_ZL13mul_mat_vec_qIL9ggml_type12ELi4ELb0ELb0EEvPKvS2_PKi31ggml_cuda_mm_fusion_args_devicePfj15HIP_vector_typeIjLj3EEjjjS8_jjjS8_jjjj
                                        ; -- End function
	.set _ZL13mul_mat_vec_qIL9ggml_type12ELi4ELb0ELb0EEvPKvS2_PKi31ggml_cuda_mm_fusion_args_devicePfj15HIP_vector_typeIjLj3EEjjjS8_jjjS8_jjjj.num_vgpr, 82
	.set _ZL13mul_mat_vec_qIL9ggml_type12ELi4ELb0ELb0EEvPKvS2_PKi31ggml_cuda_mm_fusion_args_devicePfj15HIP_vector_typeIjLj3EEjjjS8_jjjS8_jjjj.num_agpr, 0
	.set _ZL13mul_mat_vec_qIL9ggml_type12ELi4ELb0ELb0EEvPKvS2_PKi31ggml_cuda_mm_fusion_args_devicePfj15HIP_vector_typeIjLj3EEjjjS8_jjjS8_jjjj.numbered_sgpr, 26
	.set _ZL13mul_mat_vec_qIL9ggml_type12ELi4ELb0ELb0EEvPKvS2_PKi31ggml_cuda_mm_fusion_args_devicePfj15HIP_vector_typeIjLj3EEjjjS8_jjjS8_jjjj.num_named_barrier, 0
	.set _ZL13mul_mat_vec_qIL9ggml_type12ELi4ELb0ELb0EEvPKvS2_PKi31ggml_cuda_mm_fusion_args_devicePfj15HIP_vector_typeIjLj3EEjjjS8_jjjS8_jjjj.private_seg_size, 0
	.set _ZL13mul_mat_vec_qIL9ggml_type12ELi4ELb0ELb0EEvPKvS2_PKi31ggml_cuda_mm_fusion_args_devicePfj15HIP_vector_typeIjLj3EEjjjS8_jjjS8_jjjj.uses_vcc, 1
	.set _ZL13mul_mat_vec_qIL9ggml_type12ELi4ELb0ELb0EEvPKvS2_PKi31ggml_cuda_mm_fusion_args_devicePfj15HIP_vector_typeIjLj3EEjjjS8_jjjS8_jjjj.uses_flat_scratch, 0
	.set _ZL13mul_mat_vec_qIL9ggml_type12ELi4ELb0ELb0EEvPKvS2_PKi31ggml_cuda_mm_fusion_args_devicePfj15HIP_vector_typeIjLj3EEjjjS8_jjjS8_jjjj.has_dyn_sized_stack, 0
	.set _ZL13mul_mat_vec_qIL9ggml_type12ELi4ELb0ELb0EEvPKvS2_PKi31ggml_cuda_mm_fusion_args_devicePfj15HIP_vector_typeIjLj3EEjjjS8_jjjS8_jjjj.has_recursion, 0
	.set _ZL13mul_mat_vec_qIL9ggml_type12ELi4ELb0ELb0EEvPKvS2_PKi31ggml_cuda_mm_fusion_args_devicePfj15HIP_vector_typeIjLj3EEjjjS8_jjjS8_jjjj.has_indirect_call, 0
	.section	.AMDGPU.csdata,"",@progbits
; Kernel info:
; codeLenInByte = 4652
; TotalNumSgprs: 30
; NumVgprs: 82
; ScratchSize: 0
; MemoryBound: 0
; FloatMode: 240
; IeeeMode: 1
; LDSByteSize: 2048 bytes/workgroup (compile time only)
; SGPRBlocks: 8
; VGPRBlocks: 20
; NumSGPRsForWavesPerEU: 65
; NumVGPRsForWavesPerEU: 82
; Occupancy: 3
; WaveLimiterHint : 0
; COMPUTE_PGM_RSRC2:SCRATCH_EN: 0
; COMPUTE_PGM_RSRC2:USER_SGPR: 6
; COMPUTE_PGM_RSRC2:TRAP_HANDLER: 0
; COMPUTE_PGM_RSRC2:TGID_X_EN: 1
; COMPUTE_PGM_RSRC2:TGID_Y_EN: 1
; COMPUTE_PGM_RSRC2:TGID_Z_EN: 1
; COMPUTE_PGM_RSRC2:TIDIG_COMP_CNT: 1
	.section	.text._ZL13mul_mat_vec_qIL9ggml_type12ELi5ELb0ELb0EEvPKvS2_PKi31ggml_cuda_mm_fusion_args_devicePfj15HIP_vector_typeIjLj3EEjjjS8_jjjS8_jjjj,"axG",@progbits,_ZL13mul_mat_vec_qIL9ggml_type12ELi5ELb0ELb0EEvPKvS2_PKi31ggml_cuda_mm_fusion_args_devicePfj15HIP_vector_typeIjLj3EEjjjS8_jjjS8_jjjj,comdat
	.globl	_ZL13mul_mat_vec_qIL9ggml_type12ELi5ELb0ELb0EEvPKvS2_PKi31ggml_cuda_mm_fusion_args_devicePfj15HIP_vector_typeIjLj3EEjjjS8_jjjS8_jjjj ; -- Begin function _ZL13mul_mat_vec_qIL9ggml_type12ELi5ELb0ELb0EEvPKvS2_PKi31ggml_cuda_mm_fusion_args_devicePfj15HIP_vector_typeIjLj3EEjjjS8_jjjS8_jjjj
	.p2align	8
	.type	_ZL13mul_mat_vec_qIL9ggml_type12ELi5ELb0ELb0EEvPKvS2_PKi31ggml_cuda_mm_fusion_args_devicePfj15HIP_vector_typeIjLj3EEjjjS8_jjjS8_jjjj,@function
_ZL13mul_mat_vec_qIL9ggml_type12ELi5ELb0ELb0EEvPKvS2_PKi31ggml_cuda_mm_fusion_args_devicePfj15HIP_vector_typeIjLj3EEjjjS8_jjjS8_jjjj: ; @_ZL13mul_mat_vec_qIL9ggml_type12ELi5ELb0ELb0EEvPKvS2_PKi31ggml_cuda_mm_fusion_args_devicePfj15HIP_vector_typeIjLj3EEjjjS8_jjjS8_jjjj
; %bb.0:
	s_load_dword s9, s[4:5], 0x40
	s_load_dwordx4 s[12:15], s[4:5], 0x50
	s_load_dword s25, s[4:5], 0x60
	s_load_dwordx4 s[0:3], s[4:5], 0x68
	;; [unrolled: 2-line block ×3, first 2 shown]
	v_lshl_or_b32 v2, v1, 6, v0
	s_waitcnt lgkmcnt(0)
	s_lshr_b32 s9, s9, 8
	v_lshrrev_b32_e32 v22, 4, v2
	v_mov_b32_e32 v12, 0
	s_lshl_b32 s6, s6, 1
	v_cmp_gt_u32_e32 vcc, s9, v22
	v_mov_b32_e32 v13, v12
	v_mov_b32_e32 v14, v12
	;; [unrolled: 1-line block ×9, first 2 shown]
	s_and_saveexec_b64 s[10:11], vcc
	s_cbranch_execz .LBB128_40
; %bb.1:
	s_mul_hi_u32 s15, s15, s7
	s_add_i32 s15, s7, s15
	s_load_dwordx4 s[20:23], s[4:5], 0x0
	s_lshr_b32 s15, s15, s25
	s_mul_i32 s15, s15, s0
	s_mul_hi_u32 s0, s3, s8
	s_add_i32 s0, s8, s0
	s_lshr_b32 s0, s0, s24
	s_mul_i32 s3, s17, s8
	s_mul_i32 s0, s0, s16
	s_mul_hi_u32 s16, s3, 36
	s_mul_i32 s3, s3, 36
	s_waitcnt lgkmcnt(0)
	s_add_u32 s3, s22, s3
	s_mul_i32 s1, s1, s7
	s_addc_u32 s17, s23, s16
	s_mul_hi_u32 s19, s1, 36
	s_mul_i32 s1, s1, 36
	s_add_u32 s16, s3, s1
	s_addc_u32 s17, s17, s19
	s_add_i32 s19, s6, 1
	v_bfe_u32 v4, v0, 2, 2
	s_mul_i32 s3, s6, s12
	s_mul_i32 s12, s12, s19
	v_mul_hi_u32_u24_e32 v5, 0x48, v4
	v_mul_u32_u24_e32 v4, 0x48, v4
	s_movk_i32 s19, 0x120
	v_mad_u64_u32 v[4:5], s[22:23], v22, s19, v[4:5]
	v_lshlrev_b32_e32 v2, 1, v0
	v_bfe_u32 v23, v2, 3, 2
	v_and_b32_e32 v3, 30, v2
	v_lshlrev_b32_e32 v2, 1, v23
	s_add_i32 s15, s0, s15
	v_cmp_lt_u32_e64 s[0:1], 15, v3
	v_mad_u64_u32 v[2:3], s[22:23], v2, 36, s[16:17]
	v_mov_b32_e32 v6, s17
	v_add_co_u32_e32 v4, vcc, s16, v4
	v_addc_co_u32_e32 v5, vcc, v6, v5, vcc
	v_mov_b32_e32 v12, 0
	v_and_b32_e32 v25, 3, v0
	v_add_co_u32_e32 v4, vcc, 36, v4
	v_lshlrev_b32_e32 v24, 5, v23
	v_lshlrev_b32_e32 v26, 2, v25
	s_add_i32 s3, s15, s3
	s_add_i32 s12, s15, s12
	v_addc_co_u32_e32 v5, vcc, 0, v5, vcc
	s_lshl_b32 s15, s13, 1
	v_lshlrev_b32_e32 v27, 3, v22
	s_mul_i32 s19, s13, 3
	s_lshl_b32 s24, s13, 2
	s_mov_b64 s[16:17], 0
	s_movk_i32 s25, 0x90
	s_mov_b32 s26, 0x5040100
	s_mov_b32 s27, 0x20004
	;; [unrolled: 1-line block ×5, first 2 shown]
	v_mov_b32_e32 v13, v12
	v_mov_b32_e32 v14, v12
	;; [unrolled: 1-line block ×9, first 2 shown]
	s_branch .LBB128_3
.LBB128_2:                              ;   in Loop: Header=BB128_3 Depth=1
	s_andn2_saveexec_b64 s[22:23], s[22:23]
	s_or_b64 exec, exec, s[22:23]
	s_waitcnt vmcnt(29)
	v_and_b32_e32 v8, 0xf0f0f0f, v47
	s_waitcnt vmcnt(4)
	v_dot4_i32_i8 v6, s29, v64, 0
	v_and_b32_e32 v9, 0xf0f0f0f, v46
	v_lshrrev_b32_e32 v47, 4, v47
	v_dot4_i32_i8 v73, v8, v64, 0
	s_waitcnt vmcnt(3)
	v_dot4_i32_i8 v6, s29, v65, v6
	s_waitcnt vmcnt(2)
	v_dot4_i32_i8 v7, s29, v62, 0
	v_and_b32_e32 v47, 0xf0f0f0f, v47
	v_lshrrev_b32_e32 v46, 4, v46
	v_lshrrev_b16_e32 v71, 8, v67
	v_lshrrev_b16_e32 v72, 8, v66
	v_dot4_i32_i8 v73, v9, v65, v73
	v_and_b32_sdwa v66, s30, v66 dst_sel:DWORD dst_unused:UNUSED_PAD src0_sel:DWORD src1_sel:BYTE_0
	v_and_b32_sdwa v67, s30, v67 dst_sel:DWORD dst_unused:UNUSED_PAD src0_sel:DWORD src1_sel:BYTE_0
	s_waitcnt vmcnt(1)
	v_dot4_i32_i8 v7, s29, v63, v7
	v_and_b32_e32 v46, 0xf0f0f0f, v46
	v_mul_lo_u32 v66, v73, v66
	v_mul_lo_u32 v67, v6, v67
	v_dot4_i32_i8 v73, v47, v62, 0
	v_dot4_i32_i8 v73, v46, v63, v73
	v_mul_lo_u32 v71, v7, v71
	v_mul_lo_u32 v72, v73, v72
	v_cvt_f32_i32_e32 v67, v67
	v_cvt_f32_i32_e32 v66, v66
	;; [unrolled: 1-line block ×3, first 2 shown]
	v_cvt_f32_f16_sdwa v70, v35 dst_sel:DWORD dst_unused:UNUSED_PAD src0_sel:WORD_1
	v_cvt_f32_i32_e32 v72, v72
	v_fma_mix_f32 v67, v58, v67, 0 op_sel_hi:[1,0,0]
	v_fma_mix_f32 v66, v58, v66, 0 op_sel_hi:[1,0,0]
	s_waitcnt vmcnt(0)
	v_fma_mix_f32 v67, v61, v71, v67 op_sel_hi:[1,0,0]
	v_fma_mix_f32 v66, v61, v72, v66 op_sel_hi:[1,0,0]
	v_mul_f32_e32 v67, v67, v70
	v_fma_mix_f32 v66, v66, v35, -v67 op_sel_hi:[0,1,0]
	v_and_b32_e32 v71, 0xf0f0f0f, v51
	v_add_f32_e32 v13, v13, v66
	v_dot4_i32_i8 v66, s29, v80, 0
	v_and_b32_e32 v72, 0xf0f0f0f, v50
	v_lshrrev_b32_e32 v51, 4, v51
	v_dot4_i32_i8 v86, v71, v80, 0
	v_dot4_i32_i8 v66, s29, v81, v66
	;; [unrolled: 1-line block ×3, first 2 shown]
	v_and_b32_e32 v51, 0xf0f0f0f, v51
	v_lshrrev_b32_e32 v50, 4, v50
	v_lshrrev_b16_e32 v74, 8, v84
	v_lshrrev_b16_e32 v75, 8, v85
	v_dot4_i32_i8 v86, v72, v81, v86
	v_and_b32_sdwa v85, s30, v85 dst_sel:DWORD dst_unused:UNUSED_PAD src0_sel:DWORD src1_sel:BYTE_0
	v_and_b32_sdwa v84, s30, v84 dst_sel:DWORD dst_unused:UNUSED_PAD src0_sel:DWORD src1_sel:BYTE_0
	v_dot4_i32_i8 v67, s29, v79, v67
	v_and_b32_e32 v50, 0xf0f0f0f, v50
	v_mul_lo_u32 v85, v86, v85
	v_mul_lo_u32 v84, v66, v84
	v_dot4_i32_i8 v86, v51, v78, 0
	v_dot4_i32_i8 v86, v50, v79, v86
	v_mul_lo_u32 v74, v67, v74
	v_mul_lo_u32 v75, v86, v75
	v_cvt_f32_i32_e32 v84, v84
	v_cvt_f32_i32_e32 v85, v85
	;; [unrolled: 1-line block ×3, first 2 shown]
	v_cvt_f32_f16_sdwa v73, v10 dst_sel:DWORD dst_unused:UNUSED_PAD src0_sel:WORD_1
	v_cvt_f32_i32_e32 v75, v75
	v_fma_mix_f32 v84, v76, v84, 0 op_sel_hi:[1,0,0]
	v_fma_mix_f32 v85, v76, v85, 0 op_sel_hi:[1,0,0]
	;; [unrolled: 1-line block ×3, first 2 shown]
	v_dot4_i32_i8 v80, v8, v80, 0
	v_fma_mix_f32 v75, v77, v75, v85 op_sel_hi:[1,0,0]
	v_mul_f32_e32 v74, v74, v73
	v_dot4_i32_i8 v80, v9, v81, v80
	v_and_b32_sdwa v81, s30, v83 dst_sel:DWORD dst_unused:UNUSED_PAD src0_sel:DWORD src1_sel:BYTE_0
	v_fma_mix_f32 v74, v75, v10, -v74 op_sel_hi:[0,1,0]
	v_mul_lo_u32 v80, v80, v81
	v_and_b32_sdwa v81, s30, v82 dst_sel:DWORD dst_unused:UNUSED_PAD src0_sel:DWORD src1_sel:BYTE_0
	v_add_f32_e32 v14, v14, v74
	v_lshrrev_b16_e32 v74, 8, v82
	v_mul_lo_u32 v66, v66, v81
	v_dot4_i32_i8 v78, v47, v78, 0
	v_lshrrev_b16_e32 v75, 8, v83
	v_dot4_i32_i8 v78, v46, v79, v78
	v_mul_lo_u32 v67, v67, v74
	v_mul_lo_u32 v75, v78, v75
	v_cvt_f32_i32_e32 v66, v66
	v_cvt_f32_i32_e32 v74, v80
	;; [unrolled: 1-line block ×4, first 2 shown]
	v_fma_mix_f32 v66, v76, v66, 0 op_sel_hi:[1,0,0]
	v_fma_mix_f32 v74, v76, v74, 0 op_sel_hi:[1,0,0]
	;; [unrolled: 1-line block ×4, first 2 shown]
	v_mul_f32_e32 v66, v66, v70
	v_fma_mix_f32 v66, v74, v35, -v66 op_sel_hi:[0,1,0]
	v_add_f32_e32 v15, v15, v66
	v_dot4_i32_i8 v66, s29, v56, 0
	v_dot4_i32_i8 v76, v71, v56, 0
	v_dot4_i32_i8 v66, s29, v57, v66
	v_dot4_i32_i8 v67, s29, v54, 0
	v_lshrrev_b16_e32 v74, 8, v68
	v_lshrrev_b16_e32 v75, 8, v69
	v_dot4_i32_i8 v76, v72, v57, v76
	v_and_b32_sdwa v69, s30, v69 dst_sel:DWORD dst_unused:UNUSED_PAD src0_sel:DWORD src1_sel:BYTE_0
	v_and_b32_sdwa v68, s30, v68 dst_sel:DWORD dst_unused:UNUSED_PAD src0_sel:DWORD src1_sel:BYTE_0
	v_dot4_i32_i8 v67, s29, v55, v67
	v_mul_lo_u32 v69, v76, v69
	v_mul_lo_u32 v68, v66, v68
	v_dot4_i32_i8 v76, v51, v54, 0
	v_dot4_i32_i8 v76, v50, v55, v76
	v_mul_lo_u32 v74, v67, v74
	v_mul_lo_u32 v75, v76, v75
	v_cvt_f32_i32_e32 v68, v68
	v_cvt_f32_i32_e32 v69, v69
	;; [unrolled: 1-line block ×4, first 2 shown]
	v_fma_mix_f32 v68, v52, v68, 0 op_sel_hi:[1,0,0]
	v_fma_mix_f32 v69, v52, v69, 0 op_sel_hi:[1,0,0]
	;; [unrolled: 1-line block ×3, first 2 shown]
	v_dot4_i32_i8 v56, v8, v56, 0
	v_fma_mix_f32 v69, v53, v75, v69 op_sel_hi:[1,0,0]
	v_mul_f32_e32 v68, v68, v73
	v_dot4_i32_i8 v56, v9, v57, v56
	v_and_b32_sdwa v57, s30, v60 dst_sel:DWORD dst_unused:UNUSED_PAD src0_sel:DWORD src1_sel:BYTE_0
	v_fma_mix_f32 v68, v69, v10, -v68 op_sel_hi:[0,1,0]
	v_mul_lo_u32 v56, v56, v57
	v_and_b32_sdwa v57, s30, v59 dst_sel:DWORD dst_unused:UNUSED_PAD src0_sel:DWORD src1_sel:BYTE_0
	v_add_f32_e32 v16, v16, v68
	v_lshrrev_b16_e32 v68, 8, v59
	v_mul_lo_u32 v57, v66, v57
	v_dot4_i32_i8 v54, v47, v54, 0
	v_lshrrev_b16_e32 v69, 8, v60
	v_dot4_i32_i8 v54, v46, v55, v54
	v_mul_lo_u32 v55, v67, v68
	v_mul_lo_u32 v54, v54, v69
	v_cvt_f32_i32_e32 v56, v56
	v_cvt_f32_i32_e32 v57, v57
	;; [unrolled: 1-line block ×4, first 2 shown]
	v_fma_mix_f32 v56, v52, v56, 0 op_sel_hi:[1,0,0]
	v_fma_mix_f32 v52, v52, v57, 0 op_sel_hi:[1,0,0]
	;; [unrolled: 1-line block ×4, first 2 shown]
	v_mul_f32_e32 v52, v52, v70
	v_fma_mix_f32 v52, v54, v35, -v52 op_sel_hi:[0,1,0]
	v_add_f32_e32 v17, v17, v52
	v_dot4_i32_i8 v52, s29, v42, 0
	v_dot4_i32_i8 v56, v71, v42, 0
	;; [unrolled: 1-line block ×4, first 2 shown]
	v_lshrrev_b16_e32 v54, 8, v48
	v_lshrrev_b16_e32 v55, 8, v49
	v_dot4_i32_i8 v56, v72, v43, v56
	v_and_b32_sdwa v49, s30, v49 dst_sel:DWORD dst_unused:UNUSED_PAD src0_sel:DWORD src1_sel:BYTE_0
	v_and_b32_sdwa v48, s30, v48 dst_sel:DWORD dst_unused:UNUSED_PAD src0_sel:DWORD src1_sel:BYTE_0
	v_dot4_i32_i8 v53, s29, v40, v53
	v_mul_lo_u32 v49, v56, v49
	v_mul_lo_u32 v48, v52, v48
	v_dot4_i32_i8 v56, v51, v39, 0
	v_dot4_i32_i8 v56, v50, v40, v56
	v_mul_lo_u32 v54, v53, v54
	v_mul_lo_u32 v55, v56, v55
	v_cvt_f32_i32_e32 v48, v48
	v_cvt_f32_i32_e32 v49, v49
	;; [unrolled: 1-line block ×4, first 2 shown]
	v_fma_mix_f32 v48, v11, v48, 0 op_sel_hi:[1,0,0]
	v_fma_mix_f32 v49, v11, v49, 0 op_sel_hi:[1,0,0]
	;; [unrolled: 1-line block ×3, first 2 shown]
	v_dot4_i32_i8 v42, v8, v42, 0
	v_fma_mix_f32 v49, v38, v55, v49 op_sel_hi:[1,0,0]
	v_mul_f32_e32 v48, v48, v73
	v_dot4_i32_i8 v42, v9, v43, v42
	v_and_b32_sdwa v43, s30, v45 dst_sel:DWORD dst_unused:UNUSED_PAD src0_sel:DWORD src1_sel:BYTE_0
	v_fma_mix_f32 v48, v49, v10, -v48 op_sel_hi:[0,1,0]
	v_mul_lo_u32 v42, v42, v43
	v_and_b32_sdwa v43, s30, v44 dst_sel:DWORD dst_unused:UNUSED_PAD src0_sel:DWORD src1_sel:BYTE_0
	v_add_f32_e32 v18, v18, v48
	v_lshrrev_b16_e32 v48, 8, v44
	v_mul_lo_u32 v43, v52, v43
	v_dot4_i32_i8 v39, v47, v39, 0
	v_lshrrev_b16_e32 v49, 8, v45
	v_dot4_i32_i8 v39, v46, v40, v39
	v_mul_lo_u32 v40, v53, v48
	v_mul_lo_u32 v39, v39, v49
	v_cvt_f32_i32_e32 v42, v42
	v_cvt_f32_i32_e32 v43, v43
	;; [unrolled: 1-line block ×4, first 2 shown]
	v_fma_mix_f32 v42, v11, v42, 0 op_sel_hi:[1,0,0]
	v_fma_mix_f32 v11, v11, v43, 0 op_sel_hi:[1,0,0]
	;; [unrolled: 1-line block ×4, first 2 shown]
	v_mul_f32_e32 v11, v11, v70
	v_fma_mix_f32 v11, v39, v35, -v11 op_sel_hi:[0,1,0]
	v_add_f32_e32 v19, v19, v11
	v_dot4_i32_i8 v11, s29, v32, 0
	v_dot4_i32_i8 v42, v71, v32, 0
	;; [unrolled: 1-line block ×4, first 2 shown]
	v_lshrrev_b16_e32 v39, 8, v36
	v_lshrrev_b32_e32 v40, 24, v36
	v_dot4_i32_i8 v42, v72, v33, v42
	v_bfe_u32 v43, v36, 16, 8
	v_and_b32_e32 v36, 0xff, v36
	v_dot4_i32_i8 v38, s29, v31, v38
	v_mul_lo_u32 v42, v42, v43
	v_mul_lo_u32 v36, v11, v36
	v_dot4_i32_i8 v43, v51, v30, 0
	v_dot4_i32_i8 v43, v50, v31, v43
	v_mul_lo_u32 v39, v38, v39
	v_mul_lo_u32 v40, v43, v40
	v_cvt_f32_i32_e32 v36, v36
	v_cvt_f32_i32_e32 v42, v42
	;; [unrolled: 1-line block ×4, first 2 shown]
	v_fma_mix_f32 v36, v28, v36, 0 op_sel_hi:[1,0,0]
	v_fma_mix_f32 v42, v28, v42, 0 op_sel_hi:[1,0,0]
	;; [unrolled: 1-line block ×3, first 2 shown]
	v_dot4_i32_i8 v8, v8, v32, 0
	v_fma_mix_f32 v40, v29, v40, v42 op_sel_hi:[1,0,0]
	v_mul_f32_e32 v36, v36, v73
	v_dot4_i32_i8 v8, v9, v33, v8
	v_bfe_u32 v9, v34, 16, 8
	v_fma_mix_f32 v36, v40, v10, -v36 op_sel_hi:[0,1,0]
	v_mul_lo_u32 v8, v8, v9
	v_and_b32_e32 v9, 0xff, v34
	v_add_f32_e32 v20, v20, v36
	v_lshrrev_b16_e32 v36, 8, v34
	v_mul_lo_u32 v9, v11, v9
	v_dot4_i32_i8 v11, v47, v30, 0
	v_lshrrev_b32_e32 v39, 24, v34
	v_dot4_i32_i8 v11, v46, v31, v11
	v_mul_lo_u32 v30, v38, v36
	v_mul_lo_u32 v11, v11, v39
	v_cvt_f32_i32_e32 v9, v9
	v_cvt_f32_i32_e32 v8, v8
	;; [unrolled: 1-line block ×4, first 2 shown]
	v_fma_mix_f32 v9, v28, v9, 0 op_sel_hi:[1,0,0]
	v_fma_mix_f32 v8, v28, v8, 0 op_sel_hi:[1,0,0]
	;; [unrolled: 1-line block ×4, first 2 shown]
	v_mul_f32_e32 v9, v9, v70
	v_fma_mix_f32 v8, v8, v35, -v9 op_sel_hi:[0,1,0]
	v_dot4_i32_i8 v9, v71, v64, 0
	v_and_b32_sdwa v11, s30, v41 dst_sel:DWORD dst_unused:UNUSED_PAD src0_sel:DWORD src1_sel:BYTE_0
	v_add_f32_e32 v21, v21, v8
	v_lshrrev_b16_e32 v8, 8, v41
	v_dot4_i32_i8 v9, v72, v65, v9
	v_mul_lo_u32 v6, v6, v11
	v_dot4_i32_i8 v11, v51, v62, 0
	v_and_b32_sdwa v29, s30, v37 dst_sel:DWORD dst_unused:UNUSED_PAD src0_sel:DWORD src1_sel:BYTE_0
	v_dot4_i32_i8 v11, v50, v63, v11
	v_lshrrev_b16_e32 v28, 8, v37
	v_mul_lo_u32 v9, v9, v29
	v_mul_lo_u32 v7, v7, v8
	v_mul_lo_u32 v11, v11, v28
	v_cvt_f32_i32_e32 v6, v6
	v_cvt_f32_i32_e32 v8, v9
	;; [unrolled: 1-line block ×4, first 2 shown]
	v_fma_mix_f32 v6, v58, v6, 0 op_sel_hi:[1,0,0]
	v_fma_mix_f32 v8, v58, v8, 0 op_sel_hi:[1,0,0]
	;; [unrolled: 1-line block ×3, first 2 shown]
	v_add_co_u32_e32 v4, vcc, 0x480, v4
	v_fma_mix_f32 v8, v61, v9, v8 op_sel_hi:[1,0,0]
	v_mul_f32_e32 v6, v6, v73
	v_add_u32_e32 v22, 4, v22
	v_addc_co_u32_e32 v5, vcc, 0, v5, vcc
	v_fma_mix_f32 v6, v8, v10, -v6 op_sel_hi:[0,1,0]
	v_cmp_le_u32_e32 vcc, s9, v22
	v_add_f32_e32 v12, v12, v6
	s_or_b64 s[16:17], vcc, s[16:17]
	v_add_u32_e32 v27, 32, v27
	s_andn2_b64 exec, exec, s[16:17]
	s_cbranch_execz .LBB128_39
.LBB128_3:                              ; =>This Inner Loop Header: Depth=1
	v_mov_b32_e32 v8, s20
	v_add_u32_e32 v10, s3, v22
	v_mov_b32_e32 v9, s21
	v_mad_i64_i32 v[8:9], s[22:23], v10, s25, v[8:9]
	v_add_co_u32_e32 v6, vcc, v4, v26
	v_addc_co_u32_e32 v7, vcc, 0, v5, vcc
	global_load_dword v28, v[4:5], off offset:-36
	global_load_dword v29, v[4:5], off
	global_load_dword v32, v[6:7], off offset:-32
	global_load_dword v33, v[6:7], off offset:-16
	global_load_dword v30, v[6:7], off offset:4
	global_load_dword v31, v[6:7], off offset:20
	v_add_co_u32_e32 v6, vcc, v8, v24
	v_addc_co_u32_e32 v7, vcc, 0, v9, vcc
	v_add_co_u32_e32 v6, vcc, v6, v26
	v_addc_co_u32_e32 v7, vcc, 0, v7, vcc
	global_load_dword v47, v[6:7], off offset:16
	global_load_dword v46, v[6:7], off offset:32
	v_lshlrev_b32_e32 v36, 1, v23
	v_add_co_u32_e32 v6, vcc, v8, v36
	v_addc_co_u32_e32 v7, vcc, 0, v9, vcc
                                        ; implicit-def: $vgpr34
                                        ; implicit-def: $vgpr58
                                        ; implicit-def: $vgpr61
	s_and_saveexec_b64 s[22:23], s[0:1]
	s_xor_b64 s[22:23], exec, s[22:23]
	s_cbranch_execz .LBB128_5
; %bb.4:                                ;   in Loop: Header=BB128_3 Depth=1
	global_load_ushort v10, v[6:7], off
	global_load_ushort v58, v[6:7], off offset:8
	global_load_ushort v61, v[6:7], off offset:4
	s_waitcnt vmcnt(1)
	v_perm_b32 v10, v10, v58, s26
	s_waitcnt vmcnt(0)
	v_perm_b32 v11, v58, v61, s26
	v_pk_lshrrev_b16 v11, 2, v11
	v_pk_lshrrev_b16 v10, s27, v10
	v_and_b32_e32 v11, 0xf0f3030, v11
	v_and_or_b32 v34, v10, s28, v11
.LBB128_5:                              ;   in Loop: Header=BB128_3 Depth=1
	s_andn2_saveexec_b64 s[22:23], s[22:23]
	s_cbranch_execz .LBB128_7
; %bb.6:                                ;   in Loop: Header=BB128_3 Depth=1
	global_load_ushort v61, v[6:7], off offset:4
	global_load_ushort v58, v[6:7], off offset:8
	s_waitcnt vmcnt(0)
	v_perm_b32 v10, v61, v58, s26
	v_and_b32_e32 v34, 0x3f3f3f3f, v10
.LBB128_7:                              ;   in Loop: Header=BB128_3 Depth=1
	s_or_b64 exec, exec, s[22:23]
	v_mov_b32_e32 v10, s20
	v_add_u32_e32 v35, s12, v22
	v_mov_b32_e32 v11, s21
	v_mad_i64_i32 v[10:11], s[22:23], v35, s25, v[10:11]
                                        ; implicit-def: $vgpr62
                                        ; implicit-def: $vgpr63
	v_add_co_u32_e32 v35, vcc, v10, v24
	v_addc_co_u32_e32 v38, vcc, 0, v11, vcc
	v_add_co_u32_e32 v37, vcc, v35, v26
	v_addc_co_u32_e32 v38, vcc, 0, v38, vcc
	global_load_dword v35, v[8:9], off
	global_load_dword v51, v[37:38], off offset:16
	global_load_dword v50, v[37:38], off offset:32
	v_add_co_u32_e32 v8, vcc, v10, v36
	v_addc_co_u32_e32 v9, vcc, 0, v11, vcc
                                        ; implicit-def: $vgpr36
	s_and_saveexec_b64 s[22:23], s[0:1]
	s_xor_b64 s[22:23], exec, s[22:23]
	s_cbranch_execz .LBB128_9
; %bb.8:                                ;   in Loop: Header=BB128_3 Depth=1
	global_load_ushort v36, v[8:9], off
	global_load_ushort v62, v[8:9], off offset:8
	global_load_ushort v63, v[8:9], off offset:4
	s_waitcnt vmcnt(1)
	v_perm_b32 v36, v36, v62, s26
	s_waitcnt vmcnt(0)
	v_perm_b32 v37, v62, v63, s26
	v_pk_lshrrev_b16 v37, 2, v37
	v_pk_lshrrev_b16 v36, s27, v36
	v_and_b32_e32 v37, 0xf0f3030, v37
	v_and_or_b32 v36, v36, s28, v37
.LBB128_9:                              ;   in Loop: Header=BB128_3 Depth=1
	s_andn2_saveexec_b64 s[22:23], s[22:23]
	s_cbranch_execz .LBB128_11
; %bb.10:                               ;   in Loop: Header=BB128_3 Depth=1
	global_load_ushort v63, v[8:9], off offset:4
	global_load_ushort v62, v[8:9], off offset:8
	s_waitcnt vmcnt(0)
	v_perm_b32 v36, v63, v62, s26
	v_and_b32_e32 v36, 0x3f3f3f3f, v36
.LBB128_11:                             ;   in Loop: Header=BB128_3 Depth=1
	s_or_b64 exec, exec, s[22:23]
	v_add_u32_e32 v37, s13, v27
	v_mad_u64_u32 v[44:45], s[22:23], v37, 36, v[2:3]
	v_lshlrev_b32_e32 v64, 2, v25
	global_load_dword v10, v[10:11], off
	v_add_co_u32_e32 v48, vcc, v44, v64
	v_addc_co_u32_e32 v49, vcc, 0, v45, vcc
	global_load_dword v11, v[44:45], off
	global_load_dword v42, v[48:49], off offset:4
	global_load_dword v43, v[48:49], off offset:20
	;; [unrolled: 1-line block ×5, first 2 shown]
	v_lshrrev_b16_e32 v37, 4, v58
	v_lshrrev_b16_e32 v41, 2, v61
	v_and_b32_e32 v70, 0xf0f, v58
	v_and_b32_e32 v71, 0xf0f, v37
	;; [unrolled: 1-line block ×3, first 2 shown]
                                        ; implicit-def: $vgpr45
                                        ; implicit-def: $vgpr44
	s_and_saveexec_b64 s[22:23], s[0:1]
	s_xor_b64 s[22:23], exec, s[22:23]
	s_cbranch_execz .LBB128_13
; %bb.12:                               ;   in Loop: Header=BB128_3 Depth=1
	global_load_ushort v37, v[6:7], off
	v_or_b32_e32 v44, v72, v71
	s_waitcnt vmcnt(0)
	v_lshrrev_b16_e32 v37, 2, v37
	v_and_b32_e32 v37, 0x3030, v37
	v_or_b32_e32 v45, v37, v70
.LBB128_13:                             ;   in Loop: Header=BB128_3 Depth=1
	s_or_saveexec_b64 s[22:23], s[22:23]
	v_and_b32_e32 v66, 0x3f3f, v61
	v_and_b32_e32 v67, 0x3f3f, v58
	s_xor_b64 exec, exec, s[22:23]
; %bb.14:                               ;   in Loop: Header=BB128_3 Depth=1
	v_and_b32_e32 v45, 0x3f3f, v61
	v_and_b32_e32 v44, 0x3f3f, v58
; %bb.15:                               ;   in Loop: Header=BB128_3 Depth=1
	s_or_b64 exec, exec, s[22:23]
	v_lshrrev_b16_e32 v37, 4, v62
	v_lshrrev_b16_e32 v41, 2, v63
	v_and_b32_e32 v73, 0xf0f, v62
	v_and_b32_e32 v74, 0xf0f, v37
	v_and_b32_e32 v75, 0x3030, v41
                                        ; implicit-def: $vgpr49
                                        ; implicit-def: $vgpr48
	s_and_saveexec_b64 s[22:23], s[0:1]
	s_xor_b64 s[22:23], exec, s[22:23]
	s_cbranch_execz .LBB128_17
; %bb.16:                               ;   in Loop: Header=BB128_3 Depth=1
	global_load_ushort v37, v[8:9], off
	v_or_b32_e32 v48, v75, v74
	s_waitcnt vmcnt(0)
	v_lshrrev_b16_e32 v37, 2, v37
	v_and_b32_e32 v37, 0x3030, v37
	v_or_b32_e32 v49, v37, v73
.LBB128_17:                             ;   in Loop: Header=BB128_3 Depth=1
	s_or_saveexec_b64 s[22:23], s[22:23]
	v_and_b32_e32 v37, 0x3f3f, v63
	v_and_b32_e32 v41, 0x3f3f, v62
	s_xor_b64 exec, exec, s[22:23]
; %bb.18:                               ;   in Loop: Header=BB128_3 Depth=1
	v_and_b32_e32 v49, 0x3f3f, v63
	v_and_b32_e32 v48, 0x3f3f, v62
; %bb.19:                               ;   in Loop: Header=BB128_3 Depth=1
	s_or_b64 exec, exec, s[22:23]
	v_add_u32_e32 v52, s15, v27
	v_mad_u64_u32 v[59:60], s[22:23], v52, 36, v[2:3]
	v_add_co_u32_e32 v68, vcc, v59, v64
	v_addc_co_u32_e32 v69, vcc, 0, v60, vcc
	global_load_dword v52, v[59:60], off
	global_load_dword v56, v[68:69], off offset:4
	global_load_dword v57, v[68:69], off offset:20
	;; [unrolled: 1-line block ×5, first 2 shown]
                                        ; implicit-def: $vgpr60
                                        ; implicit-def: $vgpr59
	s_and_saveexec_b64 s[22:23], s[0:1]
	s_xor_b64 s[22:23], exec, s[22:23]
	s_cbranch_execz .LBB128_21
; %bb.20:                               ;   in Loop: Header=BB128_3 Depth=1
	global_load_ushort v59, v[6:7], off
	s_waitcnt vmcnt(0)
	v_lshrrev_b16_e32 v59, 2, v59
	v_and_b32_e32 v59, 0x3030, v59
	v_or_b32_e32 v60, v59, v70
	v_or_b32_e32 v59, v72, v71
	s_andn2_saveexec_b64 s[22:23], s[22:23]
	s_branch .LBB128_22
.LBB128_21:                             ;   in Loop: Header=BB128_3 Depth=1
	s_andn2_saveexec_b64 s[22:23], s[22:23]
.LBB128_22:                             ;   in Loop: Header=BB128_3 Depth=1
	v_and_b32_e32 v60, 0x3f3f, v61
	v_and_b32_e32 v59, 0x3f3f, v58
; %bb.23:                               ;   in Loop: Header=BB128_3 Depth=1
	s_or_b64 exec, exec, s[22:23]
                                        ; implicit-def: $vgpr69
                                        ; implicit-def: $vgpr68
	s_and_saveexec_b64 s[22:23], s[0:1]
	s_xor_b64 s[22:23], exec, s[22:23]
	s_cbranch_execz .LBB128_25
; %bb.24:                               ;   in Loop: Header=BB128_3 Depth=1
	global_load_ushort v65, v[8:9], off
	v_or_b32_e32 v68, v75, v74
	s_waitcnt vmcnt(0)
	v_lshrrev_b16_e32 v65, 2, v65
	v_and_b32_e32 v65, 0x3030, v65
	v_or_b32_e32 v69, v65, v73
	s_andn2_saveexec_b64 s[22:23], s[22:23]
	s_cbranch_execnz .LBB128_26
	s_branch .LBB128_27
.LBB128_25:                             ;   in Loop: Header=BB128_3 Depth=1
	s_andn2_saveexec_b64 s[22:23], s[22:23]
.LBB128_26:                             ;   in Loop: Header=BB128_3 Depth=1
	v_and_b32_e32 v69, 0x3f3f, v63
	v_and_b32_e32 v68, 0x3f3f, v62
.LBB128_27:                             ;   in Loop: Header=BB128_3 Depth=1
	s_or_b64 exec, exec, s[22:23]
	v_add_u32_e32 v65, s19, v27
	v_mad_u64_u32 v[82:83], s[22:23], v65, 36, v[2:3]
	v_add_co_u32_e32 v84, vcc, v82, v64
	v_addc_co_u32_e32 v85, vcc, 0, v83, vcc
	global_load_dword v76, v[82:83], off
	global_load_dword v80, v[84:85], off offset:4
	global_load_dword v81, v[84:85], off offset:20
	;; [unrolled: 1-line block ×5, first 2 shown]
                                        ; implicit-def: $vgpr83
                                        ; implicit-def: $vgpr82
	s_and_saveexec_b64 s[22:23], s[0:1]
	s_xor_b64 s[22:23], exec, s[22:23]
	s_cbranch_execz .LBB128_29
; %bb.28:                               ;   in Loop: Header=BB128_3 Depth=1
	global_load_ushort v58, v[6:7], off
	v_or_b32_e32 v82, v72, v71
                                        ; implicit-def: $vgpr61
	s_waitcnt vmcnt(0)
	v_lshrrev_b16_e32 v58, 2, v58
	v_and_b32_e32 v58, 0x3030, v58
	v_or_b32_e32 v83, v58, v70
                                        ; implicit-def: $vgpr58
	s_andn2_saveexec_b64 s[22:23], s[22:23]
	s_branch .LBB128_30
.LBB128_29:                             ;   in Loop: Header=BB128_3 Depth=1
	s_andn2_saveexec_b64 s[22:23], s[22:23]
.LBB128_30:                             ;   in Loop: Header=BB128_3 Depth=1
	v_and_b32_e32 v83, 0x3f3f, v61
	v_and_b32_e32 v82, 0x3f3f, v58
; %bb.31:                               ;   in Loop: Header=BB128_3 Depth=1
	s_or_b64 exec, exec, s[22:23]
                                        ; implicit-def: $vgpr85
                                        ; implicit-def: $vgpr84
	s_and_saveexec_b64 s[22:23], s[0:1]
	s_xor_b64 s[22:23], exec, s[22:23]
	s_cbranch_execz .LBB128_33
; %bb.32:                               ;   in Loop: Header=BB128_3 Depth=1
	global_load_ushort v58, v[8:9], off
	v_or_b32_e32 v84, v75, v74
                                        ; implicit-def: $vgpr63
                                        ; implicit-def: $vgpr62
	s_waitcnt vmcnt(0)
	v_lshrrev_b16_e32 v58, 2, v58
	v_and_b32_e32 v58, 0x3030, v58
	v_or_b32_e32 v85, v58, v73
	s_andn2_saveexec_b64 s[22:23], s[22:23]
	s_cbranch_execnz .LBB128_34
	s_branch .LBB128_35
.LBB128_33:                             ;   in Loop: Header=BB128_3 Depth=1
	s_andn2_saveexec_b64 s[22:23], s[22:23]
.LBB128_34:                             ;   in Loop: Header=BB128_3 Depth=1
	v_and_b32_e32 v85, 0x3f3f, v63
	v_and_b32_e32 v84, 0x3f3f, v62
.LBB128_35:                             ;   in Loop: Header=BB128_3 Depth=1
	s_or_b64 exec, exec, s[22:23]
	v_add_u32_e32 v58, s24, v27
	v_mad_u64_u32 v[86:87], s[22:23], v58, 36, v[2:3]
	v_add_co_u32_e32 v88, vcc, v86, v64
	v_addc_co_u32_e32 v89, vcc, 0, v87, vcc
	global_load_dword v58, v[86:87], off
	global_load_dword v64, v[88:89], off offset:4
	global_load_dword v65, v[88:89], off offset:20
	;; [unrolled: 1-line block ×5, first 2 shown]
	s_and_saveexec_b64 s[22:23], s[0:1]
	s_xor_b64 s[22:23], exec, s[22:23]
	s_cbranch_execz .LBB128_37
; %bb.36:                               ;   in Loop: Header=BB128_3 Depth=1
	global_load_ushort v6, v[6:7], off
	v_or_b32_e32 v67, v72, v71
	s_waitcnt vmcnt(0)
	v_lshrrev_b16_e32 v6, 2, v6
	v_and_b32_e32 v6, 0x3030, v6
	v_or_b32_e32 v66, v6, v70
.LBB128_37:                             ;   in Loop: Header=BB128_3 Depth=1
	s_andn2_saveexec_b64 s[22:23], s[22:23]
	s_or_b64 exec, exec, s[22:23]
	s_and_saveexec_b64 s[22:23], s[0:1]
	s_xor_b64 s[22:23], exec, s[22:23]
	s_cbranch_execz .LBB128_2
; %bb.38:                               ;   in Loop: Header=BB128_3 Depth=1
	global_load_ushort v6, v[8:9], off
	v_or_b32_e32 v41, v75, v74
	s_waitcnt vmcnt(0)
	v_lshrrev_b16_e32 v6, 2, v6
	v_and_b32_e32 v6, 0x3030, v6
	v_or_b32_e32 v37, v6, v73
	s_branch .LBB128_2
.LBB128_39:
	s_or_b64 exec, exec, s[16:17]
.LBB128_40:
	s_or_b64 exec, exec, s[10:11]
	s_mov_b32 s1, 0
	v_cmp_eq_u32_e32 vcc, 0, v1
	; wave barrier
	s_and_saveexec_b64 s[10:11], vcc
	s_cbranch_execz .LBB128_51
; %bb.41:
	v_mbcnt_lo_u32_b32 v1, -1, 0
	v_mbcnt_hi_u32_b32 v6, -1, v1
	v_and_b32_e32 v1, 64, v6
	v_add_u32_e32 v7, 64, v1
	v_xor_b32_e32 v1, 32, v6
	v_cmp_lt_i32_e32 vcc, v1, v7
	v_cndmask_b32_e32 v1, v6, v1, vcc
	v_lshlrev_b32_e32 v1, 2, v1
	ds_bpermute_b32 v5, v1, v21
	ds_bpermute_b32 v8, v1, v20
	v_xor_b32_e32 v2, 16, v6
	v_cmp_lt_i32_e32 vcc, v2, v7
	v_cndmask_b32_e32 v2, v6, v2, vcc
	v_lshlrev_b32_e32 v2, 2, v2
	s_waitcnt lgkmcnt(1)
	v_add_f32_e32 v5, v21, v5
	s_waitcnt lgkmcnt(0)
	v_add_f32_e32 v8, v20, v8
	ds_bpermute_b32 v10, v2, v5
	ds_bpermute_b32 v11, v2, v8
	v_xor_b32_e32 v3, 8, v6
	v_cmp_lt_i32_e32 vcc, v3, v7
	v_cndmask_b32_e32 v3, v6, v3, vcc
	v_lshlrev_b32_e32 v3, 2, v3
	s_waitcnt lgkmcnt(1)
	v_add_f32_e32 v10, v5, v10
	s_waitcnt lgkmcnt(0)
	v_add_f32_e32 v8, v8, v11
	;; [unrolled: 10-line block ×3, first 2 shown]
	ds_bpermute_b32 v20, v4, v10
	ds_bpermute_b32 v11, v4, v8
	v_xor_b32_e32 v9, 2, v6
	v_cmp_lt_i32_e32 vcc, v9, v7
	v_cndmask_b32_e32 v9, v6, v9, vcc
	v_lshlrev_b32_e32 v5, 2, v9
	v_xor_b32_e32 v9, 1, v6
	v_cmp_lt_i32_e32 vcc, v9, v7
	s_waitcnt lgkmcnt(1)
	v_add_f32_e32 v7, v10, v20
	s_waitcnt lgkmcnt(0)
	v_add_f32_e32 v10, v8, v11
	v_cndmask_b32_e32 v6, v6, v9, vcc
	ds_bpermute_b32 v9, v5, v7
	ds_bpermute_b32 v11, v5, v10
	s_load_dwordx2 s[4:5], s[4:5], 0x38
	s_mul_i32 s2, s2, s7
	v_lshlrev_b32_e32 v8, 2, v6
	s_waitcnt lgkmcnt(0)
	v_add_f32_e32 v6, v7, v9
	v_add_f32_e32 v9, v10, v11
	s_mul_i32 s0, s18, s8
	s_add_i32 s2, s2, s6
	ds_bpermute_b32 v7, v8, v6
	ds_bpermute_b32 v10, v8, v9
	s_add_i32 s0, s2, s0
	s_lshl_b64 s[0:1], s[0:1], 2
	s_add_u32 s2, s4, s0
	v_add_u32_e32 v11, s6, v0
	s_addc_u32 s3, s5, s1
	v_cmp_gt_u32_e32 vcc, 2, v0
	v_cmp_gt_u32_e64 s[0:1], s14, v11
	s_and_b64 s[0:1], vcc, s[0:1]
	s_waitcnt lgkmcnt(1)
	v_add_f32_e32 v6, v6, v7
	s_waitcnt lgkmcnt(0)
	v_add_f32_e32 v7, v9, v10
	s_and_saveexec_b64 s[4:5], s[0:1]
	s_cbranch_execz .LBB128_43
; %bb.42:
	v_cmp_eq_u32_e32 vcc, 1, v0
	v_cndmask_b32_e32 v9, v6, v7, vcc
	v_cmp_eq_u32_e32 vcc, 2, v0
	v_cndmask_b32_e32 v9, v9, v19, vcc
	;; [unrolled: 2-line block ×9, first 2 shown]
	v_lshlrev_b32_e32 v10, 2, v0
	global_store_dword v10, v9, s[2:3]
.LBB128_43:
	s_or_b64 exec, exec, s[4:5]
	ds_bpermute_b32 v9, v1, v19
	ds_bpermute_b32 v10, v1, v18
	s_waitcnt lgkmcnt(1)
	v_add_f32_e32 v9, v19, v9
	s_waitcnt lgkmcnt(0)
	v_add_f32_e32 v10, v18, v10
	ds_bpermute_b32 v11, v2, v9
	ds_bpermute_b32 v18, v2, v10
	s_waitcnt lgkmcnt(1)
	v_add_f32_e32 v9, v9, v11
	s_waitcnt lgkmcnt(0)
	v_add_f32_e32 v10, v10, v18
	;; [unrolled: 6-line block ×6, first 2 shown]
	s_and_saveexec_b64 s[4:5], s[0:1]
	s_cbranch_execz .LBB128_45
; %bb.44:
	v_add_u32_e32 v11, 2, v0
	v_cmp_eq_u32_e32 vcc, 1, v11
	v_cndmask_b32_e32 v18, v6, v7, vcc
	v_cmp_eq_u32_e32 vcc, 2, v11
	v_cndmask_b32_e32 v18, v18, v10, vcc
	;; [unrolled: 2-line block ×9, first 2 shown]
	v_add_u32_e32 v18, s14, v0
	v_mov_b32_e32 v19, 0
	v_lshlrev_b64 v[18:19], 2, v[18:19]
	v_mov_b32_e32 v20, s3
	v_add_co_u32_e32 v18, vcc, s2, v18
	v_addc_co_u32_e32 v19, vcc, v20, v19, vcc
	global_store_dword v[18:19], v11, off
.LBB128_45:
	s_or_b64 exec, exec, s[4:5]
	ds_bpermute_b32 v11, v1, v17
	ds_bpermute_b32 v18, v1, v16
	s_waitcnt lgkmcnt(1)
	v_add_f32_e32 v11, v17, v11
	s_waitcnt lgkmcnt(0)
	v_add_f32_e32 v16, v16, v18
	ds_bpermute_b32 v17, v2, v11
	ds_bpermute_b32 v18, v2, v16
	s_waitcnt lgkmcnt(1)
	v_add_f32_e32 v11, v11, v17
	s_waitcnt lgkmcnt(0)
	v_add_f32_e32 v16, v16, v18
	;; [unrolled: 6-line block ×6, first 2 shown]
	s_and_saveexec_b64 s[4:5], s[0:1]
	s_cbranch_execz .LBB128_47
; %bb.46:
	v_add_u32_e32 v17, 4, v0
	v_cmp_eq_u32_e32 vcc, 1, v17
	v_cndmask_b32_e32 v18, v6, v7, vcc
	v_cmp_eq_u32_e32 vcc, 2, v17
	v_cndmask_b32_e32 v18, v18, v10, vcc
	v_cmp_eq_u32_e32 vcc, 3, v17
	v_cndmask_b32_e32 v18, v18, v9, vcc
	v_cmp_eq_u32_e32 vcc, 4, v17
	v_cndmask_b32_e32 v18, v18, v16, vcc
	v_cmp_eq_u32_e32 vcc, 5, v17
	v_cndmask_b32_e32 v18, v18, v11, vcc
	v_cmp_eq_u32_e32 vcc, 6, v17
	v_cndmask_b32_e32 v18, v18, v15, vcc
	v_cmp_eq_u32_e32 vcc, 7, v17
	v_cndmask_b32_e32 v18, v18, v14, vcc
	v_cmp_eq_u32_e32 vcc, 8, v17
	v_cndmask_b32_e32 v18, v18, v13, vcc
	v_cmp_eq_u32_e32 vcc, 9, v17
	v_cndmask_b32_e32 v19, v18, v12, vcc
	v_lshl_or_b32 v17, s14, 1, v0
	v_mov_b32_e32 v18, 0
	v_lshlrev_b64 v[17:18], 2, v[17:18]
	v_mov_b32_e32 v20, s3
	v_add_co_u32_e32 v17, vcc, s2, v17
	v_addc_co_u32_e32 v18, vcc, v20, v18, vcc
	global_store_dword v[17:18], v19, off
.LBB128_47:
	s_or_b64 exec, exec, s[4:5]
	ds_bpermute_b32 v17, v1, v15
	ds_bpermute_b32 v18, v1, v14
	s_waitcnt lgkmcnt(1)
	v_add_f32_e32 v15, v15, v17
	s_waitcnt lgkmcnt(0)
	v_add_f32_e32 v14, v14, v18
	ds_bpermute_b32 v17, v2, v15
	ds_bpermute_b32 v18, v2, v14
	s_waitcnt lgkmcnt(1)
	v_add_f32_e32 v15, v15, v17
	s_waitcnt lgkmcnt(0)
	v_add_f32_e32 v14, v14, v18
	;; [unrolled: 6-line block ×6, first 2 shown]
	s_and_saveexec_b64 s[4:5], s[0:1]
	s_cbranch_execz .LBB128_49
; %bb.48:
	v_add_u32_e32 v19, 6, v0
	v_cmp_eq_u32_e32 vcc, 1, v19
	v_cndmask_b32_e32 v17, v6, v7, vcc
	v_cmp_eq_u32_e32 vcc, 2, v19
	v_cndmask_b32_e32 v17, v17, v10, vcc
	;; [unrolled: 2-line block ×8, first 2 shown]
	v_mad_u64_u32 v[17:18], s[6:7], s14, 3, v[0:1]
	v_mov_b32_e32 v18, 0
	v_cmp_eq_u32_e32 vcc, 9, v19
	v_lshlrev_b64 v[17:18], 2, v[17:18]
	v_cndmask_b32_e32 v19, v20, v12, vcc
	v_mov_b32_e32 v20, s3
	v_add_co_u32_e32 v17, vcc, s2, v17
	v_addc_co_u32_e32 v18, vcc, v20, v18, vcc
	global_store_dword v[17:18], v19, off
.LBB128_49:
	s_or_b64 exec, exec, s[4:5]
	ds_bpermute_b32 v17, v1, v13
	ds_bpermute_b32 v1, v1, v12
	s_waitcnt lgkmcnt(1)
	v_add_f32_e32 v13, v13, v17
	s_waitcnt lgkmcnt(0)
	v_add_f32_e32 v1, v12, v1
	ds_bpermute_b32 v12, v2, v13
	ds_bpermute_b32 v2, v2, v1
	s_waitcnt lgkmcnt(1)
	v_add_f32_e32 v12, v13, v12
	s_waitcnt lgkmcnt(0)
	v_add_f32_e32 v1, v1, v2
	;; [unrolled: 6-line block ×5, first 2 shown]
	ds_bpermute_b32 v3, v8, v1
	ds_bpermute_b32 v4, v8, v2
	s_and_b64 exec, exec, s[0:1]
	s_cbranch_execz .LBB128_51
; %bb.50:
	s_waitcnt lgkmcnt(1)
	v_add_f32_e32 v1, v1, v3
	v_add_u32_e32 v3, 8, v0
	v_cmp_eq_u32_e32 vcc, 1, v3
	s_waitcnt lgkmcnt(0)
	v_add_f32_e32 v2, v2, v4
	v_cndmask_b32_e32 v4, v6, v7, vcc
	v_cmp_eq_u32_e32 vcc, 2, v3
	v_cndmask_b32_e32 v4, v4, v10, vcc
	v_cmp_eq_u32_e32 vcc, 3, v3
	;; [unrolled: 2-line block ×8, first 2 shown]
	v_cndmask_b32_e32 v2, v1, v2, vcc
	v_lshl_or_b32 v0, s14, 2, v0
	v_mov_b32_e32 v1, 0
	v_lshlrev_b64 v[0:1], 2, v[0:1]
	v_mov_b32_e32 v3, s3
	v_add_co_u32_e32 v0, vcc, s2, v0
	v_addc_co_u32_e32 v1, vcc, v3, v1, vcc
	global_store_dword v[0:1], v2, off
.LBB128_51:
	s_endpgm
	.section	.rodata,"a",@progbits
	.p2align	6, 0x0
	.amdhsa_kernel _ZL13mul_mat_vec_qIL9ggml_type12ELi5ELb0ELb0EEvPKvS2_PKi31ggml_cuda_mm_fusion_args_devicePfj15HIP_vector_typeIjLj3EEjjjS8_jjjS8_jjjj
		.amdhsa_group_segment_fixed_size 0
		.amdhsa_private_segment_fixed_size 0
		.amdhsa_kernarg_size 144
		.amdhsa_user_sgpr_count 6
		.amdhsa_user_sgpr_private_segment_buffer 1
		.amdhsa_user_sgpr_dispatch_ptr 0
		.amdhsa_user_sgpr_queue_ptr 0
		.amdhsa_user_sgpr_kernarg_segment_ptr 1
		.amdhsa_user_sgpr_dispatch_id 0
		.amdhsa_user_sgpr_flat_scratch_init 0
		.amdhsa_user_sgpr_private_segment_size 0
		.amdhsa_uses_dynamic_stack 0
		.amdhsa_system_sgpr_private_segment_wavefront_offset 0
		.amdhsa_system_sgpr_workgroup_id_x 1
		.amdhsa_system_sgpr_workgroup_id_y 1
		.amdhsa_system_sgpr_workgroup_id_z 1
		.amdhsa_system_sgpr_workgroup_info 0
		.amdhsa_system_vgpr_workitem_id 1
		.amdhsa_next_free_vgpr 90
		.amdhsa_next_free_sgpr 31
		.amdhsa_reserve_vcc 1
		.amdhsa_reserve_flat_scratch 0
		.amdhsa_float_round_mode_32 0
		.amdhsa_float_round_mode_16_64 0
		.amdhsa_float_denorm_mode_32 3
		.amdhsa_float_denorm_mode_16_64 3
		.amdhsa_dx10_clamp 1
		.amdhsa_ieee_mode 1
		.amdhsa_fp16_overflow 0
		.amdhsa_exception_fp_ieee_invalid_op 0
		.amdhsa_exception_fp_denorm_src 0
		.amdhsa_exception_fp_ieee_div_zero 0
		.amdhsa_exception_fp_ieee_overflow 0
		.amdhsa_exception_fp_ieee_underflow 0
		.amdhsa_exception_fp_ieee_inexact 0
		.amdhsa_exception_int_div_zero 0
	.end_amdhsa_kernel
	.section	.text._ZL13mul_mat_vec_qIL9ggml_type12ELi5ELb0ELb0EEvPKvS2_PKi31ggml_cuda_mm_fusion_args_devicePfj15HIP_vector_typeIjLj3EEjjjS8_jjjS8_jjjj,"axG",@progbits,_ZL13mul_mat_vec_qIL9ggml_type12ELi5ELb0ELb0EEvPKvS2_PKi31ggml_cuda_mm_fusion_args_devicePfj15HIP_vector_typeIjLj3EEjjjS8_jjjS8_jjjj,comdat
.Lfunc_end128:
	.size	_ZL13mul_mat_vec_qIL9ggml_type12ELi5ELb0ELb0EEvPKvS2_PKi31ggml_cuda_mm_fusion_args_devicePfj15HIP_vector_typeIjLj3EEjjjS8_jjjS8_jjjj, .Lfunc_end128-_ZL13mul_mat_vec_qIL9ggml_type12ELi5ELb0ELb0EEvPKvS2_PKi31ggml_cuda_mm_fusion_args_devicePfj15HIP_vector_typeIjLj3EEjjjS8_jjjS8_jjjj
                                        ; -- End function
	.set _ZL13mul_mat_vec_qIL9ggml_type12ELi5ELb0ELb0EEvPKvS2_PKi31ggml_cuda_mm_fusion_args_devicePfj15HIP_vector_typeIjLj3EEjjjS8_jjjS8_jjjj.num_vgpr, 90
	.set _ZL13mul_mat_vec_qIL9ggml_type12ELi5ELb0ELb0EEvPKvS2_PKi31ggml_cuda_mm_fusion_args_devicePfj15HIP_vector_typeIjLj3EEjjjS8_jjjS8_jjjj.num_agpr, 0
	.set _ZL13mul_mat_vec_qIL9ggml_type12ELi5ELb0ELb0EEvPKvS2_PKi31ggml_cuda_mm_fusion_args_devicePfj15HIP_vector_typeIjLj3EEjjjS8_jjjS8_jjjj.numbered_sgpr, 31
	.set _ZL13mul_mat_vec_qIL9ggml_type12ELi5ELb0ELb0EEvPKvS2_PKi31ggml_cuda_mm_fusion_args_devicePfj15HIP_vector_typeIjLj3EEjjjS8_jjjS8_jjjj.num_named_barrier, 0
	.set _ZL13mul_mat_vec_qIL9ggml_type12ELi5ELb0ELb0EEvPKvS2_PKi31ggml_cuda_mm_fusion_args_devicePfj15HIP_vector_typeIjLj3EEjjjS8_jjjS8_jjjj.private_seg_size, 0
	.set _ZL13mul_mat_vec_qIL9ggml_type12ELi5ELb0ELb0EEvPKvS2_PKi31ggml_cuda_mm_fusion_args_devicePfj15HIP_vector_typeIjLj3EEjjjS8_jjjS8_jjjj.uses_vcc, 1
	.set _ZL13mul_mat_vec_qIL9ggml_type12ELi5ELb0ELb0EEvPKvS2_PKi31ggml_cuda_mm_fusion_args_devicePfj15HIP_vector_typeIjLj3EEjjjS8_jjjS8_jjjj.uses_flat_scratch, 0
	.set _ZL13mul_mat_vec_qIL9ggml_type12ELi5ELb0ELb0EEvPKvS2_PKi31ggml_cuda_mm_fusion_args_devicePfj15HIP_vector_typeIjLj3EEjjjS8_jjjS8_jjjj.has_dyn_sized_stack, 0
	.set _ZL13mul_mat_vec_qIL9ggml_type12ELi5ELb0ELb0EEvPKvS2_PKi31ggml_cuda_mm_fusion_args_devicePfj15HIP_vector_typeIjLj3EEjjjS8_jjjS8_jjjj.has_recursion, 0
	.set _ZL13mul_mat_vec_qIL9ggml_type12ELi5ELb0ELb0EEvPKvS2_PKi31ggml_cuda_mm_fusion_args_devicePfj15HIP_vector_typeIjLj3EEjjjS8_jjjS8_jjjj.has_indirect_call, 0
	.section	.AMDGPU.csdata,"",@progbits
; Kernel info:
; codeLenInByte = 5452
; TotalNumSgprs: 35
; NumVgprs: 90
; ScratchSize: 0
; MemoryBound: 0
; FloatMode: 240
; IeeeMode: 1
; LDSByteSize: 0 bytes/workgroup (compile time only)
; SGPRBlocks: 4
; VGPRBlocks: 22
; NumSGPRsForWavesPerEU: 35
; NumVGPRsForWavesPerEU: 90
; Occupancy: 2
; WaveLimiterHint : 0
; COMPUTE_PGM_RSRC2:SCRATCH_EN: 0
; COMPUTE_PGM_RSRC2:USER_SGPR: 6
; COMPUTE_PGM_RSRC2:TRAP_HANDLER: 0
; COMPUTE_PGM_RSRC2:TGID_X_EN: 1
; COMPUTE_PGM_RSRC2:TGID_Y_EN: 1
; COMPUTE_PGM_RSRC2:TGID_Z_EN: 1
; COMPUTE_PGM_RSRC2:TIDIG_COMP_CNT: 1
	.section	.text._ZL13mul_mat_vec_qIL9ggml_type12ELi6ELb0ELb0EEvPKvS2_PKi31ggml_cuda_mm_fusion_args_devicePfj15HIP_vector_typeIjLj3EEjjjS8_jjjS8_jjjj,"axG",@progbits,_ZL13mul_mat_vec_qIL9ggml_type12ELi6ELb0ELb0EEvPKvS2_PKi31ggml_cuda_mm_fusion_args_devicePfj15HIP_vector_typeIjLj3EEjjjS8_jjjS8_jjjj,comdat
	.globl	_ZL13mul_mat_vec_qIL9ggml_type12ELi6ELb0ELb0EEvPKvS2_PKi31ggml_cuda_mm_fusion_args_devicePfj15HIP_vector_typeIjLj3EEjjjS8_jjjS8_jjjj ; -- Begin function _ZL13mul_mat_vec_qIL9ggml_type12ELi6ELb0ELb0EEvPKvS2_PKi31ggml_cuda_mm_fusion_args_devicePfj15HIP_vector_typeIjLj3EEjjjS8_jjjS8_jjjj
	.p2align	8
	.type	_ZL13mul_mat_vec_qIL9ggml_type12ELi6ELb0ELb0EEvPKvS2_PKi31ggml_cuda_mm_fusion_args_devicePfj15HIP_vector_typeIjLj3EEjjjS8_jjjS8_jjjj,@function
_ZL13mul_mat_vec_qIL9ggml_type12ELi6ELb0ELb0EEvPKvS2_PKi31ggml_cuda_mm_fusion_args_devicePfj15HIP_vector_typeIjLj3EEjjjS8_jjjS8_jjjj: ; @_ZL13mul_mat_vec_qIL9ggml_type12ELi6ELb0ELb0EEvPKvS2_PKi31ggml_cuda_mm_fusion_args_devicePfj15HIP_vector_typeIjLj3EEjjjS8_jjjS8_jjjj
; %bb.0:
	s_load_dword s9, s[4:5], 0x40
	s_load_dwordx4 s[12:15], s[4:5], 0x50
	s_load_dword s25, s[4:5], 0x60
	s_load_dwordx4 s[0:3], s[4:5], 0x68
	;; [unrolled: 2-line block ×3, first 2 shown]
	v_lshl_or_b32 v2, v1, 6, v0
	s_waitcnt lgkmcnt(0)
	s_lshr_b32 s9, s9, 8
	v_lshrrev_b32_e32 v24, 4, v2
	v_mov_b32_e32 v12, 0
	s_lshl_b32 s6, s6, 1
	v_cmp_gt_u32_e32 vcc, s9, v24
	v_mov_b32_e32 v13, v12
	v_mov_b32_e32 v14, v12
	;; [unrolled: 1-line block ×11, first 2 shown]
	s_and_saveexec_b64 s[10:11], vcc
	s_cbranch_execz .LBB129_48
; %bb.1:
	s_mul_hi_u32 s15, s15, s7
	s_add_i32 s15, s7, s15
	s_load_dwordx4 s[20:23], s[4:5], 0x0
	s_lshr_b32 s15, s15, s25
	s_mul_i32 s15, s15, s0
	s_mul_hi_u32 s0, s3, s8
	s_add_i32 s0, s8, s0
	s_lshr_b32 s0, s0, s24
	s_mul_i32 s3, s17, s8
	s_mul_i32 s0, s0, s16
	s_mul_hi_u32 s16, s3, 36
	s_mul_i32 s3, s3, 36
	s_waitcnt lgkmcnt(0)
	s_add_u32 s3, s22, s3
	s_mul_i32 s1, s1, s7
	s_addc_u32 s17, s23, s16
	s_mul_hi_u32 s19, s1, 36
	s_mul_i32 s1, s1, 36
	s_add_u32 s16, s3, s1
	s_addc_u32 s17, s17, s19
	s_add_i32 s19, s6, 1
	v_bfe_u32 v4, v0, 2, 2
	s_mul_i32 s3, s6, s12
	s_mul_i32 s12, s12, s19
	v_mul_hi_u32_u24_e32 v5, 0x48, v4
	v_mul_u32_u24_e32 v4, 0x48, v4
	s_movk_i32 s19, 0x120
	v_mad_u64_u32 v[4:5], s[22:23], v24, s19, v[4:5]
	v_lshlrev_b32_e32 v2, 1, v0
	v_bfe_u32 v25, v2, 3, 2
	v_and_b32_e32 v3, 30, v2
	v_lshlrev_b32_e32 v2, 1, v25
	s_add_i32 s15, s0, s15
	v_cmp_lt_u32_e64 s[0:1], 15, v3
	v_mad_u64_u32 v[2:3], s[22:23], v2, 36, s[16:17]
	v_mov_b32_e32 v6, s17
	v_add_co_u32_e32 v4, vcc, s16, v4
	v_addc_co_u32_e32 v5, vcc, v6, v5, vcc
	v_mov_b32_e32 v12, 0
	v_and_b32_e32 v27, 3, v0
	v_add_co_u32_e32 v4, vcc, 36, v4
	v_lshlrev_b32_e32 v26, 5, v25
	v_lshlrev_b32_e32 v28, 2, v27
	s_add_i32 s3, s15, s3
	s_add_i32 s12, s15, s12
	v_addc_co_u32_e32 v5, vcc, 0, v5, vcc
	s_lshl_b32 s15, s13, 1
	v_lshlrev_b32_e32 v29, 3, v24
	s_mul_i32 s19, s13, 3
	s_lshl_b32 s24, s13, 2
	s_mul_i32 s25, s13, 5
	s_mov_b64 s[16:17], 0
	s_movk_i32 s26, 0x90
	s_mov_b32 s27, 0x5040100
	s_mov_b32 s28, 0x20004
	;; [unrolled: 1-line block ×5, first 2 shown]
	v_mov_b32_e32 v13, v12
	v_mov_b32_e32 v14, v12
	;; [unrolled: 1-line block ×11, first 2 shown]
	s_branch .LBB129_3
.LBB129_2:                              ;   in Loop: Header=BB129_3 Depth=1
	s_andn2_saveexec_b64 s[22:23], s[22:23]
	s_or_b64 exec, exec, s[22:23]
	s_waitcnt vmcnt(35)
	v_and_b32_e32 v8, 0xf0f0f0f, v51
	s_waitcnt vmcnt(4)
	v_dot4_i32_i8 v6, s30, v68, 0
	v_and_b32_e32 v9, 0xf0f0f0f, v50
	v_lshrrev_b32_e32 v51, 4, v51
	v_dot4_i32_i8 v83, v8, v68, 0
	s_waitcnt vmcnt(3)
	v_dot4_i32_i8 v6, s30, v69, v6
	s_waitcnt vmcnt(2)
	v_dot4_i32_i8 v7, s30, v66, 0
	v_and_b32_e32 v51, 0xf0f0f0f, v51
	v_lshrrev_b32_e32 v50, 4, v50
	v_lshrrev_b16_e32 v81, 8, v72
	v_lshrrev_b16_e32 v82, 8, v71
	v_dot4_i32_i8 v83, v9, v69, v83
	v_and_b32_sdwa v71, s31, v71 dst_sel:DWORD dst_unused:UNUSED_PAD src0_sel:DWORD src1_sel:BYTE_0
	v_and_b32_sdwa v72, s31, v72 dst_sel:DWORD dst_unused:UNUSED_PAD src0_sel:DWORD src1_sel:BYTE_0
	s_waitcnt vmcnt(1)
	v_dot4_i32_i8 v7, s30, v67, v7
	v_and_b32_e32 v50, 0xf0f0f0f, v50
	v_mul_lo_u32 v71, v83, v71
	v_mul_lo_u32 v72, v6, v72
	v_dot4_i32_i8 v83, v51, v66, 0
	v_dot4_i32_i8 v83, v50, v67, v83
	v_mul_lo_u32 v81, v7, v81
	v_mul_lo_u32 v82, v83, v82
	v_cvt_f32_i32_e32 v72, v72
	v_cvt_f32_i32_e32 v71, v71
	;; [unrolled: 1-line block ×3, first 2 shown]
	v_cvt_f32_f16_sdwa v80, v37 dst_sel:DWORD dst_unused:UNUSED_PAD src0_sel:WORD_1
	v_cvt_f32_i32_e32 v82, v82
	v_fma_mix_f32 v72, v64, v72, 0 op_sel_hi:[1,0,0]
	v_fma_mix_f32 v71, v64, v71, 0 op_sel_hi:[1,0,0]
	s_waitcnt vmcnt(0)
	v_fma_mix_f32 v72, v65, v81, v72 op_sel_hi:[1,0,0]
	v_fma_mix_f32 v71, v65, v82, v71 op_sel_hi:[1,0,0]
	v_mul_f32_e32 v72, v72, v80
	v_fma_mix_f32 v71, v71, v37, -v72 op_sel_hi:[0,1,0]
	v_and_b32_e32 v81, 0xf0f0f0f, v55
	v_add_f32_e32 v13, v13, v71
	v_dot4_i32_i8 v71, s30, v92, 0
	v_and_b32_e32 v82, 0xf0f0f0f, v54
	v_lshrrev_b32_e32 v55, 4, v55
	v_dot4_i32_i8 v98, v81, v92, 0
	v_dot4_i32_i8 v71, s30, v93, v71
	;; [unrolled: 1-line block ×3, first 2 shown]
	v_and_b32_e32 v55, 0xf0f0f0f, v55
	v_lshrrev_b32_e32 v54, 4, v54
	v_lshrrev_b16_e32 v84, 8, v96
	v_lshrrev_b16_e32 v85, 8, v97
	v_dot4_i32_i8 v98, v82, v93, v98
	v_and_b32_sdwa v97, s31, v97 dst_sel:DWORD dst_unused:UNUSED_PAD src0_sel:DWORD src1_sel:BYTE_0
	v_and_b32_sdwa v96, s31, v96 dst_sel:DWORD dst_unused:UNUSED_PAD src0_sel:DWORD src1_sel:BYTE_0
	v_dot4_i32_i8 v72, s30, v91, v72
	v_and_b32_e32 v54, 0xf0f0f0f, v54
	v_mul_lo_u32 v97, v98, v97
	v_mul_lo_u32 v96, v71, v96
	v_dot4_i32_i8 v98, v55, v90, 0
	v_dot4_i32_i8 v98, v54, v91, v98
	v_mul_lo_u32 v84, v72, v84
	v_mul_lo_u32 v85, v98, v85
	v_cvt_f32_i32_e32 v96, v96
	v_cvt_f32_i32_e32 v97, v97
	;; [unrolled: 1-line block ×3, first 2 shown]
	v_cvt_f32_f16_sdwa v83, v10 dst_sel:DWORD dst_unused:UNUSED_PAD src0_sel:WORD_1
	v_cvt_f32_i32_e32 v85, v85
	v_fma_mix_f32 v96, v88, v96, 0 op_sel_hi:[1,0,0]
	v_fma_mix_f32 v97, v88, v97, 0 op_sel_hi:[1,0,0]
	v_fma_mix_f32 v84, v89, v84, v96 op_sel_hi:[1,0,0]
	v_dot4_i32_i8 v92, v8, v92, 0
	v_fma_mix_f32 v85, v89, v85, v97 op_sel_hi:[1,0,0]
	v_mul_f32_e32 v84, v84, v83
	v_dot4_i32_i8 v92, v9, v93, v92
	v_and_b32_sdwa v93, s31, v95 dst_sel:DWORD dst_unused:UNUSED_PAD src0_sel:DWORD src1_sel:BYTE_0
	v_fma_mix_f32 v84, v85, v10, -v84 op_sel_hi:[0,1,0]
	v_mul_lo_u32 v92, v92, v93
	v_and_b32_sdwa v93, s31, v94 dst_sel:DWORD dst_unused:UNUSED_PAD src0_sel:DWORD src1_sel:BYTE_0
	v_add_f32_e32 v14, v14, v84
	v_lshrrev_b16_e32 v84, 8, v94
	v_mul_lo_u32 v71, v71, v93
	v_dot4_i32_i8 v90, v51, v90, 0
	v_lshrrev_b16_e32 v85, 8, v95
	v_dot4_i32_i8 v90, v50, v91, v90
	v_mul_lo_u32 v72, v72, v84
	v_mul_lo_u32 v85, v90, v85
	v_cvt_f32_i32_e32 v71, v71
	v_cvt_f32_i32_e32 v84, v92
	v_cvt_f32_i32_e32 v72, v72
	v_cvt_f32_i32_e32 v85, v85
	v_fma_mix_f32 v71, v88, v71, 0 op_sel_hi:[1,0,0]
	v_fma_mix_f32 v84, v88, v84, 0 op_sel_hi:[1,0,0]
	v_fma_mix_f32 v71, v89, v72, v71 op_sel_hi:[1,0,0]
	v_fma_mix_f32 v84, v89, v85, v84 op_sel_hi:[1,0,0]
	v_mul_f32_e32 v71, v71, v80
	v_fma_mix_f32 v71, v84, v37, -v71 op_sel_hi:[0,1,0]
	v_add_f32_e32 v15, v15, v71
	v_dot4_i32_i8 v71, s30, v76, 0
	v_dot4_i32_i8 v88, v81, v76, 0
	v_dot4_i32_i8 v71, s30, v77, v71
	v_dot4_i32_i8 v72, s30, v74, 0
	v_lshrrev_b16_e32 v84, 8, v86
	v_lshrrev_b16_e32 v85, 8, v87
	v_dot4_i32_i8 v88, v82, v77, v88
	v_and_b32_sdwa v87, s31, v87 dst_sel:DWORD dst_unused:UNUSED_PAD src0_sel:DWORD src1_sel:BYTE_0
	v_and_b32_sdwa v86, s31, v86 dst_sel:DWORD dst_unused:UNUSED_PAD src0_sel:DWORD src1_sel:BYTE_0
	v_dot4_i32_i8 v72, s30, v75, v72
	v_mul_lo_u32 v87, v88, v87
	v_mul_lo_u32 v86, v71, v86
	v_dot4_i32_i8 v88, v55, v74, 0
	v_dot4_i32_i8 v88, v54, v75, v88
	v_mul_lo_u32 v84, v72, v84
	v_mul_lo_u32 v85, v88, v85
	v_cvt_f32_i32_e32 v86, v86
	v_cvt_f32_i32_e32 v87, v87
	v_cvt_f32_i32_e32 v84, v84
	v_cvt_f32_i32_e32 v85, v85
	v_fma_mix_f32 v86, v70, v86, 0 op_sel_hi:[1,0,0]
	v_fma_mix_f32 v87, v70, v87, 0 op_sel_hi:[1,0,0]
	v_fma_mix_f32 v84, v73, v84, v86 op_sel_hi:[1,0,0]
	v_dot4_i32_i8 v76, v8, v76, 0
	v_fma_mix_f32 v85, v73, v85, v87 op_sel_hi:[1,0,0]
	v_mul_f32_e32 v84, v84, v83
	v_dot4_i32_i8 v76, v9, v77, v76
	v_and_b32_sdwa v77, s31, v79 dst_sel:DWORD dst_unused:UNUSED_PAD src0_sel:DWORD src1_sel:BYTE_0
	v_fma_mix_f32 v84, v85, v10, -v84 op_sel_hi:[0,1,0]
	v_mul_lo_u32 v76, v76, v77
	v_and_b32_sdwa v77, s31, v78 dst_sel:DWORD dst_unused:UNUSED_PAD src0_sel:DWORD src1_sel:BYTE_0
	v_add_f32_e32 v16, v16, v84
	v_lshrrev_b16_e32 v84, 8, v78
	v_mul_lo_u32 v71, v71, v77
	v_dot4_i32_i8 v74, v51, v74, 0
	v_lshrrev_b16_e32 v85, 8, v79
	v_dot4_i32_i8 v74, v50, v75, v74
	v_mul_lo_u32 v72, v72, v84
	v_mul_lo_u32 v74, v74, v85
	v_cvt_f32_i32_e32 v75, v76
	v_cvt_f32_i32_e32 v71, v71
	v_cvt_f32_i32_e32 v72, v72
	v_cvt_f32_i32_e32 v74, v74
	v_fma_mix_f32 v75, v70, v75, 0 op_sel_hi:[1,0,0]
	v_fma_mix_f32 v70, v70, v71, 0 op_sel_hi:[1,0,0]
	v_fma_mix_f32 v70, v73, v72, v70 op_sel_hi:[1,0,0]
	v_fma_mix_f32 v71, v73, v74, v75 op_sel_hi:[1,0,0]
	v_mul_f32_e32 v70, v70, v80
	v_fma_mix_f32 v70, v71, v37, -v70 op_sel_hi:[0,1,0]
	v_add_f32_e32 v17, v17, v70
	v_dot4_i32_i8 v70, s30, v58, 0
	v_dot4_i32_i8 v74, v81, v58, 0
	v_dot4_i32_i8 v70, s30, v59, v70
	v_dot4_i32_i8 v71, s30, v56, 0
	v_lshrrev_b16_e32 v72, 8, v62
	v_lshrrev_b16_e32 v73, 8, v63
	v_dot4_i32_i8 v74, v82, v59, v74
	v_and_b32_sdwa v63, s31, v63 dst_sel:DWORD dst_unused:UNUSED_PAD src0_sel:DWORD src1_sel:BYTE_0
	v_and_b32_sdwa v62, s31, v62 dst_sel:DWORD dst_unused:UNUSED_PAD src0_sel:DWORD src1_sel:BYTE_0
	v_dot4_i32_i8 v71, s30, v57, v71
	v_mul_lo_u32 v63, v74, v63
	v_mul_lo_u32 v62, v70, v62
	v_dot4_i32_i8 v74, v55, v56, 0
	v_dot4_i32_i8 v74, v54, v57, v74
	v_mul_lo_u32 v72, v71, v72
	v_mul_lo_u32 v73, v74, v73
	v_cvt_f32_i32_e32 v62, v62
	v_cvt_f32_i32_e32 v63, v63
	v_cvt_f32_i32_e32 v72, v72
	;; [unrolled: 50-line block ×3, first 2 shown]
	v_cvt_f32_i32_e32 v57, v57
	v_fma_mix_f32 v48, v11, v48, 0 op_sel_hi:[1,0,0]
	v_fma_mix_f32 v49, v11, v49, 0 op_sel_hi:[1,0,0]
	;; [unrolled: 1-line block ×3, first 2 shown]
	v_dot4_i32_i8 v44, v8, v44, 0
	v_fma_mix_f32 v49, v40, v57, v49 op_sel_hi:[1,0,0]
	v_mul_f32_e32 v48, v48, v83
	v_dot4_i32_i8 v44, v9, v45, v44
	v_and_b32_sdwa v45, s31, v47 dst_sel:DWORD dst_unused:UNUSED_PAD src0_sel:DWORD src1_sel:BYTE_0
	v_fma_mix_f32 v48, v49, v10, -v48 op_sel_hi:[0,1,0]
	v_mul_lo_u32 v44, v44, v45
	v_and_b32_sdwa v45, s31, v46 dst_sel:DWORD dst_unused:UNUSED_PAD src0_sel:DWORD src1_sel:BYTE_0
	v_add_f32_e32 v20, v20, v48
	v_lshrrev_b16_e32 v48, 8, v46
	v_mul_lo_u32 v45, v52, v45
	v_dot4_i32_i8 v41, v51, v41, 0
	v_lshrrev_b16_e32 v49, 8, v47
	v_dot4_i32_i8 v41, v50, v42, v41
	v_mul_lo_u32 v42, v53, v48
	v_mul_lo_u32 v41, v41, v49
	v_cvt_f32_i32_e32 v44, v44
	v_cvt_f32_i32_e32 v45, v45
	;; [unrolled: 1-line block ×4, first 2 shown]
	v_fma_mix_f32 v44, v11, v44, 0 op_sel_hi:[1,0,0]
	v_fma_mix_f32 v11, v11, v45, 0 op_sel_hi:[1,0,0]
	;; [unrolled: 1-line block ×4, first 2 shown]
	v_mul_f32_e32 v11, v11, v80
	v_fma_mix_f32 v11, v41, v37, -v11 op_sel_hi:[0,1,0]
	v_add_f32_e32 v21, v21, v11
	v_dot4_i32_i8 v11, s30, v34, 0
	v_dot4_i32_i8 v44, v81, v34, 0
	;; [unrolled: 1-line block ×4, first 2 shown]
	v_lshrrev_b16_e32 v41, 8, v38
	v_lshrrev_b32_e32 v42, 24, v38
	v_dot4_i32_i8 v44, v82, v35, v44
	v_bfe_u32 v45, v38, 16, 8
	v_and_b32_e32 v38, 0xff, v38
	v_dot4_i32_i8 v40, s30, v33, v40
	v_mul_lo_u32 v44, v44, v45
	v_mul_lo_u32 v38, v11, v38
	v_dot4_i32_i8 v45, v55, v32, 0
	v_dot4_i32_i8 v45, v54, v33, v45
	v_mul_lo_u32 v41, v40, v41
	v_mul_lo_u32 v42, v45, v42
	v_cvt_f32_i32_e32 v38, v38
	v_cvt_f32_i32_e32 v44, v44
	;; [unrolled: 1-line block ×4, first 2 shown]
	v_fma_mix_f32 v38, v30, v38, 0 op_sel_hi:[1,0,0]
	v_fma_mix_f32 v44, v30, v44, 0 op_sel_hi:[1,0,0]
	;; [unrolled: 1-line block ×3, first 2 shown]
	v_dot4_i32_i8 v8, v8, v34, 0
	v_fma_mix_f32 v42, v31, v42, v44 op_sel_hi:[1,0,0]
	v_mul_f32_e32 v38, v38, v83
	v_dot4_i32_i8 v8, v9, v35, v8
	v_bfe_u32 v9, v36, 16, 8
	v_fma_mix_f32 v38, v42, v10, -v38 op_sel_hi:[0,1,0]
	v_mul_lo_u32 v8, v8, v9
	v_and_b32_e32 v9, 0xff, v36
	v_add_f32_e32 v22, v22, v38
	v_lshrrev_b16_e32 v38, 8, v36
	v_mul_lo_u32 v9, v11, v9
	v_dot4_i32_i8 v11, v51, v32, 0
	v_lshrrev_b32_e32 v41, 24, v36
	v_dot4_i32_i8 v11, v50, v33, v11
	v_mul_lo_u32 v32, v40, v38
	v_mul_lo_u32 v11, v11, v41
	v_cvt_f32_i32_e32 v9, v9
	v_cvt_f32_i32_e32 v8, v8
	;; [unrolled: 1-line block ×4, first 2 shown]
	v_fma_mix_f32 v9, v30, v9, 0 op_sel_hi:[1,0,0]
	v_fma_mix_f32 v8, v30, v8, 0 op_sel_hi:[1,0,0]
	;; [unrolled: 1-line block ×4, first 2 shown]
	v_mul_f32_e32 v9, v9, v80
	v_fma_mix_f32 v8, v8, v37, -v9 op_sel_hi:[0,1,0]
	v_dot4_i32_i8 v9, v81, v68, 0
	v_and_b32_sdwa v11, s31, v43 dst_sel:DWORD dst_unused:UNUSED_PAD src0_sel:DWORD src1_sel:BYTE_0
	v_add_f32_e32 v23, v23, v8
	v_lshrrev_b16_e32 v8, 8, v43
	v_dot4_i32_i8 v9, v82, v69, v9
	v_mul_lo_u32 v6, v6, v11
	v_dot4_i32_i8 v11, v55, v66, 0
	v_and_b32_sdwa v31, s31, v39 dst_sel:DWORD dst_unused:UNUSED_PAD src0_sel:DWORD src1_sel:BYTE_0
	v_dot4_i32_i8 v11, v54, v67, v11
	v_lshrrev_b16_e32 v30, 8, v39
	v_mul_lo_u32 v9, v9, v31
	v_mul_lo_u32 v7, v7, v8
	;; [unrolled: 1-line block ×3, first 2 shown]
	v_cvt_f32_i32_e32 v6, v6
	v_cvt_f32_i32_e32 v8, v9
	;; [unrolled: 1-line block ×4, first 2 shown]
	v_fma_mix_f32 v6, v64, v6, 0 op_sel_hi:[1,0,0]
	v_fma_mix_f32 v8, v64, v8, 0 op_sel_hi:[1,0,0]
	;; [unrolled: 1-line block ×3, first 2 shown]
	v_add_co_u32_e32 v4, vcc, 0x480, v4
	v_fma_mix_f32 v8, v65, v9, v8 op_sel_hi:[1,0,0]
	v_mul_f32_e32 v6, v6, v83
	v_add_u32_e32 v24, 4, v24
	v_addc_co_u32_e32 v5, vcc, 0, v5, vcc
	v_fma_mix_f32 v6, v8, v10, -v6 op_sel_hi:[0,1,0]
	v_cmp_le_u32_e32 vcc, s9, v24
	v_add_f32_e32 v12, v12, v6
	s_or_b64 s[16:17], vcc, s[16:17]
	v_add_u32_e32 v29, 32, v29
	s_andn2_b64 exec, exec, s[16:17]
	s_cbranch_execz .LBB129_47
.LBB129_3:                              ; =>This Inner Loop Header: Depth=1
	v_mov_b32_e32 v8, s20
	v_add_u32_e32 v10, s3, v24
	v_mov_b32_e32 v9, s21
	v_mad_i64_i32 v[8:9], s[22:23], v10, s26, v[8:9]
	v_add_co_u32_e32 v6, vcc, v4, v28
	v_addc_co_u32_e32 v7, vcc, 0, v5, vcc
	global_load_dword v30, v[4:5], off offset:-36
	global_load_dword v31, v[4:5], off
	global_load_dword v34, v[6:7], off offset:-32
	global_load_dword v35, v[6:7], off offset:-16
	global_load_dword v32, v[6:7], off offset:4
	global_load_dword v33, v[6:7], off offset:20
	v_add_co_u32_e32 v6, vcc, v8, v26
	v_addc_co_u32_e32 v7, vcc, 0, v9, vcc
	v_add_co_u32_e32 v6, vcc, v6, v28
	v_addc_co_u32_e32 v7, vcc, 0, v7, vcc
	global_load_dword v51, v[6:7], off offset:16
	global_load_dword v50, v[6:7], off offset:32
	v_lshlrev_b32_e32 v38, 1, v25
	v_add_co_u32_e32 v6, vcc, v8, v38
	v_addc_co_u32_e32 v7, vcc, 0, v9, vcc
                                        ; implicit-def: $vgpr36
                                        ; implicit-def: $vgpr64
                                        ; implicit-def: $vgpr65
	s_and_saveexec_b64 s[22:23], s[0:1]
	s_xor_b64 s[22:23], exec, s[22:23]
	s_cbranch_execz .LBB129_5
; %bb.4:                                ;   in Loop: Header=BB129_3 Depth=1
	global_load_ushort v10, v[6:7], off
	global_load_ushort v64, v[6:7], off offset:8
	global_load_ushort v65, v[6:7], off offset:4
	s_waitcnt vmcnt(1)
	v_perm_b32 v10, v10, v64, s27
	s_waitcnt vmcnt(0)
	v_perm_b32 v11, v64, v65, s27
	v_pk_lshrrev_b16 v11, 2, v11
	v_pk_lshrrev_b16 v10, s28, v10
	v_and_b32_e32 v11, 0xf0f3030, v11
	v_and_or_b32 v36, v10, s29, v11
.LBB129_5:                              ;   in Loop: Header=BB129_3 Depth=1
	s_andn2_saveexec_b64 s[22:23], s[22:23]
	s_cbranch_execz .LBB129_7
; %bb.6:                                ;   in Loop: Header=BB129_3 Depth=1
	global_load_ushort v65, v[6:7], off offset:4
	global_load_ushort v64, v[6:7], off offset:8
	s_waitcnt vmcnt(0)
	v_perm_b32 v10, v65, v64, s27
	v_and_b32_e32 v36, 0x3f3f3f3f, v10
.LBB129_7:                              ;   in Loop: Header=BB129_3 Depth=1
	s_or_b64 exec, exec, s[22:23]
	v_mov_b32_e32 v10, s20
	v_add_u32_e32 v37, s12, v24
	v_mov_b32_e32 v11, s21
	v_mad_i64_i32 v[10:11], s[22:23], v37, s26, v[10:11]
                                        ; implicit-def: $vgpr66
                                        ; implicit-def: $vgpr67
	v_add_co_u32_e32 v37, vcc, v10, v26
	v_addc_co_u32_e32 v40, vcc, 0, v11, vcc
	v_add_co_u32_e32 v39, vcc, v37, v28
	v_addc_co_u32_e32 v40, vcc, 0, v40, vcc
	global_load_dword v37, v[8:9], off
	global_load_dword v55, v[39:40], off offset:16
	global_load_dword v54, v[39:40], off offset:32
	v_add_co_u32_e32 v8, vcc, v10, v38
	v_addc_co_u32_e32 v9, vcc, 0, v11, vcc
                                        ; implicit-def: $vgpr38
	s_and_saveexec_b64 s[22:23], s[0:1]
	s_xor_b64 s[22:23], exec, s[22:23]
	s_cbranch_execz .LBB129_9
; %bb.8:                                ;   in Loop: Header=BB129_3 Depth=1
	global_load_ushort v38, v[8:9], off
	global_load_ushort v66, v[8:9], off offset:8
	global_load_ushort v67, v[8:9], off offset:4
	s_waitcnt vmcnt(1)
	v_perm_b32 v38, v38, v66, s27
	s_waitcnt vmcnt(0)
	v_perm_b32 v39, v66, v67, s27
	v_pk_lshrrev_b16 v39, 2, v39
	v_pk_lshrrev_b16 v38, s28, v38
	v_and_b32_e32 v39, 0xf0f3030, v39
	v_and_or_b32 v38, v38, s29, v39
.LBB129_9:                              ;   in Loop: Header=BB129_3 Depth=1
	s_andn2_saveexec_b64 s[22:23], s[22:23]
	s_cbranch_execz .LBB129_11
; %bb.10:                               ;   in Loop: Header=BB129_3 Depth=1
	global_load_ushort v67, v[8:9], off offset:4
	global_load_ushort v66, v[8:9], off offset:8
	s_waitcnt vmcnt(0)
	v_perm_b32 v38, v67, v66, s27
	v_and_b32_e32 v38, 0x3f3f3f3f, v38
.LBB129_11:                             ;   in Loop: Header=BB129_3 Depth=1
	s_or_b64 exec, exec, s[22:23]
	v_add_u32_e32 v39, s13, v29
	v_mad_u64_u32 v[46:47], s[22:23], v39, 36, v[2:3]
	v_lshlrev_b32_e32 v68, 2, v27
	global_load_dword v10, v[10:11], off
	v_add_co_u32_e32 v48, vcc, v46, v68
	v_addc_co_u32_e32 v49, vcc, 0, v47, vcc
	global_load_dword v11, v[46:47], off
	global_load_dword v44, v[48:49], off offset:4
	global_load_dword v45, v[48:49], off offset:20
	global_load_dword v41, v[48:49], off offset:40
	global_load_dword v42, v[48:49], off offset:56
	global_load_dword v40, v[46:47], off offset:36
	v_lshrrev_b16_e32 v39, 4, v64
	v_lshrrev_b16_e32 v43, 2, v65
	v_and_b32_e32 v80, 0xf0f, v64
	v_and_b32_e32 v81, 0xf0f, v39
	v_and_b32_e32 v82, 0x3030, v43
                                        ; implicit-def: $vgpr47
                                        ; implicit-def: $vgpr46
	s_and_saveexec_b64 s[22:23], s[0:1]
	s_xor_b64 s[22:23], exec, s[22:23]
	s_cbranch_execz .LBB129_13
; %bb.12:                               ;   in Loop: Header=BB129_3 Depth=1
	global_load_ushort v39, v[6:7], off
	v_or_b32_e32 v46, v82, v81
	s_waitcnt vmcnt(0)
	v_lshrrev_b16_e32 v39, 2, v39
	v_and_b32_e32 v39, 0x3030, v39
	v_or_b32_e32 v47, v39, v80
.LBB129_13:                             ;   in Loop: Header=BB129_3 Depth=1
	s_or_saveexec_b64 s[22:23], s[22:23]
	v_and_b32_e32 v71, 0x3f3f, v65
	v_and_b32_e32 v72, 0x3f3f, v64
	s_xor_b64 exec, exec, s[22:23]
; %bb.14:                               ;   in Loop: Header=BB129_3 Depth=1
	v_and_b32_e32 v47, 0x3f3f, v65
	v_and_b32_e32 v46, 0x3f3f, v64
; %bb.15:                               ;   in Loop: Header=BB129_3 Depth=1
	s_or_b64 exec, exec, s[22:23]
	v_lshrrev_b16_e32 v39, 4, v66
	v_lshrrev_b16_e32 v43, 2, v67
	v_and_b32_e32 v83, 0xf0f, v66
	v_and_b32_e32 v84, 0xf0f, v39
	;; [unrolled: 1-line block ×3, first 2 shown]
                                        ; implicit-def: $vgpr49
                                        ; implicit-def: $vgpr48
	s_and_saveexec_b64 s[22:23], s[0:1]
	s_xor_b64 s[22:23], exec, s[22:23]
	s_cbranch_execz .LBB129_17
; %bb.16:                               ;   in Loop: Header=BB129_3 Depth=1
	global_load_ushort v39, v[8:9], off
	v_or_b32_e32 v48, v85, v84
	s_waitcnt vmcnt(0)
	v_lshrrev_b16_e32 v39, 2, v39
	v_and_b32_e32 v39, 0x3030, v39
	v_or_b32_e32 v49, v39, v83
.LBB129_17:                             ;   in Loop: Header=BB129_3 Depth=1
	s_or_saveexec_b64 s[22:23], s[22:23]
	v_and_b32_e32 v39, 0x3f3f, v67
	v_and_b32_e32 v43, 0x3f3f, v66
	s_xor_b64 exec, exec, s[22:23]
; %bb.18:                               ;   in Loop: Header=BB129_3 Depth=1
	v_and_b32_e32 v49, 0x3f3f, v67
	v_and_b32_e32 v48, 0x3f3f, v66
; %bb.19:                               ;   in Loop: Header=BB129_3 Depth=1
	s_or_b64 exec, exec, s[22:23]
	v_add_u32_e32 v52, s15, v29
	v_mad_u64_u32 v[60:61], s[22:23], v52, 36, v[2:3]
	v_add_co_u32_e32 v62, vcc, v60, v68
	v_addc_co_u32_e32 v63, vcc, 0, v61, vcc
	global_load_dword v52, v[60:61], off
	global_load_dword v58, v[62:63], off offset:4
	global_load_dword v59, v[62:63], off offset:20
	global_load_dword v56, v[62:63], off offset:40
	global_load_dword v57, v[62:63], off offset:56
	global_load_dword v53, v[60:61], off offset:36
                                        ; implicit-def: $vgpr61
                                        ; implicit-def: $vgpr60
	s_and_saveexec_b64 s[22:23], s[0:1]
	s_xor_b64 s[22:23], exec, s[22:23]
	s_cbranch_execz .LBB129_21
; %bb.20:                               ;   in Loop: Header=BB129_3 Depth=1
	global_load_ushort v60, v[6:7], off
	s_waitcnt vmcnt(0)
	v_lshrrev_b16_e32 v60, 2, v60
	v_and_b32_e32 v60, 0x3030, v60
	v_or_b32_e32 v61, v60, v80
	v_or_b32_e32 v60, v82, v81
	s_andn2_saveexec_b64 s[22:23], s[22:23]
	s_branch .LBB129_22
.LBB129_21:                             ;   in Loop: Header=BB129_3 Depth=1
	s_andn2_saveexec_b64 s[22:23], s[22:23]
.LBB129_22:                             ;   in Loop: Header=BB129_3 Depth=1
	v_and_b32_e32 v61, 0x3f3f, v65
	v_and_b32_e32 v60, 0x3f3f, v64
; %bb.23:                               ;   in Loop: Header=BB129_3 Depth=1
	s_or_b64 exec, exec, s[22:23]
                                        ; implicit-def: $vgpr63
                                        ; implicit-def: $vgpr62
	s_and_saveexec_b64 s[22:23], s[0:1]
	s_xor_b64 s[22:23], exec, s[22:23]
	s_cbranch_execz .LBB129_25
; %bb.24:                               ;   in Loop: Header=BB129_3 Depth=1
	global_load_ushort v62, v[8:9], off
	s_waitcnt vmcnt(0)
	v_lshrrev_b16_e32 v62, 2, v62
	v_and_b32_e32 v62, 0x3030, v62
	v_or_b32_e32 v63, v62, v83
	v_or_b32_e32 v62, v85, v84
	s_andn2_saveexec_b64 s[22:23], s[22:23]
	s_cbranch_execnz .LBB129_26
	s_branch .LBB129_27
.LBB129_25:                             ;   in Loop: Header=BB129_3 Depth=1
	s_andn2_saveexec_b64 s[22:23], s[22:23]
.LBB129_26:                             ;   in Loop: Header=BB129_3 Depth=1
	v_and_b32_e32 v63, 0x3f3f, v67
	v_and_b32_e32 v62, 0x3f3f, v66
.LBB129_27:                             ;   in Loop: Header=BB129_3 Depth=1
	s_or_b64 exec, exec, s[22:23]
	v_add_u32_e32 v69, s19, v29
	v_mad_u64_u32 v[78:79], s[22:23], v69, 36, v[2:3]
	v_add_co_u32_e32 v86, vcc, v78, v68
	v_addc_co_u32_e32 v87, vcc, 0, v79, vcc
	global_load_dword v70, v[78:79], off
	global_load_dword v76, v[86:87], off offset:4
	global_load_dword v77, v[86:87], off offset:20
	;; [unrolled: 1-line block ×5, first 2 shown]
                                        ; implicit-def: $vgpr79
                                        ; implicit-def: $vgpr78
	s_and_saveexec_b64 s[22:23], s[0:1]
	s_xor_b64 s[22:23], exec, s[22:23]
	s_cbranch_execz .LBB129_29
; %bb.28:                               ;   in Loop: Header=BB129_3 Depth=1
	global_load_ushort v69, v[6:7], off
	v_or_b32_e32 v78, v82, v81
	s_waitcnt vmcnt(0)
	v_lshrrev_b16_e32 v69, 2, v69
	v_and_b32_e32 v69, 0x3030, v69
	v_or_b32_e32 v79, v69, v80
	s_andn2_saveexec_b64 s[22:23], s[22:23]
	s_branch .LBB129_30
.LBB129_29:                             ;   in Loop: Header=BB129_3 Depth=1
	s_andn2_saveexec_b64 s[22:23], s[22:23]
.LBB129_30:                             ;   in Loop: Header=BB129_3 Depth=1
	v_and_b32_e32 v79, 0x3f3f, v65
	v_and_b32_e32 v78, 0x3f3f, v64
; %bb.31:                               ;   in Loop: Header=BB129_3 Depth=1
	s_or_b64 exec, exec, s[22:23]
                                        ; implicit-def: $vgpr87
                                        ; implicit-def: $vgpr86
	s_and_saveexec_b64 s[22:23], s[0:1]
	s_xor_b64 s[22:23], exec, s[22:23]
	s_cbranch_execz .LBB129_33
; %bb.32:                               ;   in Loop: Header=BB129_3 Depth=1
	global_load_ushort v69, v[8:9], off
	v_or_b32_e32 v86, v85, v84
	s_waitcnt vmcnt(0)
	v_lshrrev_b16_e32 v69, 2, v69
	v_and_b32_e32 v69, 0x3030, v69
	v_or_b32_e32 v87, v69, v83
	s_andn2_saveexec_b64 s[22:23], s[22:23]
	s_cbranch_execnz .LBB129_34
	s_branch .LBB129_35
.LBB129_33:                             ;   in Loop: Header=BB129_3 Depth=1
	s_andn2_saveexec_b64 s[22:23], s[22:23]
.LBB129_34:                             ;   in Loop: Header=BB129_3 Depth=1
	v_and_b32_e32 v87, 0x3f3f, v67
	v_and_b32_e32 v86, 0x3f3f, v66
.LBB129_35:                             ;   in Loop: Header=BB129_3 Depth=1
	s_or_b64 exec, exec, s[22:23]
	v_add_u32_e32 v69, s24, v29
	v_mad_u64_u32 v[94:95], s[22:23], v69, 36, v[2:3]
	v_add_co_u32_e32 v96, vcc, v94, v68
	v_addc_co_u32_e32 v97, vcc, 0, v95, vcc
	global_load_dword v88, v[94:95], off
	global_load_dword v92, v[96:97], off offset:4
	global_load_dword v93, v[96:97], off offset:20
	;; [unrolled: 1-line block ×5, first 2 shown]
                                        ; implicit-def: $vgpr95
                                        ; implicit-def: $vgpr94
	s_and_saveexec_b64 s[22:23], s[0:1]
	s_xor_b64 s[22:23], exec, s[22:23]
	s_cbranch_execz .LBB129_37
; %bb.36:                               ;   in Loop: Header=BB129_3 Depth=1
	global_load_ushort v64, v[6:7], off
	v_or_b32_e32 v94, v82, v81
                                        ; implicit-def: $vgpr65
	s_waitcnt vmcnt(0)
	v_lshrrev_b16_e32 v64, 2, v64
	v_and_b32_e32 v64, 0x3030, v64
	v_or_b32_e32 v95, v64, v80
                                        ; implicit-def: $vgpr64
	s_andn2_saveexec_b64 s[22:23], s[22:23]
	s_branch .LBB129_38
.LBB129_37:                             ;   in Loop: Header=BB129_3 Depth=1
	s_andn2_saveexec_b64 s[22:23], s[22:23]
.LBB129_38:                             ;   in Loop: Header=BB129_3 Depth=1
	v_and_b32_e32 v95, 0x3f3f, v65
	v_and_b32_e32 v94, 0x3f3f, v64
; %bb.39:                               ;   in Loop: Header=BB129_3 Depth=1
	s_or_b64 exec, exec, s[22:23]
                                        ; implicit-def: $vgpr97
                                        ; implicit-def: $vgpr96
	s_and_saveexec_b64 s[22:23], s[0:1]
	s_xor_b64 s[22:23], exec, s[22:23]
	s_cbranch_execz .LBB129_41
; %bb.40:                               ;   in Loop: Header=BB129_3 Depth=1
	global_load_ushort v64, v[8:9], off
	v_or_b32_e32 v96, v85, v84
                                        ; implicit-def: $vgpr67
                                        ; implicit-def: $vgpr66
	s_waitcnt vmcnt(0)
	v_lshrrev_b16_e32 v64, 2, v64
	v_and_b32_e32 v64, 0x3030, v64
	v_or_b32_e32 v97, v64, v83
	s_andn2_saveexec_b64 s[22:23], s[22:23]
	s_cbranch_execnz .LBB129_42
	s_branch .LBB129_43
.LBB129_41:                             ;   in Loop: Header=BB129_3 Depth=1
	s_andn2_saveexec_b64 s[22:23], s[22:23]
.LBB129_42:                             ;   in Loop: Header=BB129_3 Depth=1
	v_and_b32_e32 v97, 0x3f3f, v67
	v_and_b32_e32 v96, 0x3f3f, v66
.LBB129_43:                             ;   in Loop: Header=BB129_3 Depth=1
	s_or_b64 exec, exec, s[22:23]
	v_add_u32_e32 v64, s25, v29
	v_mad_u64_u32 v[98:99], s[22:23], v64, 36, v[2:3]
	v_add_co_u32_e32 v100, vcc, v98, v68
	v_addc_co_u32_e32 v101, vcc, 0, v99, vcc
	global_load_dword v64, v[98:99], off
	global_load_dword v68, v[100:101], off offset:4
	global_load_dword v69, v[100:101], off offset:20
	;; [unrolled: 1-line block ×5, first 2 shown]
	s_and_saveexec_b64 s[22:23], s[0:1]
	s_xor_b64 s[22:23], exec, s[22:23]
	s_cbranch_execz .LBB129_45
; %bb.44:                               ;   in Loop: Header=BB129_3 Depth=1
	global_load_ushort v6, v[6:7], off
	v_or_b32_e32 v72, v82, v81
	s_waitcnt vmcnt(0)
	v_lshrrev_b16_e32 v6, 2, v6
	v_and_b32_e32 v6, 0x3030, v6
	v_or_b32_e32 v71, v6, v80
.LBB129_45:                             ;   in Loop: Header=BB129_3 Depth=1
	s_andn2_saveexec_b64 s[22:23], s[22:23]
	s_or_b64 exec, exec, s[22:23]
	s_and_saveexec_b64 s[22:23], s[0:1]
	s_xor_b64 s[22:23], exec, s[22:23]
	s_cbranch_execz .LBB129_2
; %bb.46:                               ;   in Loop: Header=BB129_3 Depth=1
	global_load_ushort v6, v[8:9], off
	v_or_b32_e32 v43, v85, v84
	s_waitcnt vmcnt(0)
	v_lshrrev_b16_e32 v6, 2, v6
	v_and_b32_e32 v6, 0x3030, v6
	v_or_b32_e32 v39, v6, v83
	s_branch .LBB129_2
.LBB129_47:
	s_or_b64 exec, exec, s[16:17]
.LBB129_48:
	s_or_b64 exec, exec, s[10:11]
	s_mov_b32 s1, 0
	v_cmp_eq_u32_e32 vcc, 0, v1
	; wave barrier
	s_and_saveexec_b64 s[10:11], vcc
	s_cbranch_execz .LBB129_61
; %bb.49:
	v_mbcnt_lo_u32_b32 v1, -1, 0
	v_mbcnt_hi_u32_b32 v6, -1, v1
	v_and_b32_e32 v1, 64, v6
	v_add_u32_e32 v7, 64, v1
	v_xor_b32_e32 v1, 32, v6
	v_cmp_lt_i32_e32 vcc, v1, v7
	v_cndmask_b32_e32 v1, v6, v1, vcc
	v_lshlrev_b32_e32 v1, 2, v1
	ds_bpermute_b32 v5, v1, v23
	ds_bpermute_b32 v8, v1, v22
	v_xor_b32_e32 v2, 16, v6
	v_cmp_lt_i32_e32 vcc, v2, v7
	v_cndmask_b32_e32 v2, v6, v2, vcc
	v_lshlrev_b32_e32 v2, 2, v2
	s_waitcnt lgkmcnt(1)
	v_add_f32_e32 v5, v23, v5
	s_waitcnt lgkmcnt(0)
	v_add_f32_e32 v8, v22, v8
	ds_bpermute_b32 v10, v2, v5
	ds_bpermute_b32 v11, v2, v8
	v_xor_b32_e32 v3, 8, v6
	v_cmp_lt_i32_e32 vcc, v3, v7
	v_cndmask_b32_e32 v3, v6, v3, vcc
	v_lshlrev_b32_e32 v3, 2, v3
	s_waitcnt lgkmcnt(1)
	v_add_f32_e32 v10, v5, v10
	s_waitcnt lgkmcnt(0)
	v_add_f32_e32 v8, v8, v11
	;; [unrolled: 10-line block ×3, first 2 shown]
	ds_bpermute_b32 v22, v4, v10
	ds_bpermute_b32 v11, v4, v8
	v_xor_b32_e32 v9, 2, v6
	v_cmp_lt_i32_e32 vcc, v9, v7
	v_cndmask_b32_e32 v9, v6, v9, vcc
	v_lshlrev_b32_e32 v5, 2, v9
	v_xor_b32_e32 v9, 1, v6
	v_cmp_lt_i32_e32 vcc, v9, v7
	s_waitcnt lgkmcnt(1)
	v_add_f32_e32 v7, v10, v22
	s_waitcnt lgkmcnt(0)
	v_add_f32_e32 v10, v8, v11
	v_cndmask_b32_e32 v6, v6, v9, vcc
	ds_bpermute_b32 v9, v5, v7
	ds_bpermute_b32 v11, v5, v10
	s_load_dwordx2 s[4:5], s[4:5], 0x38
	s_mul_i32 s2, s2, s7
	v_lshlrev_b32_e32 v8, 2, v6
	s_waitcnt lgkmcnt(0)
	v_add_f32_e32 v6, v7, v9
	v_add_f32_e32 v9, v10, v11
	s_mul_i32 s0, s18, s8
	s_add_i32 s2, s2, s6
	ds_bpermute_b32 v7, v8, v6
	ds_bpermute_b32 v10, v8, v9
	s_add_i32 s0, s2, s0
	s_lshl_b64 s[0:1], s[0:1], 2
	s_add_u32 s2, s4, s0
	v_add_u32_e32 v11, s6, v0
	s_addc_u32 s3, s5, s1
	v_cmp_gt_u32_e32 vcc, 2, v0
	v_cmp_gt_u32_e64 s[0:1], s14, v11
	s_and_b64 s[0:1], vcc, s[0:1]
	s_waitcnt lgkmcnt(1)
	v_add_f32_e32 v6, v6, v7
	s_waitcnt lgkmcnt(0)
	v_add_f32_e32 v7, v9, v10
	s_and_saveexec_b64 s[4:5], s[0:1]
	s_cbranch_execz .LBB129_51
; %bb.50:
	v_cmp_eq_u32_e32 vcc, 1, v0
	v_cndmask_b32_e32 v9, v6, v7, vcc
	v_cmp_eq_u32_e32 vcc, 2, v0
	v_cndmask_b32_e32 v9, v9, v21, vcc
	v_cmp_eq_u32_e32 vcc, 3, v0
	v_cndmask_b32_e32 v9, v9, v20, vcc
	v_cmp_eq_u32_e32 vcc, 4, v0
	v_cndmask_b32_e32 v9, v9, v19, vcc
	v_cmp_eq_u32_e32 vcc, 5, v0
	v_cndmask_b32_e32 v9, v9, v18, vcc
	v_cmp_eq_u32_e32 vcc, 6, v0
	v_cndmask_b32_e32 v9, v9, v17, vcc
	v_cmp_eq_u32_e32 vcc, 7, v0
	v_cndmask_b32_e32 v9, v9, v16, vcc
	v_cmp_eq_u32_e32 vcc, 8, v0
	v_cndmask_b32_e32 v9, v9, v15, vcc
	v_cmp_eq_u32_e32 vcc, 9, v0
	v_cndmask_b32_e32 v9, v9, v14, vcc
	v_cmp_eq_u32_e32 vcc, 10, v0
	v_cndmask_b32_e32 v9, v9, v13, vcc
	v_cmp_eq_u32_e32 vcc, 11, v0
	v_cndmask_b32_e32 v9, v9, v12, vcc
	v_lshlrev_b32_e32 v10, 2, v0
	global_store_dword v10, v9, s[2:3]
.LBB129_51:
	s_or_b64 exec, exec, s[4:5]
	ds_bpermute_b32 v9, v1, v21
	ds_bpermute_b32 v10, v1, v20
	s_waitcnt lgkmcnt(1)
	v_add_f32_e32 v9, v21, v9
	s_waitcnt lgkmcnt(0)
	v_add_f32_e32 v10, v20, v10
	ds_bpermute_b32 v11, v2, v9
	ds_bpermute_b32 v20, v2, v10
	s_waitcnt lgkmcnt(1)
	v_add_f32_e32 v9, v9, v11
	s_waitcnt lgkmcnt(0)
	v_add_f32_e32 v10, v10, v20
	;; [unrolled: 6-line block ×6, first 2 shown]
	s_and_saveexec_b64 s[4:5], s[0:1]
	s_cbranch_execz .LBB129_53
; %bb.52:
	v_add_u32_e32 v11, 2, v0
	v_cmp_eq_u32_e32 vcc, 1, v11
	v_cndmask_b32_e32 v20, v6, v7, vcc
	v_cmp_eq_u32_e32 vcc, 2, v11
	v_cndmask_b32_e32 v20, v20, v10, vcc
	;; [unrolled: 2-line block ×11, first 2 shown]
	v_add_u32_e32 v20, s14, v0
	v_mov_b32_e32 v21, 0
	v_lshlrev_b64 v[20:21], 2, v[20:21]
	v_mov_b32_e32 v22, s3
	v_add_co_u32_e32 v20, vcc, s2, v20
	v_addc_co_u32_e32 v21, vcc, v22, v21, vcc
	global_store_dword v[20:21], v11, off
.LBB129_53:
	s_or_b64 exec, exec, s[4:5]
	ds_bpermute_b32 v11, v1, v19
	ds_bpermute_b32 v20, v1, v18
	s_waitcnt lgkmcnt(1)
	v_add_f32_e32 v11, v19, v11
	s_waitcnt lgkmcnt(0)
	v_add_f32_e32 v18, v18, v20
	ds_bpermute_b32 v19, v2, v11
	ds_bpermute_b32 v20, v2, v18
	s_waitcnt lgkmcnt(1)
	v_add_f32_e32 v11, v11, v19
	s_waitcnt lgkmcnt(0)
	v_add_f32_e32 v18, v18, v20
	;; [unrolled: 6-line block ×6, first 2 shown]
	s_and_saveexec_b64 s[4:5], s[0:1]
	s_cbranch_execz .LBB129_55
; %bb.54:
	v_add_u32_e32 v19, 4, v0
	v_cmp_eq_u32_e32 vcc, 1, v19
	v_cndmask_b32_e32 v20, v6, v7, vcc
	v_cmp_eq_u32_e32 vcc, 2, v19
	v_cndmask_b32_e32 v20, v20, v10, vcc
	;; [unrolled: 2-line block ×11, first 2 shown]
	v_lshl_or_b32 v19, s14, 1, v0
	v_mov_b32_e32 v20, 0
	v_lshlrev_b64 v[19:20], 2, v[19:20]
	v_mov_b32_e32 v22, s3
	v_add_co_u32_e32 v19, vcc, s2, v19
	v_addc_co_u32_e32 v20, vcc, v22, v20, vcc
	global_store_dword v[19:20], v21, off
.LBB129_55:
	s_or_b64 exec, exec, s[4:5]
	ds_bpermute_b32 v19, v1, v17
	ds_bpermute_b32 v20, v1, v16
	s_waitcnt lgkmcnt(1)
	v_add_f32_e32 v17, v17, v19
	s_waitcnt lgkmcnt(0)
	v_add_f32_e32 v16, v16, v20
	ds_bpermute_b32 v19, v2, v17
	ds_bpermute_b32 v20, v2, v16
	s_waitcnt lgkmcnt(1)
	v_add_f32_e32 v17, v17, v19
	s_waitcnt lgkmcnt(0)
	v_add_f32_e32 v16, v16, v20
	;; [unrolled: 6-line block ×6, first 2 shown]
	s_and_saveexec_b64 s[4:5], s[0:1]
	s_cbranch_execz .LBB129_57
; %bb.56:
	v_add_u32_e32 v21, 6, v0
	v_cmp_eq_u32_e32 vcc, 1, v21
	v_cndmask_b32_e32 v19, v6, v7, vcc
	v_cmp_eq_u32_e32 vcc, 2, v21
	v_cndmask_b32_e32 v19, v19, v10, vcc
	;; [unrolled: 2-line block ×10, first 2 shown]
	v_mad_u64_u32 v[19:20], s[6:7], s14, 3, v[0:1]
	v_mov_b32_e32 v20, 0
	v_cmp_eq_u32_e32 vcc, 11, v21
	v_lshlrev_b64 v[19:20], 2, v[19:20]
	v_cndmask_b32_e32 v21, v22, v12, vcc
	v_mov_b32_e32 v22, s3
	v_add_co_u32_e32 v19, vcc, s2, v19
	v_addc_co_u32_e32 v20, vcc, v22, v20, vcc
	global_store_dword v[19:20], v21, off
.LBB129_57:
	s_or_b64 exec, exec, s[4:5]
	ds_bpermute_b32 v19, v1, v15
	ds_bpermute_b32 v20, v1, v14
	s_waitcnt lgkmcnt(1)
	v_add_f32_e32 v15, v15, v19
	s_waitcnt lgkmcnt(0)
	v_add_f32_e32 v14, v14, v20
	ds_bpermute_b32 v19, v2, v15
	ds_bpermute_b32 v20, v2, v14
	s_waitcnt lgkmcnt(1)
	v_add_f32_e32 v15, v15, v19
	s_waitcnt lgkmcnt(0)
	v_add_f32_e32 v14, v14, v20
	;; [unrolled: 6-line block ×6, first 2 shown]
	s_and_saveexec_b64 s[4:5], s[0:1]
	s_cbranch_execz .LBB129_59
; %bb.58:
	v_add_u32_e32 v19, 8, v0
	v_cmp_eq_u32_e32 vcc, 1, v19
	v_cndmask_b32_e32 v20, v6, v7, vcc
	v_cmp_eq_u32_e32 vcc, 2, v19
	v_cndmask_b32_e32 v20, v20, v10, vcc
	;; [unrolled: 2-line block ×11, first 2 shown]
	v_lshl_or_b32 v19, s14, 2, v0
	v_mov_b32_e32 v20, 0
	v_lshlrev_b64 v[19:20], 2, v[19:20]
	v_mov_b32_e32 v22, s3
	v_add_co_u32_e32 v19, vcc, s2, v19
	v_addc_co_u32_e32 v20, vcc, v22, v20, vcc
	global_store_dword v[19:20], v21, off
.LBB129_59:
	s_or_b64 exec, exec, s[4:5]
	ds_bpermute_b32 v19, v1, v13
	ds_bpermute_b32 v1, v1, v12
	s_waitcnt lgkmcnt(1)
	v_add_f32_e32 v13, v13, v19
	s_waitcnt lgkmcnt(0)
	v_add_f32_e32 v1, v12, v1
	ds_bpermute_b32 v12, v2, v13
	ds_bpermute_b32 v2, v2, v1
	s_waitcnt lgkmcnt(1)
	v_add_f32_e32 v12, v13, v12
	s_waitcnt lgkmcnt(0)
	v_add_f32_e32 v1, v1, v2
	;; [unrolled: 6-line block ×5, first 2 shown]
	ds_bpermute_b32 v3, v8, v1
	ds_bpermute_b32 v4, v8, v2
	s_and_b64 exec, exec, s[0:1]
	s_cbranch_execz .LBB129_61
; %bb.60:
	s_waitcnt lgkmcnt(1)
	v_add_f32_e32 v1, v1, v3
	v_add_u32_e32 v3, 10, v0
	v_cmp_eq_u32_e32 vcc, 1, v3
	s_waitcnt lgkmcnt(0)
	v_add_f32_e32 v2, v2, v4
	v_cndmask_b32_e32 v4, v6, v7, vcc
	v_cmp_eq_u32_e32 vcc, 2, v3
	v_cndmask_b32_e32 v4, v4, v10, vcc
	v_cmp_eq_u32_e32 vcc, 3, v3
	v_cndmask_b32_e32 v4, v4, v9, vcc
	v_cmp_eq_u32_e32 vcc, 4, v3
	v_cndmask_b32_e32 v4, v4, v18, vcc
	v_cmp_eq_u32_e32 vcc, 5, v3
	v_cndmask_b32_e32 v4, v4, v11, vcc
	v_cmp_eq_u32_e32 vcc, 6, v3
	v_cndmask_b32_e32 v4, v4, v17, vcc
	v_cmp_eq_u32_e32 vcc, 7, v3
	v_cndmask_b32_e32 v4, v4, v16, vcc
	v_cmp_eq_u32_e32 vcc, 8, v3
	v_cndmask_b32_e32 v4, v4, v15, vcc
	v_cmp_eq_u32_e32 vcc, 9, v3
	v_cndmask_b32_e32 v4, v4, v14, vcc
	v_cmp_eq_u32_e32 vcc, 10, v3
	v_cndmask_b32_e32 v4, v4, v1, vcc
	v_mad_u64_u32 v[0:1], s[0:1], s14, 5, v[0:1]
	v_mov_b32_e32 v1, 0
	v_cmp_eq_u32_e32 vcc, 11, v3
	v_lshlrev_b64 v[0:1], 2, v[0:1]
	v_cndmask_b32_e32 v2, v4, v2, vcc
	v_mov_b32_e32 v3, s3
	v_add_co_u32_e32 v0, vcc, s2, v0
	v_addc_co_u32_e32 v1, vcc, v3, v1, vcc
	global_store_dword v[0:1], v2, off
.LBB129_61:
	s_endpgm
	.section	.rodata,"a",@progbits
	.p2align	6, 0x0
	.amdhsa_kernel _ZL13mul_mat_vec_qIL9ggml_type12ELi6ELb0ELb0EEvPKvS2_PKi31ggml_cuda_mm_fusion_args_devicePfj15HIP_vector_typeIjLj3EEjjjS8_jjjS8_jjjj
		.amdhsa_group_segment_fixed_size 0
		.amdhsa_private_segment_fixed_size 0
		.amdhsa_kernarg_size 144
		.amdhsa_user_sgpr_count 6
		.amdhsa_user_sgpr_private_segment_buffer 1
		.amdhsa_user_sgpr_dispatch_ptr 0
		.amdhsa_user_sgpr_queue_ptr 0
		.amdhsa_user_sgpr_kernarg_segment_ptr 1
		.amdhsa_user_sgpr_dispatch_id 0
		.amdhsa_user_sgpr_flat_scratch_init 0
		.amdhsa_user_sgpr_private_segment_size 0
		.amdhsa_uses_dynamic_stack 0
		.amdhsa_system_sgpr_private_segment_wavefront_offset 0
		.amdhsa_system_sgpr_workgroup_id_x 1
		.amdhsa_system_sgpr_workgroup_id_y 1
		.amdhsa_system_sgpr_workgroup_id_z 1
		.amdhsa_system_sgpr_workgroup_info 0
		.amdhsa_system_vgpr_workitem_id 1
		.amdhsa_next_free_vgpr 102
		.amdhsa_next_free_sgpr 32
		.amdhsa_reserve_vcc 1
		.amdhsa_reserve_flat_scratch 0
		.amdhsa_float_round_mode_32 0
		.amdhsa_float_round_mode_16_64 0
		.amdhsa_float_denorm_mode_32 3
		.amdhsa_float_denorm_mode_16_64 3
		.amdhsa_dx10_clamp 1
		.amdhsa_ieee_mode 1
		.amdhsa_fp16_overflow 0
		.amdhsa_exception_fp_ieee_invalid_op 0
		.amdhsa_exception_fp_denorm_src 0
		.amdhsa_exception_fp_ieee_div_zero 0
		.amdhsa_exception_fp_ieee_overflow 0
		.amdhsa_exception_fp_ieee_underflow 0
		.amdhsa_exception_fp_ieee_inexact 0
		.amdhsa_exception_int_div_zero 0
	.end_amdhsa_kernel
	.section	.text._ZL13mul_mat_vec_qIL9ggml_type12ELi6ELb0ELb0EEvPKvS2_PKi31ggml_cuda_mm_fusion_args_devicePfj15HIP_vector_typeIjLj3EEjjjS8_jjjS8_jjjj,"axG",@progbits,_ZL13mul_mat_vec_qIL9ggml_type12ELi6ELb0ELb0EEvPKvS2_PKi31ggml_cuda_mm_fusion_args_devicePfj15HIP_vector_typeIjLj3EEjjjS8_jjjS8_jjjj,comdat
.Lfunc_end129:
	.size	_ZL13mul_mat_vec_qIL9ggml_type12ELi6ELb0ELb0EEvPKvS2_PKi31ggml_cuda_mm_fusion_args_devicePfj15HIP_vector_typeIjLj3EEjjjS8_jjjS8_jjjj, .Lfunc_end129-_ZL13mul_mat_vec_qIL9ggml_type12ELi6ELb0ELb0EEvPKvS2_PKi31ggml_cuda_mm_fusion_args_devicePfj15HIP_vector_typeIjLj3EEjjjS8_jjjS8_jjjj
                                        ; -- End function
	.set _ZL13mul_mat_vec_qIL9ggml_type12ELi6ELb0ELb0EEvPKvS2_PKi31ggml_cuda_mm_fusion_args_devicePfj15HIP_vector_typeIjLj3EEjjjS8_jjjS8_jjjj.num_vgpr, 102
	.set _ZL13mul_mat_vec_qIL9ggml_type12ELi6ELb0ELb0EEvPKvS2_PKi31ggml_cuda_mm_fusion_args_devicePfj15HIP_vector_typeIjLj3EEjjjS8_jjjS8_jjjj.num_agpr, 0
	.set _ZL13mul_mat_vec_qIL9ggml_type12ELi6ELb0ELb0EEvPKvS2_PKi31ggml_cuda_mm_fusion_args_devicePfj15HIP_vector_typeIjLj3EEjjjS8_jjjS8_jjjj.numbered_sgpr, 32
	.set _ZL13mul_mat_vec_qIL9ggml_type12ELi6ELb0ELb0EEvPKvS2_PKi31ggml_cuda_mm_fusion_args_devicePfj15HIP_vector_typeIjLj3EEjjjS8_jjjS8_jjjj.num_named_barrier, 0
	.set _ZL13mul_mat_vec_qIL9ggml_type12ELi6ELb0ELb0EEvPKvS2_PKi31ggml_cuda_mm_fusion_args_devicePfj15HIP_vector_typeIjLj3EEjjjS8_jjjS8_jjjj.private_seg_size, 0
	.set _ZL13mul_mat_vec_qIL9ggml_type12ELi6ELb0ELb0EEvPKvS2_PKi31ggml_cuda_mm_fusion_args_devicePfj15HIP_vector_typeIjLj3EEjjjS8_jjjS8_jjjj.uses_vcc, 1
	.set _ZL13mul_mat_vec_qIL9ggml_type12ELi6ELb0ELb0EEvPKvS2_PKi31ggml_cuda_mm_fusion_args_devicePfj15HIP_vector_typeIjLj3EEjjjS8_jjjS8_jjjj.uses_flat_scratch, 0
	.set _ZL13mul_mat_vec_qIL9ggml_type12ELi6ELb0ELb0EEvPKvS2_PKi31ggml_cuda_mm_fusion_args_devicePfj15HIP_vector_typeIjLj3EEjjjS8_jjjS8_jjjj.has_dyn_sized_stack, 0
	.set _ZL13mul_mat_vec_qIL9ggml_type12ELi6ELb0ELb0EEvPKvS2_PKi31ggml_cuda_mm_fusion_args_devicePfj15HIP_vector_typeIjLj3EEjjjS8_jjjS8_jjjj.has_recursion, 0
	.set _ZL13mul_mat_vec_qIL9ggml_type12ELi6ELb0ELb0EEvPKvS2_PKi31ggml_cuda_mm_fusion_args_devicePfj15HIP_vector_typeIjLj3EEjjjS8_jjjS8_jjjj.has_indirect_call, 0
	.section	.AMDGPU.csdata,"",@progbits
; Kernel info:
; codeLenInByte = 6448
; TotalNumSgprs: 36
; NumVgprs: 102
; ScratchSize: 0
; MemoryBound: 0
; FloatMode: 240
; IeeeMode: 1
; LDSByteSize: 0 bytes/workgroup (compile time only)
; SGPRBlocks: 4
; VGPRBlocks: 25
; NumSGPRsForWavesPerEU: 36
; NumVGPRsForWavesPerEU: 102
; Occupancy: 2
; WaveLimiterHint : 0
; COMPUTE_PGM_RSRC2:SCRATCH_EN: 0
; COMPUTE_PGM_RSRC2:USER_SGPR: 6
; COMPUTE_PGM_RSRC2:TRAP_HANDLER: 0
; COMPUTE_PGM_RSRC2:TGID_X_EN: 1
; COMPUTE_PGM_RSRC2:TGID_Y_EN: 1
; COMPUTE_PGM_RSRC2:TGID_Z_EN: 1
; COMPUTE_PGM_RSRC2:TIDIG_COMP_CNT: 1
	.section	.text._ZL13mul_mat_vec_qIL9ggml_type12ELi7ELb0ELb0EEvPKvS2_PKi31ggml_cuda_mm_fusion_args_devicePfj15HIP_vector_typeIjLj3EEjjjS8_jjjS8_jjjj,"axG",@progbits,_ZL13mul_mat_vec_qIL9ggml_type12ELi7ELb0ELb0EEvPKvS2_PKi31ggml_cuda_mm_fusion_args_devicePfj15HIP_vector_typeIjLj3EEjjjS8_jjjS8_jjjj,comdat
	.globl	_ZL13mul_mat_vec_qIL9ggml_type12ELi7ELb0ELb0EEvPKvS2_PKi31ggml_cuda_mm_fusion_args_devicePfj15HIP_vector_typeIjLj3EEjjjS8_jjjS8_jjjj ; -- Begin function _ZL13mul_mat_vec_qIL9ggml_type12ELi7ELb0ELb0EEvPKvS2_PKi31ggml_cuda_mm_fusion_args_devicePfj15HIP_vector_typeIjLj3EEjjjS8_jjjS8_jjjj
	.p2align	8
	.type	_ZL13mul_mat_vec_qIL9ggml_type12ELi7ELb0ELb0EEvPKvS2_PKi31ggml_cuda_mm_fusion_args_devicePfj15HIP_vector_typeIjLj3EEjjjS8_jjjS8_jjjj,@function
_ZL13mul_mat_vec_qIL9ggml_type12ELi7ELb0ELb0EEvPKvS2_PKi31ggml_cuda_mm_fusion_args_devicePfj15HIP_vector_typeIjLj3EEjjjS8_jjjS8_jjjj: ; @_ZL13mul_mat_vec_qIL9ggml_type12ELi7ELb0ELb0EEvPKvS2_PKi31ggml_cuda_mm_fusion_args_devicePfj15HIP_vector_typeIjLj3EEjjjS8_jjjS8_jjjj
; %bb.0:
	s_load_dword s9, s[4:5], 0x40
	s_load_dwordx4 s[12:15], s[4:5], 0x50
	s_load_dword s25, s[4:5], 0x60
	s_load_dwordx4 s[0:3], s[4:5], 0x68
	;; [unrolled: 2-line block ×3, first 2 shown]
	v_lshl_or_b32 v2, v1, 6, v0
	s_waitcnt lgkmcnt(0)
	s_lshr_b32 s9, s9, 8
	v_lshrrev_b32_e32 v26, 4, v2
	s_lshl_b32 s6, s6, 1
	v_cmp_gt_u32_e32 vcc, s9, v26
	v_mov_b32_e32 v12, 0
	v_mov_b32_e32 v13, 0
	;; [unrolled: 1-line block ×14, first 2 shown]
	s_and_saveexec_b64 s[10:11], vcc
	s_cbranch_execz .LBB130_56
; %bb.1:
	s_mul_hi_u32 s15, s15, s7
	s_add_i32 s15, s7, s15
	s_load_dwordx4 s[20:23], s[4:5], 0x0
	s_lshr_b32 s15, s15, s25
	s_mul_i32 s15, s15, s0
	s_mul_hi_u32 s0, s3, s8
	s_add_i32 s0, s8, s0
	s_lshr_b32 s0, s0, s24
	s_mul_i32 s3, s17, s8
	s_mul_i32 s0, s0, s16
	s_mul_hi_u32 s16, s3, 36
	s_mul_i32 s3, s3, 36
	s_waitcnt lgkmcnt(0)
	s_add_u32 s3, s22, s3
	s_mul_i32 s1, s1, s7
	s_addc_u32 s17, s23, s16
	s_mul_hi_u32 s19, s1, 36
	s_mul_i32 s1, s1, 36
	s_add_u32 s16, s3, s1
	s_addc_u32 s17, s17, s19
	s_add_i32 s19, s6, 1
	v_bfe_u32 v4, v0, 2, 2
	s_mul_i32 s3, s6, s12
	s_mul_i32 s12, s12, s19
	v_mul_hi_u32_u24_e32 v5, 0x48, v4
	v_mul_u32_u24_e32 v4, 0x48, v4
	s_movk_i32 s19, 0x120
	v_mad_u64_u32 v[4:5], s[22:23], v26, s19, v[4:5]
	v_lshlrev_b32_e32 v2, 1, v0
	v_bfe_u32 v27, v2, 3, 2
	v_and_b32_e32 v3, 30, v2
	v_lshlrev_b32_e32 v2, 1, v27
	s_add_i32 s15, s0, s15
	v_cmp_lt_u32_e64 s[0:1], 15, v3
	v_mad_u64_u32 v[2:3], s[22:23], v2, 36, s[16:17]
	v_mov_b32_e32 v6, s17
	v_add_co_u32_e32 v4, vcc, s16, v4
	v_addc_co_u32_e32 v5, vcc, v6, v5, vcc
	v_and_b32_e32 v29, 3, v0
	v_add_co_u32_e32 v4, vcc, 36, v4
	v_lshlrev_b32_e32 v28, 5, v27
	v_mov_b32_e32 v12, 0
	v_lshlrev_b32_e32 v30, 2, v29
	s_add_i32 s3, s15, s3
	s_add_i32 s12, s15, s12
	v_addc_co_u32_e32 v5, vcc, 0, v5, vcc
	s_lshl_b32 s15, s13, 1
	v_lshlrev_b32_e32 v31, 3, v26
	s_mul_i32 s19, s13, 3
	s_lshl_b32 s24, s13, 2
	s_mul_i32 s25, s13, 5
	s_mul_i32 s26, s13, 6
	s_mov_b64 s[16:17], 0
	s_movk_i32 s27, 0x90
	s_mov_b32 s28, 0x5040100
	s_mov_b32 s29, 0x20004
	;; [unrolled: 1-line block ×5, first 2 shown]
	v_mov_b32_e32 v13, 0
	v_mov_b32_e32 v14, 0
	;; [unrolled: 1-line block ×13, first 2 shown]
	s_branch .LBB130_3
.LBB130_2:                              ;   in Loop: Header=BB130_3 Depth=1
	s_andn2_saveexec_b64 s[22:23], s[22:23]
	s_or_b64 exec, exec, s[22:23]
	s_waitcnt vmcnt(41)
	v_and_b32_e32 v8, 0xf0f0f0f, v61
	s_waitcnt vmcnt(4)
	v_dot4_i32_i8 v6, s31, v80, 0
	v_and_b32_e32 v9, 0xf0f0f0f, v60
	v_lshrrev_b32_e32 v61, 4, v61
	v_dot4_i32_i8 v87, v8, v80, 0
	s_waitcnt vmcnt(3)
	v_dot4_i32_i8 v6, s31, v81, v6
	s_waitcnt vmcnt(2)
	v_dot4_i32_i8 v7, s31, v78, 0
	v_and_b32_e32 v61, 0xf0f0f0f, v61
	v_lshrrev_b32_e32 v60, 4, v60
	v_lshrrev_b16_e32 v85, 8, v77
	v_lshrrev_b16_e32 v86, 8, v76
	v_dot4_i32_i8 v87, v9, v81, v87
	v_and_b32_sdwa v76, s33, v76 dst_sel:DWORD dst_unused:UNUSED_PAD src0_sel:DWORD src1_sel:BYTE_0
	v_and_b32_sdwa v77, s33, v77 dst_sel:DWORD dst_unused:UNUSED_PAD src0_sel:DWORD src1_sel:BYTE_0
	s_waitcnt vmcnt(1)
	v_dot4_i32_i8 v7, s31, v79, v7
	v_and_b32_e32 v60, 0xf0f0f0f, v60
	v_mul_lo_u32 v76, v87, v76
	v_mul_lo_u32 v77, v6, v77
	v_dot4_i32_i8 v87, v61, v78, 0
	v_dot4_i32_i8 v87, v60, v79, v87
	v_mul_lo_u32 v85, v7, v85
	v_mul_lo_u32 v86, v87, v86
	v_cvt_f32_i32_e32 v77, v77
	v_cvt_f32_i32_e32 v76, v76
	;; [unrolled: 1-line block ×3, first 2 shown]
	v_cvt_f32_f16_sdwa v84, v39 dst_sel:DWORD dst_unused:UNUSED_PAD src0_sel:WORD_1
	v_cvt_f32_i32_e32 v86, v86
	v_fma_mix_f32 v77, v74, v77, 0 op_sel_hi:[1,0,0]
	v_fma_mix_f32 v76, v74, v76, 0 op_sel_hi:[1,0,0]
	s_waitcnt vmcnt(0)
	v_fma_mix_f32 v77, v75, v85, v77 op_sel_hi:[1,0,0]
	v_fma_mix_f32 v76, v75, v86, v76 op_sel_hi:[1,0,0]
	v_mul_f32_e32 v77, v77, v84
	v_fma_mix_f32 v76, v76, v39, -v77 op_sel_hi:[0,1,0]
	v_and_b32_e32 v85, 0xf0f0f0f, v63
	v_add_f32_e32 v13, v13, v76
	v_dot4_i32_i8 v76, s31, v104, 0
	v_and_b32_e32 v86, 0xf0f0f0f, v62
	v_lshrrev_b32_e32 v63, 4, v63
	v_dot4_i32_i8 v110, v85, v104, 0
	v_dot4_i32_i8 v76, s31, v105, v76
	;; [unrolled: 1-line block ×3, first 2 shown]
	v_and_b32_e32 v63, 0xf0f0f0f, v63
	v_lshrrev_b32_e32 v62, 4, v62
	v_lshrrev_b16_e32 v88, 8, v108
	v_lshrrev_b16_e32 v89, 8, v109
	v_dot4_i32_i8 v110, v86, v105, v110
	v_and_b32_sdwa v109, s33, v109 dst_sel:DWORD dst_unused:UNUSED_PAD src0_sel:DWORD src1_sel:BYTE_0
	v_and_b32_sdwa v108, s33, v108 dst_sel:DWORD dst_unused:UNUSED_PAD src0_sel:DWORD src1_sel:BYTE_0
	v_dot4_i32_i8 v77, s31, v103, v77
	v_and_b32_e32 v62, 0xf0f0f0f, v62
	v_mul_lo_u32 v109, v110, v109
	v_mul_lo_u32 v108, v76, v108
	v_dot4_i32_i8 v110, v63, v102, 0
	v_dot4_i32_i8 v110, v62, v103, v110
	v_mul_lo_u32 v88, v77, v88
	v_mul_lo_u32 v89, v110, v89
	v_cvt_f32_i32_e32 v108, v108
	v_cvt_f32_i32_e32 v109, v109
	v_cvt_f32_i32_e32 v88, v88
	v_cvt_f32_f16_sdwa v87, v10 dst_sel:DWORD dst_unused:UNUSED_PAD src0_sel:WORD_1
	v_cvt_f32_i32_e32 v89, v89
	v_fma_mix_f32 v108, v100, v108, 0 op_sel_hi:[1,0,0]
	v_fma_mix_f32 v109, v100, v109, 0 op_sel_hi:[1,0,0]
	v_fma_mix_f32 v88, v101, v88, v108 op_sel_hi:[1,0,0]
	v_dot4_i32_i8 v104, v8, v104, 0
	v_fma_mix_f32 v89, v101, v89, v109 op_sel_hi:[1,0,0]
	v_mul_f32_e32 v88, v88, v87
	v_dot4_i32_i8 v104, v9, v105, v104
	v_and_b32_sdwa v105, s33, v107 dst_sel:DWORD dst_unused:UNUSED_PAD src0_sel:DWORD src1_sel:BYTE_0
	v_fma_mix_f32 v88, v89, v10, -v88 op_sel_hi:[0,1,0]
	v_mul_lo_u32 v104, v104, v105
	v_and_b32_sdwa v105, s33, v106 dst_sel:DWORD dst_unused:UNUSED_PAD src0_sel:DWORD src1_sel:BYTE_0
	v_add_f32_e32 v14, v14, v88
	v_lshrrev_b16_e32 v88, 8, v106
	v_mul_lo_u32 v76, v76, v105
	v_dot4_i32_i8 v102, v61, v102, 0
	v_lshrrev_b16_e32 v89, 8, v107
	v_dot4_i32_i8 v102, v60, v103, v102
	v_mul_lo_u32 v77, v77, v88
	v_mul_lo_u32 v89, v102, v89
	v_cvt_f32_i32_e32 v76, v76
	v_cvt_f32_i32_e32 v88, v104
	v_cvt_f32_i32_e32 v77, v77
	v_cvt_f32_i32_e32 v89, v89
	v_fma_mix_f32 v76, v100, v76, 0 op_sel_hi:[1,0,0]
	v_fma_mix_f32 v88, v100, v88, 0 op_sel_hi:[1,0,0]
	v_fma_mix_f32 v76, v101, v77, v76 op_sel_hi:[1,0,0]
	v_fma_mix_f32 v88, v101, v89, v88 op_sel_hi:[1,0,0]
	v_mul_f32_e32 v76, v76, v84
	v_fma_mix_f32 v76, v88, v39, -v76 op_sel_hi:[0,1,0]
	v_add_f32_e32 v15, v15, v76
	v_dot4_i32_i8 v76, s31, v94, 0
	v_dot4_i32_i8 v100, v85, v94, 0
	v_dot4_i32_i8 v76, s31, v95, v76
	v_dot4_i32_i8 v77, s31, v92, 0
	v_lshrrev_b16_e32 v88, 8, v98
	v_lshrrev_b16_e32 v89, 8, v99
	v_dot4_i32_i8 v100, v86, v95, v100
	v_and_b32_sdwa v99, s33, v99 dst_sel:DWORD dst_unused:UNUSED_PAD src0_sel:DWORD src1_sel:BYTE_0
	v_and_b32_sdwa v98, s33, v98 dst_sel:DWORD dst_unused:UNUSED_PAD src0_sel:DWORD src1_sel:BYTE_0
	v_dot4_i32_i8 v77, s31, v93, v77
	v_mul_lo_u32 v99, v100, v99
	v_mul_lo_u32 v98, v76, v98
	v_dot4_i32_i8 v100, v63, v92, 0
	v_dot4_i32_i8 v100, v62, v93, v100
	v_mul_lo_u32 v88, v77, v88
	v_mul_lo_u32 v89, v100, v89
	v_cvt_f32_i32_e32 v98, v98
	v_cvt_f32_i32_e32 v99, v99
	v_cvt_f32_i32_e32 v88, v88
	v_cvt_f32_i32_e32 v89, v89
	v_fma_mix_f32 v98, v90, v98, 0 op_sel_hi:[1,0,0]
	v_fma_mix_f32 v99, v90, v99, 0 op_sel_hi:[1,0,0]
	v_fma_mix_f32 v88, v91, v88, v98 op_sel_hi:[1,0,0]
	v_dot4_i32_i8 v94, v8, v94, 0
	v_fma_mix_f32 v89, v91, v89, v99 op_sel_hi:[1,0,0]
	v_mul_f32_e32 v88, v88, v87
	v_dot4_i32_i8 v94, v9, v95, v94
	v_and_b32_sdwa v95, s33, v97 dst_sel:DWORD dst_unused:UNUSED_PAD src0_sel:DWORD src1_sel:BYTE_0
	v_fma_mix_f32 v88, v89, v10, -v88 op_sel_hi:[0,1,0]
	v_mul_lo_u32 v94, v94, v95
	v_and_b32_sdwa v95, s33, v96 dst_sel:DWORD dst_unused:UNUSED_PAD src0_sel:DWORD src1_sel:BYTE_0
	v_add_f32_e32 v16, v16, v88
	v_lshrrev_b16_e32 v88, 8, v96
	v_mul_lo_u32 v76, v76, v95
	v_dot4_i32_i8 v92, v61, v92, 0
	v_lshrrev_b16_e32 v89, 8, v97
	v_dot4_i32_i8 v92, v60, v93, v92
	v_mul_lo_u32 v77, v77, v88
	v_mul_lo_u32 v89, v92, v89
	v_cvt_f32_i32_e32 v76, v76
	v_cvt_f32_i32_e32 v88, v94
	v_cvt_f32_i32_e32 v77, v77
	v_cvt_f32_i32_e32 v89, v89
	v_fma_mix_f32 v76, v90, v76, 0 op_sel_hi:[1,0,0]
	v_fma_mix_f32 v88, v90, v88, 0 op_sel_hi:[1,0,0]
	v_fma_mix_f32 v76, v91, v77, v76 op_sel_hi:[1,0,0]
	v_fma_mix_f32 v88, v91, v89, v88 op_sel_hi:[1,0,0]
	v_mul_f32_e32 v76, v76, v84
	v_fma_mix_f32 v76, v88, v39, -v76 op_sel_hi:[0,1,0]
	v_add_f32_e32 v17, v17, v76
	v_dot4_i32_i8 v76, s31, v70, 0
	v_dot4_i32_i8 v90, v85, v70, 0
	v_dot4_i32_i8 v76, s31, v71, v76
	v_dot4_i32_i8 v77, s31, v68, 0
	v_lshrrev_b16_e32 v88, 8, v82
	v_lshrrev_b16_e32 v89, 8, v83
	v_dot4_i32_i8 v90, v86, v71, v90
	v_and_b32_sdwa v83, s33, v83 dst_sel:DWORD dst_unused:UNUSED_PAD src0_sel:DWORD src1_sel:BYTE_0
	v_and_b32_sdwa v82, s33, v82 dst_sel:DWORD dst_unused:UNUSED_PAD src0_sel:DWORD src1_sel:BYTE_0
	v_dot4_i32_i8 v77, s31, v69, v77
	v_mul_lo_u32 v83, v90, v83
	v_mul_lo_u32 v82, v76, v82
	v_dot4_i32_i8 v90, v63, v68, 0
	v_dot4_i32_i8 v90, v62, v69, v90
	v_mul_lo_u32 v88, v77, v88
	v_mul_lo_u32 v89, v90, v89
	v_cvt_f32_i32_e32 v82, v82
	v_cvt_f32_i32_e32 v83, v83
	v_cvt_f32_i32_e32 v88, v88
	;; [unrolled: 50-line block ×4, first 2 shown]
	v_cvt_f32_i32_e32 v55, v55
	v_fma_mix_f32 v50, v11, v50, 0 op_sel_hi:[1,0,0]
	v_fma_mix_f32 v51, v11, v51, 0 op_sel_hi:[1,0,0]
	;; [unrolled: 1-line block ×3, first 2 shown]
	v_dot4_i32_i8 v46, v8, v46, 0
	v_fma_mix_f32 v51, v42, v55, v51 op_sel_hi:[1,0,0]
	v_mul_f32_e32 v50, v50, v87
	v_dot4_i32_i8 v46, v9, v47, v46
	v_and_b32_sdwa v47, s33, v49 dst_sel:DWORD dst_unused:UNUSED_PAD src0_sel:DWORD src1_sel:BYTE_0
	v_fma_mix_f32 v50, v51, v10, -v50 op_sel_hi:[0,1,0]
	v_mul_lo_u32 v46, v46, v47
	v_and_b32_sdwa v47, s33, v48 dst_sel:DWORD dst_unused:UNUSED_PAD src0_sel:DWORD src1_sel:BYTE_0
	v_add_f32_e32 v22, v22, v50
	v_lshrrev_b16_e32 v50, 8, v48
	v_mul_lo_u32 v47, v52, v47
	v_dot4_i32_i8 v43, v61, v43, 0
	v_lshrrev_b16_e32 v51, 8, v49
	v_dot4_i32_i8 v43, v60, v44, v43
	v_mul_lo_u32 v44, v53, v50
	v_mul_lo_u32 v43, v43, v51
	v_cvt_f32_i32_e32 v46, v46
	v_cvt_f32_i32_e32 v47, v47
	;; [unrolled: 1-line block ×4, first 2 shown]
	v_fma_mix_f32 v46, v11, v46, 0 op_sel_hi:[1,0,0]
	v_fma_mix_f32 v11, v11, v47, 0 op_sel_hi:[1,0,0]
	;; [unrolled: 1-line block ×4, first 2 shown]
	v_mul_f32_e32 v11, v11, v84
	v_fma_mix_f32 v11, v43, v39, -v11 op_sel_hi:[0,1,0]
	v_add_f32_e32 v23, v23, v11
	v_dot4_i32_i8 v11, s31, v36, 0
	v_dot4_i32_i8 v46, v85, v36, 0
	;; [unrolled: 1-line block ×4, first 2 shown]
	v_lshrrev_b16_e32 v43, 8, v40
	v_lshrrev_b32_e32 v44, 24, v40
	v_dot4_i32_i8 v46, v86, v37, v46
	v_bfe_u32 v47, v40, 16, 8
	v_and_b32_e32 v40, 0xff, v40
	v_dot4_i32_i8 v42, s31, v35, v42
	v_mul_lo_u32 v46, v46, v47
	v_mul_lo_u32 v40, v11, v40
	v_dot4_i32_i8 v47, v63, v34, 0
	v_dot4_i32_i8 v47, v62, v35, v47
	v_mul_lo_u32 v43, v42, v43
	v_mul_lo_u32 v44, v47, v44
	v_cvt_f32_i32_e32 v40, v40
	v_cvt_f32_i32_e32 v46, v46
	;; [unrolled: 1-line block ×4, first 2 shown]
	v_fma_mix_f32 v40, v32, v40, 0 op_sel_hi:[1,0,0]
	v_fma_mix_f32 v46, v32, v46, 0 op_sel_hi:[1,0,0]
	;; [unrolled: 1-line block ×3, first 2 shown]
	v_dot4_i32_i8 v8, v8, v36, 0
	v_fma_mix_f32 v44, v33, v44, v46 op_sel_hi:[1,0,0]
	v_mul_f32_e32 v40, v40, v87
	v_dot4_i32_i8 v8, v9, v37, v8
	v_bfe_u32 v9, v38, 16, 8
	v_fma_mix_f32 v40, v44, v10, -v40 op_sel_hi:[0,1,0]
	v_mul_lo_u32 v8, v8, v9
	v_and_b32_e32 v9, 0xff, v38
	v_add_f32_e32 v24, v24, v40
	v_lshrrev_b16_e32 v40, 8, v38
	v_mul_lo_u32 v9, v11, v9
	v_dot4_i32_i8 v11, v61, v34, 0
	v_lshrrev_b32_e32 v43, 24, v38
	v_dot4_i32_i8 v11, v60, v35, v11
	v_mul_lo_u32 v34, v42, v40
	v_mul_lo_u32 v11, v11, v43
	v_cvt_f32_i32_e32 v9, v9
	v_cvt_f32_i32_e32 v8, v8
	;; [unrolled: 1-line block ×4, first 2 shown]
	v_fma_mix_f32 v9, v32, v9, 0 op_sel_hi:[1,0,0]
	v_fma_mix_f32 v8, v32, v8, 0 op_sel_hi:[1,0,0]
	;; [unrolled: 1-line block ×4, first 2 shown]
	v_mul_f32_e32 v9, v9, v84
	v_fma_mix_f32 v8, v8, v39, -v9 op_sel_hi:[0,1,0]
	v_dot4_i32_i8 v9, v85, v80, 0
	v_and_b32_sdwa v11, s33, v45 dst_sel:DWORD dst_unused:UNUSED_PAD src0_sel:DWORD src1_sel:BYTE_0
	v_add_f32_e32 v25, v25, v8
	v_lshrrev_b16_e32 v8, 8, v45
	v_dot4_i32_i8 v9, v86, v81, v9
	v_mul_lo_u32 v6, v6, v11
	v_dot4_i32_i8 v11, v63, v78, 0
	v_and_b32_sdwa v33, s33, v41 dst_sel:DWORD dst_unused:UNUSED_PAD src0_sel:DWORD src1_sel:BYTE_0
	v_dot4_i32_i8 v11, v62, v79, v11
	v_lshrrev_b16_e32 v32, 8, v41
	v_mul_lo_u32 v9, v9, v33
	v_mul_lo_u32 v7, v7, v8
	;; [unrolled: 1-line block ×3, first 2 shown]
	v_cvt_f32_i32_e32 v6, v6
	v_cvt_f32_i32_e32 v8, v9
	;; [unrolled: 1-line block ×4, first 2 shown]
	v_fma_mix_f32 v6, v74, v6, 0 op_sel_hi:[1,0,0]
	v_fma_mix_f32 v8, v74, v8, 0 op_sel_hi:[1,0,0]
	;; [unrolled: 1-line block ×3, first 2 shown]
	v_add_co_u32_e32 v4, vcc, 0x480, v4
	v_fma_mix_f32 v8, v75, v9, v8 op_sel_hi:[1,0,0]
	v_mul_f32_e32 v6, v6, v87
	v_add_u32_e32 v26, 4, v26
	v_addc_co_u32_e32 v5, vcc, 0, v5, vcc
	v_fma_mix_f32 v6, v8, v10, -v6 op_sel_hi:[0,1,0]
	v_cmp_le_u32_e32 vcc, s9, v26
	v_add_f32_e32 v12, v12, v6
	s_or_b64 s[16:17], vcc, s[16:17]
	v_add_u32_e32 v31, 32, v31
	s_andn2_b64 exec, exec, s[16:17]
	s_cbranch_execz .LBB130_55
.LBB130_3:                              ; =>This Inner Loop Header: Depth=1
	v_mov_b32_e32 v8, s20
	v_add_u32_e32 v10, s3, v26
	v_mov_b32_e32 v9, s21
	v_mad_i64_i32 v[8:9], s[22:23], v10, s27, v[8:9]
	v_add_co_u32_e32 v6, vcc, v4, v30
	v_addc_co_u32_e32 v7, vcc, 0, v5, vcc
	global_load_dword v32, v[4:5], off offset:-36
	global_load_dword v33, v[4:5], off
	global_load_dword v36, v[6:7], off offset:-32
	global_load_dword v37, v[6:7], off offset:-16
	global_load_dword v34, v[6:7], off offset:4
	global_load_dword v35, v[6:7], off offset:20
	v_add_co_u32_e32 v6, vcc, v8, v28
	v_addc_co_u32_e32 v7, vcc, 0, v9, vcc
	v_add_co_u32_e32 v6, vcc, v6, v30
	v_addc_co_u32_e32 v7, vcc, 0, v7, vcc
	global_load_dword v61, v[6:7], off offset:16
	global_load_dword v60, v[6:7], off offset:32
	v_lshlrev_b32_e32 v40, 1, v27
	v_add_co_u32_e32 v6, vcc, v8, v40
	v_addc_co_u32_e32 v7, vcc, 0, v9, vcc
                                        ; implicit-def: $vgpr38
                                        ; implicit-def: $vgpr74
                                        ; implicit-def: $vgpr75
	s_and_saveexec_b64 s[22:23], s[0:1]
	s_xor_b64 s[22:23], exec, s[22:23]
	s_cbranch_execz .LBB130_5
; %bb.4:                                ;   in Loop: Header=BB130_3 Depth=1
	global_load_ushort v10, v[6:7], off
	global_load_ushort v74, v[6:7], off offset:8
	global_load_ushort v75, v[6:7], off offset:4
	s_waitcnt vmcnt(1)
	v_perm_b32 v10, v10, v74, s28
	s_waitcnt vmcnt(0)
	v_perm_b32 v11, v74, v75, s28
	v_pk_lshrrev_b16 v11, 2, v11
	v_pk_lshrrev_b16 v10, s29, v10
	v_and_b32_e32 v11, 0xf0f3030, v11
	v_and_or_b32 v38, v10, s30, v11
.LBB130_5:                              ;   in Loop: Header=BB130_3 Depth=1
	s_andn2_saveexec_b64 s[22:23], s[22:23]
	s_cbranch_execz .LBB130_7
; %bb.6:                                ;   in Loop: Header=BB130_3 Depth=1
	global_load_ushort v75, v[6:7], off offset:4
	global_load_ushort v74, v[6:7], off offset:8
	s_waitcnt vmcnt(0)
	v_perm_b32 v10, v75, v74, s28
	v_and_b32_e32 v38, 0x3f3f3f3f, v10
.LBB130_7:                              ;   in Loop: Header=BB130_3 Depth=1
	s_or_b64 exec, exec, s[22:23]
	v_mov_b32_e32 v10, s20
	v_add_u32_e32 v39, s12, v26
	v_mov_b32_e32 v11, s21
	v_mad_i64_i32 v[10:11], s[22:23], v39, s27, v[10:11]
                                        ; implicit-def: $vgpr78
                                        ; implicit-def: $vgpr79
	v_add_co_u32_e32 v39, vcc, v10, v28
	v_addc_co_u32_e32 v42, vcc, 0, v11, vcc
	v_add_co_u32_e32 v41, vcc, v39, v30
	v_addc_co_u32_e32 v42, vcc, 0, v42, vcc
	global_load_dword v39, v[8:9], off
	global_load_dword v63, v[41:42], off offset:16
	global_load_dword v62, v[41:42], off offset:32
	v_add_co_u32_e32 v8, vcc, v10, v40
	v_addc_co_u32_e32 v9, vcc, 0, v11, vcc
                                        ; implicit-def: $vgpr40
	s_and_saveexec_b64 s[22:23], s[0:1]
	s_xor_b64 s[22:23], exec, s[22:23]
	s_cbranch_execz .LBB130_9
; %bb.8:                                ;   in Loop: Header=BB130_3 Depth=1
	global_load_ushort v40, v[8:9], off
	global_load_ushort v78, v[8:9], off offset:8
	global_load_ushort v79, v[8:9], off offset:4
	s_waitcnt vmcnt(1)
	v_perm_b32 v40, v40, v78, s28
	s_waitcnt vmcnt(0)
	v_perm_b32 v41, v78, v79, s28
	v_pk_lshrrev_b16 v41, 2, v41
	v_pk_lshrrev_b16 v40, s29, v40
	v_and_b32_e32 v41, 0xf0f3030, v41
	v_and_or_b32 v40, v40, s30, v41
.LBB130_9:                              ;   in Loop: Header=BB130_3 Depth=1
	s_andn2_saveexec_b64 s[22:23], s[22:23]
	s_cbranch_execz .LBB130_11
; %bb.10:                               ;   in Loop: Header=BB130_3 Depth=1
	global_load_ushort v79, v[8:9], off offset:4
	global_load_ushort v78, v[8:9], off offset:8
	s_waitcnt vmcnt(0)
	v_perm_b32 v40, v79, v78, s28
	v_and_b32_e32 v40, 0x3f3f3f3f, v40
.LBB130_11:                             ;   in Loop: Header=BB130_3 Depth=1
	s_or_b64 exec, exec, s[22:23]
	v_add_u32_e32 v41, s13, v31
	v_mad_u64_u32 v[48:49], s[22:23], v41, 36, v[2:3]
	v_lshlrev_b32_e32 v80, 2, v29
	global_load_dword v10, v[10:11], off
	v_add_co_u32_e32 v50, vcc, v48, v80
	v_addc_co_u32_e32 v51, vcc, 0, v49, vcc
	global_load_dword v11, v[48:49], off
	global_load_dword v46, v[50:51], off offset:4
	global_load_dword v47, v[50:51], off offset:20
	;; [unrolled: 1-line block ×5, first 2 shown]
	v_lshrrev_b16_e32 v41, 4, v74
	v_lshrrev_b16_e32 v45, 2, v75
	v_and_b32_e32 v84, 0xf0f, v74
	v_and_b32_e32 v85, 0xf0f, v41
	;; [unrolled: 1-line block ×3, first 2 shown]
                                        ; implicit-def: $vgpr49
                                        ; implicit-def: $vgpr48
	s_and_saveexec_b64 s[22:23], s[0:1]
	s_xor_b64 s[22:23], exec, s[22:23]
	s_cbranch_execz .LBB130_13
; %bb.12:                               ;   in Loop: Header=BB130_3 Depth=1
	global_load_ushort v41, v[6:7], off
	v_or_b32_e32 v48, v86, v85
	s_waitcnt vmcnt(0)
	v_lshrrev_b16_e32 v41, 2, v41
	v_and_b32_e32 v41, 0x3030, v41
	v_or_b32_e32 v49, v41, v84
.LBB130_13:                             ;   in Loop: Header=BB130_3 Depth=1
	s_or_saveexec_b64 s[22:23], s[22:23]
	v_and_b32_e32 v76, 0x3f3f, v75
	v_and_b32_e32 v77, 0x3f3f, v74
	s_xor_b64 exec, exec, s[22:23]
; %bb.14:                               ;   in Loop: Header=BB130_3 Depth=1
	v_and_b32_e32 v49, 0x3f3f, v75
	v_and_b32_e32 v48, 0x3f3f, v74
; %bb.15:                               ;   in Loop: Header=BB130_3 Depth=1
	s_or_b64 exec, exec, s[22:23]
	v_lshrrev_b16_e32 v41, 4, v78
	v_lshrrev_b16_e32 v45, 2, v79
	v_and_b32_e32 v87, 0xf0f, v78
	v_and_b32_e32 v88, 0xf0f, v41
	v_and_b32_e32 v89, 0x3030, v45
                                        ; implicit-def: $vgpr51
                                        ; implicit-def: $vgpr50
	s_and_saveexec_b64 s[22:23], s[0:1]
	s_xor_b64 s[22:23], exec, s[22:23]
	s_cbranch_execz .LBB130_17
; %bb.16:                               ;   in Loop: Header=BB130_3 Depth=1
	global_load_ushort v41, v[8:9], off
	v_or_b32_e32 v50, v89, v88
	s_waitcnt vmcnt(0)
	v_lshrrev_b16_e32 v41, 2, v41
	v_and_b32_e32 v41, 0x3030, v41
	v_or_b32_e32 v51, v41, v87
.LBB130_17:                             ;   in Loop: Header=BB130_3 Depth=1
	s_or_saveexec_b64 s[22:23], s[22:23]
	v_and_b32_e32 v41, 0x3f3f, v79
	v_and_b32_e32 v45, 0x3f3f, v78
	s_xor_b64 exec, exec, s[22:23]
; %bb.18:                               ;   in Loop: Header=BB130_3 Depth=1
	v_and_b32_e32 v51, 0x3f3f, v79
	v_and_b32_e32 v50, 0x3f3f, v78
; %bb.19:                               ;   in Loop: Header=BB130_3 Depth=1
	s_or_b64 exec, exec, s[22:23]
	v_add_u32_e32 v52, s15, v31
	v_mad_u64_u32 v[58:59], s[22:23], v52, 36, v[2:3]
	v_add_co_u32_e32 v64, vcc, v58, v80
	v_addc_co_u32_e32 v65, vcc, 0, v59, vcc
	global_load_dword v52, v[58:59], off
	global_load_dword v56, v[64:65], off offset:4
	global_load_dword v57, v[64:65], off offset:20
	;; [unrolled: 1-line block ×5, first 2 shown]
                                        ; implicit-def: $vgpr59
                                        ; implicit-def: $vgpr58
	s_and_saveexec_b64 s[22:23], s[0:1]
	s_xor_b64 s[22:23], exec, s[22:23]
	s_cbranch_execz .LBB130_21
; %bb.20:                               ;   in Loop: Header=BB130_3 Depth=1
	global_load_ushort v58, v[6:7], off
	s_waitcnt vmcnt(0)
	v_lshrrev_b16_e32 v58, 2, v58
	v_and_b32_e32 v58, 0x3030, v58
	v_or_b32_e32 v59, v58, v84
	v_or_b32_e32 v58, v86, v85
	s_andn2_saveexec_b64 s[22:23], s[22:23]
	s_branch .LBB130_22
.LBB130_21:                             ;   in Loop: Header=BB130_3 Depth=1
	s_andn2_saveexec_b64 s[22:23], s[22:23]
.LBB130_22:                             ;   in Loop: Header=BB130_3 Depth=1
	v_and_b32_e32 v59, 0x3f3f, v75
	v_and_b32_e32 v58, 0x3f3f, v74
; %bb.23:                               ;   in Loop: Header=BB130_3 Depth=1
	s_or_b64 exec, exec, s[22:23]
                                        ; implicit-def: $vgpr65
                                        ; implicit-def: $vgpr64
	s_and_saveexec_b64 s[22:23], s[0:1]
	s_xor_b64 s[22:23], exec, s[22:23]
	s_cbranch_execz .LBB130_25
; %bb.24:                               ;   in Loop: Header=BB130_3 Depth=1
	global_load_ushort v64, v[8:9], off
	s_waitcnt vmcnt(0)
	v_lshrrev_b16_e32 v64, 2, v64
	v_and_b32_e32 v64, 0x3030, v64
	v_or_b32_e32 v65, v64, v87
	v_or_b32_e32 v64, v89, v88
	s_andn2_saveexec_b64 s[22:23], s[22:23]
	s_cbranch_execnz .LBB130_26
	s_branch .LBB130_27
.LBB130_25:                             ;   in Loop: Header=BB130_3 Depth=1
	s_andn2_saveexec_b64 s[22:23], s[22:23]
.LBB130_26:                             ;   in Loop: Header=BB130_3 Depth=1
	v_and_b32_e32 v65, 0x3f3f, v79
	v_and_b32_e32 v64, 0x3f3f, v78
.LBB130_27:                             ;   in Loop: Header=BB130_3 Depth=1
	s_or_b64 exec, exec, s[22:23]
	v_add_u32_e32 v66, s19, v31
	v_mad_u64_u32 v[72:73], s[22:23], v66, 36, v[2:3]
	v_add_co_u32_e32 v81, vcc, v72, v80
	v_addc_co_u32_e32 v82, vcc, 0, v73, vcc
	global_load_dword v66, v[72:73], off
	global_load_dword v70, v[81:82], off offset:4
	global_load_dword v71, v[81:82], off offset:20
	global_load_dword v68, v[81:82], off offset:40
	global_load_dword v69, v[81:82], off offset:56
	global_load_dword v67, v[72:73], off offset:36
                                        ; implicit-def: $vgpr73
                                        ; implicit-def: $vgpr72
	s_and_saveexec_b64 s[22:23], s[0:1]
	s_xor_b64 s[22:23], exec, s[22:23]
	s_cbranch_execz .LBB130_29
; %bb.28:                               ;   in Loop: Header=BB130_3 Depth=1
	global_load_ushort v72, v[6:7], off
	s_waitcnt vmcnt(0)
	v_lshrrev_b16_e32 v72, 2, v72
	v_and_b32_e32 v72, 0x3030, v72
	v_or_b32_e32 v73, v72, v84
	v_or_b32_e32 v72, v86, v85
	s_andn2_saveexec_b64 s[22:23], s[22:23]
	s_branch .LBB130_30
.LBB130_29:                             ;   in Loop: Header=BB130_3 Depth=1
	s_andn2_saveexec_b64 s[22:23], s[22:23]
.LBB130_30:                             ;   in Loop: Header=BB130_3 Depth=1
	v_and_b32_e32 v73, 0x3f3f, v75
	v_and_b32_e32 v72, 0x3f3f, v74
; %bb.31:                               ;   in Loop: Header=BB130_3 Depth=1
	s_or_b64 exec, exec, s[22:23]
                                        ; implicit-def: $vgpr83
                                        ; implicit-def: $vgpr82
	s_and_saveexec_b64 s[22:23], s[0:1]
	s_xor_b64 s[22:23], exec, s[22:23]
	s_cbranch_execz .LBB130_33
; %bb.32:                               ;   in Loop: Header=BB130_3 Depth=1
	global_load_ushort v81, v[8:9], off
	v_or_b32_e32 v82, v89, v88
	s_waitcnt vmcnt(0)
	v_lshrrev_b16_e32 v81, 2, v81
	v_and_b32_e32 v81, 0x3030, v81
	v_or_b32_e32 v83, v81, v87
	s_andn2_saveexec_b64 s[22:23], s[22:23]
	s_cbranch_execnz .LBB130_34
	s_branch .LBB130_35
.LBB130_33:                             ;   in Loop: Header=BB130_3 Depth=1
	s_andn2_saveexec_b64 s[22:23], s[22:23]
.LBB130_34:                             ;   in Loop: Header=BB130_3 Depth=1
	v_and_b32_e32 v83, 0x3f3f, v79
	v_and_b32_e32 v82, 0x3f3f, v78
.LBB130_35:                             ;   in Loop: Header=BB130_3 Depth=1
	s_or_b64 exec, exec, s[22:23]
	v_add_u32_e32 v81, s24, v31
	v_mad_u64_u32 v[96:97], s[22:23], v81, 36, v[2:3]
	v_add_co_u32_e32 v98, vcc, v96, v80
	v_addc_co_u32_e32 v99, vcc, 0, v97, vcc
	global_load_dword v90, v[96:97], off
	global_load_dword v94, v[98:99], off offset:4
	global_load_dword v95, v[98:99], off offset:20
	;; [unrolled: 1-line block ×5, first 2 shown]
                                        ; implicit-def: $vgpr97
                                        ; implicit-def: $vgpr96
	s_and_saveexec_b64 s[22:23], s[0:1]
	s_xor_b64 s[22:23], exec, s[22:23]
	s_cbranch_execz .LBB130_37
; %bb.36:                               ;   in Loop: Header=BB130_3 Depth=1
	global_load_ushort v81, v[6:7], off
	v_or_b32_e32 v96, v86, v85
	s_waitcnt vmcnt(0)
	v_lshrrev_b16_e32 v81, 2, v81
	v_and_b32_e32 v81, 0x3030, v81
	v_or_b32_e32 v97, v81, v84
	s_andn2_saveexec_b64 s[22:23], s[22:23]
	s_branch .LBB130_38
.LBB130_37:                             ;   in Loop: Header=BB130_3 Depth=1
	s_andn2_saveexec_b64 s[22:23], s[22:23]
.LBB130_38:                             ;   in Loop: Header=BB130_3 Depth=1
	v_and_b32_e32 v97, 0x3f3f, v75
	v_and_b32_e32 v96, 0x3f3f, v74
; %bb.39:                               ;   in Loop: Header=BB130_3 Depth=1
	s_or_b64 exec, exec, s[22:23]
                                        ; implicit-def: $vgpr99
                                        ; implicit-def: $vgpr98
	s_and_saveexec_b64 s[22:23], s[0:1]
	s_xor_b64 s[22:23], exec, s[22:23]
	s_cbranch_execz .LBB130_41
; %bb.40:                               ;   in Loop: Header=BB130_3 Depth=1
	global_load_ushort v81, v[8:9], off
	v_or_b32_e32 v98, v89, v88
	s_waitcnt vmcnt(0)
	v_lshrrev_b16_e32 v81, 2, v81
	v_and_b32_e32 v81, 0x3030, v81
	v_or_b32_e32 v99, v81, v87
	s_andn2_saveexec_b64 s[22:23], s[22:23]
	s_cbranch_execnz .LBB130_42
	s_branch .LBB130_43
.LBB130_41:                             ;   in Loop: Header=BB130_3 Depth=1
	s_andn2_saveexec_b64 s[22:23], s[22:23]
.LBB130_42:                             ;   in Loop: Header=BB130_3 Depth=1
	v_and_b32_e32 v99, 0x3f3f, v79
	v_and_b32_e32 v98, 0x3f3f, v78
.LBB130_43:                             ;   in Loop: Header=BB130_3 Depth=1
	s_or_b64 exec, exec, s[22:23]
	v_add_u32_e32 v81, s25, v31
	v_mad_u64_u32 v[106:107], s[22:23], v81, 36, v[2:3]
	v_add_co_u32_e32 v108, vcc, v106, v80
	v_addc_co_u32_e32 v109, vcc, 0, v107, vcc
	global_load_dword v100, v[106:107], off
	global_load_dword v104, v[108:109], off offset:4
	global_load_dword v105, v[108:109], off offset:20
	;; [unrolled: 1-line block ×5, first 2 shown]
                                        ; implicit-def: $vgpr107
                                        ; implicit-def: $vgpr106
	s_and_saveexec_b64 s[22:23], s[0:1]
	s_xor_b64 s[22:23], exec, s[22:23]
	s_cbranch_execz .LBB130_45
; %bb.44:                               ;   in Loop: Header=BB130_3 Depth=1
	global_load_ushort v74, v[6:7], off
	v_or_b32_e32 v106, v86, v85
                                        ; implicit-def: $vgpr75
	s_waitcnt vmcnt(0)
	v_lshrrev_b16_e32 v74, 2, v74
	v_and_b32_e32 v74, 0x3030, v74
	v_or_b32_e32 v107, v74, v84
                                        ; implicit-def: $vgpr74
	s_andn2_saveexec_b64 s[22:23], s[22:23]
	s_branch .LBB130_46
.LBB130_45:                             ;   in Loop: Header=BB130_3 Depth=1
	s_andn2_saveexec_b64 s[22:23], s[22:23]
.LBB130_46:                             ;   in Loop: Header=BB130_3 Depth=1
	v_and_b32_e32 v107, 0x3f3f, v75
	v_and_b32_e32 v106, 0x3f3f, v74
; %bb.47:                               ;   in Loop: Header=BB130_3 Depth=1
	s_or_b64 exec, exec, s[22:23]
                                        ; implicit-def: $vgpr109
                                        ; implicit-def: $vgpr108
	s_and_saveexec_b64 s[22:23], s[0:1]
	s_xor_b64 s[22:23], exec, s[22:23]
	s_cbranch_execz .LBB130_49
; %bb.48:                               ;   in Loop: Header=BB130_3 Depth=1
	global_load_ushort v74, v[8:9], off
	v_or_b32_e32 v108, v89, v88
                                        ; implicit-def: $vgpr79
                                        ; implicit-def: $vgpr78
	s_waitcnt vmcnt(0)
	v_lshrrev_b16_e32 v74, 2, v74
	v_and_b32_e32 v74, 0x3030, v74
	v_or_b32_e32 v109, v74, v87
	s_andn2_saveexec_b64 s[22:23], s[22:23]
	s_cbranch_execnz .LBB130_50
	s_branch .LBB130_51
.LBB130_49:                             ;   in Loop: Header=BB130_3 Depth=1
	s_andn2_saveexec_b64 s[22:23], s[22:23]
.LBB130_50:                             ;   in Loop: Header=BB130_3 Depth=1
	v_and_b32_e32 v109, 0x3f3f, v79
	v_and_b32_e32 v108, 0x3f3f, v78
.LBB130_51:                             ;   in Loop: Header=BB130_3 Depth=1
	s_or_b64 exec, exec, s[22:23]
	v_add_u32_e32 v74, s26, v31
	v_mad_u64_u32 v[110:111], s[22:23], v74, 36, v[2:3]
	v_add_co_u32_e32 v112, vcc, v110, v80
	v_addc_co_u32_e32 v113, vcc, 0, v111, vcc
	global_load_dword v74, v[110:111], off
	global_load_dword v80, v[112:113], off offset:4
	global_load_dword v81, v[112:113], off offset:20
	;; [unrolled: 1-line block ×5, first 2 shown]
	s_and_saveexec_b64 s[22:23], s[0:1]
	s_xor_b64 s[22:23], exec, s[22:23]
	s_cbranch_execz .LBB130_53
; %bb.52:                               ;   in Loop: Header=BB130_3 Depth=1
	global_load_ushort v6, v[6:7], off
	v_or_b32_e32 v77, v86, v85
	s_waitcnt vmcnt(0)
	v_lshrrev_b16_e32 v6, 2, v6
	v_and_b32_e32 v6, 0x3030, v6
	v_or_b32_e32 v76, v6, v84
.LBB130_53:                             ;   in Loop: Header=BB130_3 Depth=1
	s_andn2_saveexec_b64 s[22:23], s[22:23]
	s_or_b64 exec, exec, s[22:23]
	s_and_saveexec_b64 s[22:23], s[0:1]
	s_xor_b64 s[22:23], exec, s[22:23]
	s_cbranch_execz .LBB130_2
; %bb.54:                               ;   in Loop: Header=BB130_3 Depth=1
	global_load_ushort v6, v[8:9], off
	v_or_b32_e32 v45, v89, v88
	s_waitcnt vmcnt(0)
	v_lshrrev_b16_e32 v6, 2, v6
	v_and_b32_e32 v6, 0x3030, v6
	v_or_b32_e32 v41, v6, v87
	s_branch .LBB130_2
.LBB130_55:
	s_or_b64 exec, exec, s[16:17]
.LBB130_56:
	s_or_b64 exec, exec, s[10:11]
	s_mov_b32 s1, 0
	v_cmp_eq_u32_e32 vcc, 0, v1
	; wave barrier
	s_and_saveexec_b64 s[10:11], vcc
	s_cbranch_execz .LBB130_71
; %bb.57:
	v_mbcnt_lo_u32_b32 v1, -1, 0
	v_mbcnt_hi_u32_b32 v6, -1, v1
	v_and_b32_e32 v1, 64, v6
	v_add_u32_e32 v7, 64, v1
	v_xor_b32_e32 v1, 32, v6
	v_cmp_lt_i32_e32 vcc, v1, v7
	v_cndmask_b32_e32 v1, v6, v1, vcc
	v_lshlrev_b32_e32 v1, 2, v1
	ds_bpermute_b32 v5, v1, v25
	ds_bpermute_b32 v8, v1, v24
	v_xor_b32_e32 v2, 16, v6
	v_cmp_lt_i32_e32 vcc, v2, v7
	v_cndmask_b32_e32 v2, v6, v2, vcc
	v_lshlrev_b32_e32 v2, 2, v2
	s_waitcnt lgkmcnt(1)
	v_add_f32_e32 v5, v25, v5
	s_waitcnt lgkmcnt(0)
	v_add_f32_e32 v8, v24, v8
	ds_bpermute_b32 v10, v2, v5
	ds_bpermute_b32 v11, v2, v8
	v_xor_b32_e32 v3, 8, v6
	v_cmp_lt_i32_e32 vcc, v3, v7
	v_cndmask_b32_e32 v3, v6, v3, vcc
	v_lshlrev_b32_e32 v3, 2, v3
	s_waitcnt lgkmcnt(1)
	v_add_f32_e32 v10, v5, v10
	s_waitcnt lgkmcnt(0)
	v_add_f32_e32 v8, v8, v11
	;; [unrolled: 10-line block ×3, first 2 shown]
	ds_bpermute_b32 v24, v4, v10
	ds_bpermute_b32 v11, v4, v8
	v_xor_b32_e32 v9, 2, v6
	v_cmp_lt_i32_e32 vcc, v9, v7
	v_cndmask_b32_e32 v9, v6, v9, vcc
	v_lshlrev_b32_e32 v5, 2, v9
	v_xor_b32_e32 v9, 1, v6
	v_cmp_lt_i32_e32 vcc, v9, v7
	s_waitcnt lgkmcnt(1)
	v_add_f32_e32 v7, v10, v24
	s_waitcnt lgkmcnt(0)
	v_add_f32_e32 v10, v8, v11
	v_cndmask_b32_e32 v6, v6, v9, vcc
	ds_bpermute_b32 v9, v5, v7
	ds_bpermute_b32 v11, v5, v10
	s_load_dwordx2 s[4:5], s[4:5], 0x38
	s_mul_i32 s2, s2, s7
	v_lshlrev_b32_e32 v8, 2, v6
	s_waitcnt lgkmcnt(0)
	v_add_f32_e32 v6, v7, v9
	v_add_f32_e32 v9, v10, v11
	s_mul_i32 s0, s18, s8
	s_add_i32 s2, s2, s6
	ds_bpermute_b32 v7, v8, v6
	ds_bpermute_b32 v10, v8, v9
	s_add_i32 s0, s2, s0
	s_lshl_b64 s[0:1], s[0:1], 2
	s_add_u32 s2, s4, s0
	v_add_u32_e32 v11, s6, v0
	s_addc_u32 s3, s5, s1
	v_cmp_gt_u32_e32 vcc, 2, v0
	v_cmp_gt_u32_e64 s[0:1], s14, v11
	s_and_b64 s[0:1], vcc, s[0:1]
	s_waitcnt lgkmcnt(1)
	v_add_f32_e32 v6, v6, v7
	s_waitcnt lgkmcnt(0)
	v_add_f32_e32 v7, v9, v10
	s_and_saveexec_b64 s[4:5], s[0:1]
	s_cbranch_execz .LBB130_59
; %bb.58:
	v_cmp_eq_u32_e32 vcc, 1, v0
	v_cndmask_b32_e32 v9, v6, v7, vcc
	v_cmp_eq_u32_e32 vcc, 2, v0
	v_cndmask_b32_e32 v9, v9, v23, vcc
	v_cmp_eq_u32_e32 vcc, 3, v0
	v_cndmask_b32_e32 v9, v9, v22, vcc
	v_cmp_eq_u32_e32 vcc, 4, v0
	v_cndmask_b32_e32 v9, v9, v21, vcc
	v_cmp_eq_u32_e32 vcc, 5, v0
	v_cndmask_b32_e32 v9, v9, v20, vcc
	v_cmp_eq_u32_e32 vcc, 6, v0
	v_cndmask_b32_e32 v9, v9, v19, vcc
	v_cmp_eq_u32_e32 vcc, 7, v0
	v_cndmask_b32_e32 v9, v9, v18, vcc
	v_cmp_eq_u32_e32 vcc, 8, v0
	v_cndmask_b32_e32 v9, v9, v17, vcc
	v_cmp_eq_u32_e32 vcc, 9, v0
	v_cndmask_b32_e32 v9, v9, v16, vcc
	v_cmp_eq_u32_e32 vcc, 10, v0
	v_cndmask_b32_e32 v9, v9, v15, vcc
	v_cmp_eq_u32_e32 vcc, 11, v0
	v_cndmask_b32_e32 v9, v9, v14, vcc
	v_cmp_eq_u32_e32 vcc, 12, v0
	v_cndmask_b32_e32 v9, v9, v13, vcc
	v_cmp_eq_u32_e32 vcc, 13, v0
	v_cndmask_b32_e32 v9, v9, v12, vcc
	v_lshlrev_b32_e32 v10, 2, v0
	global_store_dword v10, v9, s[2:3]
.LBB130_59:
	s_or_b64 exec, exec, s[4:5]
	ds_bpermute_b32 v9, v1, v23
	ds_bpermute_b32 v10, v1, v22
	s_waitcnt lgkmcnt(1)
	v_add_f32_e32 v9, v23, v9
	s_waitcnt lgkmcnt(0)
	v_add_f32_e32 v10, v22, v10
	ds_bpermute_b32 v11, v2, v9
	ds_bpermute_b32 v22, v2, v10
	s_waitcnt lgkmcnt(1)
	v_add_f32_e32 v9, v9, v11
	s_waitcnt lgkmcnt(0)
	v_add_f32_e32 v10, v10, v22
	;; [unrolled: 6-line block ×6, first 2 shown]
	s_and_saveexec_b64 s[4:5], s[0:1]
	s_cbranch_execz .LBB130_61
; %bb.60:
	v_add_u32_e32 v11, 2, v0
	v_cmp_eq_u32_e32 vcc, 1, v11
	v_cndmask_b32_e32 v22, v6, v7, vcc
	v_cmp_eq_u32_e32 vcc, 2, v11
	v_cndmask_b32_e32 v22, v22, v10, vcc
	;; [unrolled: 2-line block ×13, first 2 shown]
	v_add_u32_e32 v22, s14, v0
	v_mov_b32_e32 v23, 0
	v_lshlrev_b64 v[22:23], 2, v[22:23]
	v_mov_b32_e32 v24, s3
	v_add_co_u32_e32 v22, vcc, s2, v22
	v_addc_co_u32_e32 v23, vcc, v24, v23, vcc
	global_store_dword v[22:23], v11, off
.LBB130_61:
	s_or_b64 exec, exec, s[4:5]
	ds_bpermute_b32 v11, v1, v21
	ds_bpermute_b32 v22, v1, v20
	s_waitcnt lgkmcnt(1)
	v_add_f32_e32 v11, v21, v11
	s_waitcnt lgkmcnt(0)
	v_add_f32_e32 v20, v20, v22
	ds_bpermute_b32 v21, v2, v11
	ds_bpermute_b32 v22, v2, v20
	s_waitcnt lgkmcnt(1)
	v_add_f32_e32 v11, v11, v21
	s_waitcnt lgkmcnt(0)
	v_add_f32_e32 v20, v20, v22
	;; [unrolled: 6-line block ×6, first 2 shown]
	s_and_saveexec_b64 s[4:5], s[0:1]
	s_cbranch_execz .LBB130_63
; %bb.62:
	v_add_u32_e32 v21, 4, v0
	v_cmp_eq_u32_e32 vcc, 1, v21
	v_cndmask_b32_e32 v22, v6, v7, vcc
	v_cmp_eq_u32_e32 vcc, 2, v21
	v_cndmask_b32_e32 v22, v22, v10, vcc
	;; [unrolled: 2-line block ×13, first 2 shown]
	v_lshl_or_b32 v21, s14, 1, v0
	v_mov_b32_e32 v22, 0
	v_lshlrev_b64 v[21:22], 2, v[21:22]
	v_mov_b32_e32 v24, s3
	v_add_co_u32_e32 v21, vcc, s2, v21
	v_addc_co_u32_e32 v22, vcc, v24, v22, vcc
	global_store_dword v[21:22], v23, off
.LBB130_63:
	s_or_b64 exec, exec, s[4:5]
	ds_bpermute_b32 v21, v1, v19
	ds_bpermute_b32 v22, v1, v18
	s_waitcnt lgkmcnt(1)
	v_add_f32_e32 v19, v19, v21
	s_waitcnt lgkmcnt(0)
	v_add_f32_e32 v18, v18, v22
	ds_bpermute_b32 v21, v2, v19
	ds_bpermute_b32 v22, v2, v18
	s_waitcnt lgkmcnt(1)
	v_add_f32_e32 v19, v19, v21
	s_waitcnt lgkmcnt(0)
	v_add_f32_e32 v18, v18, v22
	;; [unrolled: 6-line block ×6, first 2 shown]
	s_and_saveexec_b64 s[4:5], s[0:1]
	s_cbranch_execz .LBB130_65
; %bb.64:
	v_add_u32_e32 v23, 6, v0
	v_cmp_eq_u32_e32 vcc, 1, v23
	v_cndmask_b32_e32 v21, v6, v7, vcc
	v_cmp_eq_u32_e32 vcc, 2, v23
	v_cndmask_b32_e32 v21, v21, v10, vcc
	v_cmp_eq_u32_e32 vcc, 3, v23
	v_cndmask_b32_e32 v21, v21, v9, vcc
	v_cmp_eq_u32_e32 vcc, 4, v23
	v_cndmask_b32_e32 v21, v21, v20, vcc
	v_cmp_eq_u32_e32 vcc, 5, v23
	v_cndmask_b32_e32 v21, v21, v11, vcc
	v_cmp_eq_u32_e32 vcc, 6, v23
	v_cndmask_b32_e32 v21, v21, v19, vcc
	v_cmp_eq_u32_e32 vcc, 7, v23
	v_cndmask_b32_e32 v21, v21, v18, vcc
	v_cmp_eq_u32_e32 vcc, 8, v23
	v_cndmask_b32_e32 v21, v21, v17, vcc
	v_cmp_eq_u32_e32 vcc, 9, v23
	v_cndmask_b32_e32 v21, v21, v16, vcc
	v_cmp_eq_u32_e32 vcc, 10, v23
	v_cndmask_b32_e32 v21, v21, v15, vcc
	v_cmp_eq_u32_e32 vcc, 11, v23
	v_cndmask_b32_e32 v21, v21, v14, vcc
	v_cmp_eq_u32_e32 vcc, 12, v23
	v_cndmask_b32_e32 v24, v21, v13, vcc
	v_mad_u64_u32 v[21:22], s[6:7], s14, 3, v[0:1]
	v_mov_b32_e32 v22, 0
	v_cmp_eq_u32_e32 vcc, 13, v23
	v_lshlrev_b64 v[21:22], 2, v[21:22]
	v_cndmask_b32_e32 v23, v24, v12, vcc
	v_mov_b32_e32 v24, s3
	v_add_co_u32_e32 v21, vcc, s2, v21
	v_addc_co_u32_e32 v22, vcc, v24, v22, vcc
	global_store_dword v[21:22], v23, off
.LBB130_65:
	s_or_b64 exec, exec, s[4:5]
	ds_bpermute_b32 v21, v1, v17
	ds_bpermute_b32 v22, v1, v16
	s_waitcnt lgkmcnt(1)
	v_add_f32_e32 v17, v17, v21
	s_waitcnt lgkmcnt(0)
	v_add_f32_e32 v16, v16, v22
	ds_bpermute_b32 v21, v2, v17
	ds_bpermute_b32 v22, v2, v16
	s_waitcnt lgkmcnt(1)
	v_add_f32_e32 v17, v17, v21
	s_waitcnt lgkmcnt(0)
	v_add_f32_e32 v16, v16, v22
	;; [unrolled: 6-line block ×6, first 2 shown]
	s_and_saveexec_b64 s[4:5], s[0:1]
	s_cbranch_execz .LBB130_67
; %bb.66:
	v_add_u32_e32 v21, 8, v0
	v_cmp_eq_u32_e32 vcc, 1, v21
	v_cndmask_b32_e32 v22, v6, v7, vcc
	v_cmp_eq_u32_e32 vcc, 2, v21
	v_cndmask_b32_e32 v22, v22, v10, vcc
	v_cmp_eq_u32_e32 vcc, 3, v21
	v_cndmask_b32_e32 v22, v22, v9, vcc
	v_cmp_eq_u32_e32 vcc, 4, v21
	v_cndmask_b32_e32 v22, v22, v20, vcc
	v_cmp_eq_u32_e32 vcc, 5, v21
	v_cndmask_b32_e32 v22, v22, v11, vcc
	v_cmp_eq_u32_e32 vcc, 6, v21
	v_cndmask_b32_e32 v22, v22, v19, vcc
	v_cmp_eq_u32_e32 vcc, 7, v21
	v_cndmask_b32_e32 v22, v22, v18, vcc
	v_cmp_eq_u32_e32 vcc, 8, v21
	v_cndmask_b32_e32 v22, v22, v17, vcc
	v_cmp_eq_u32_e32 vcc, 9, v21
	v_cndmask_b32_e32 v22, v22, v16, vcc
	v_cmp_eq_u32_e32 vcc, 10, v21
	v_cndmask_b32_e32 v22, v22, v15, vcc
	v_cmp_eq_u32_e32 vcc, 11, v21
	v_cndmask_b32_e32 v22, v22, v14, vcc
	v_cmp_eq_u32_e32 vcc, 12, v21
	v_cndmask_b32_e32 v22, v22, v13, vcc
	v_cmp_eq_u32_e32 vcc, 13, v21
	v_cndmask_b32_e32 v23, v22, v12, vcc
	v_lshl_or_b32 v21, s14, 2, v0
	v_mov_b32_e32 v22, 0
	v_lshlrev_b64 v[21:22], 2, v[21:22]
	v_mov_b32_e32 v24, s3
	v_add_co_u32_e32 v21, vcc, s2, v21
	v_addc_co_u32_e32 v22, vcc, v24, v22, vcc
	global_store_dword v[21:22], v23, off
.LBB130_67:
	s_or_b64 exec, exec, s[4:5]
	ds_bpermute_b32 v21, v1, v15
	ds_bpermute_b32 v22, v1, v14
	s_waitcnt lgkmcnt(1)
	v_add_f32_e32 v15, v15, v21
	s_waitcnt lgkmcnt(0)
	v_add_f32_e32 v14, v14, v22
	ds_bpermute_b32 v21, v2, v15
	ds_bpermute_b32 v22, v2, v14
	s_waitcnt lgkmcnt(1)
	v_add_f32_e32 v15, v15, v21
	s_waitcnt lgkmcnt(0)
	v_add_f32_e32 v14, v14, v22
	ds_bpermute_b32 v21, v3, v15
	ds_bpermute_b32 v22, v3, v14
	s_waitcnt lgkmcnt(1)
	v_add_f32_e32 v15, v15, v21
	s_waitcnt lgkmcnt(0)
	v_add_f32_e32 v14, v14, v22
	ds_bpermute_b32 v21, v4, v15
	ds_bpermute_b32 v22, v4, v14
	s_waitcnt lgkmcnt(1)
	v_add_f32_e32 v15, v15, v21
	s_waitcnt lgkmcnt(0)
	v_add_f32_e32 v14, v14, v22
	ds_bpermute_b32 v21, v5, v15
	ds_bpermute_b32 v22, v5, v14
	s_waitcnt lgkmcnt(1)
	v_add_f32_e32 v15, v15, v21
	s_waitcnt lgkmcnt(0)
	v_add_f32_e32 v14, v14, v22
	ds_bpermute_b32 v21, v8, v15
	ds_bpermute_b32 v22, v8, v14
	s_waitcnt lgkmcnt(1)
	v_add_f32_e32 v15, v15, v21
	s_waitcnt lgkmcnt(0)
	v_add_f32_e32 v14, v14, v22
	s_and_saveexec_b64 s[4:5], s[0:1]
	s_cbranch_execz .LBB130_69
; %bb.68:
	v_add_u32_e32 v23, 10, v0
	v_cmp_eq_u32_e32 vcc, 1, v23
	v_cndmask_b32_e32 v21, v6, v7, vcc
	v_cmp_eq_u32_e32 vcc, 2, v23
	v_cndmask_b32_e32 v21, v21, v10, vcc
	v_cmp_eq_u32_e32 vcc, 3, v23
	v_cndmask_b32_e32 v21, v21, v9, vcc
	v_cmp_eq_u32_e32 vcc, 4, v23
	v_cndmask_b32_e32 v21, v21, v20, vcc
	v_cmp_eq_u32_e32 vcc, 5, v23
	v_cndmask_b32_e32 v21, v21, v11, vcc
	v_cmp_eq_u32_e32 vcc, 6, v23
	v_cndmask_b32_e32 v21, v21, v19, vcc
	v_cmp_eq_u32_e32 vcc, 7, v23
	v_cndmask_b32_e32 v21, v21, v18, vcc
	v_cmp_eq_u32_e32 vcc, 8, v23
	v_cndmask_b32_e32 v21, v21, v17, vcc
	v_cmp_eq_u32_e32 vcc, 9, v23
	v_cndmask_b32_e32 v21, v21, v16, vcc
	v_cmp_eq_u32_e32 vcc, 10, v23
	v_cndmask_b32_e32 v21, v21, v15, vcc
	v_cmp_eq_u32_e32 vcc, 11, v23
	v_cndmask_b32_e32 v21, v21, v14, vcc
	v_cmp_eq_u32_e32 vcc, 12, v23
	v_cndmask_b32_e32 v24, v21, v13, vcc
	v_mad_u64_u32 v[21:22], s[6:7], s14, 5, v[0:1]
	v_mov_b32_e32 v22, 0
	v_cmp_eq_u32_e32 vcc, 13, v23
	v_lshlrev_b64 v[21:22], 2, v[21:22]
	v_cndmask_b32_e32 v23, v24, v12, vcc
	v_mov_b32_e32 v24, s3
	v_add_co_u32_e32 v21, vcc, s2, v21
	v_addc_co_u32_e32 v22, vcc, v24, v22, vcc
	global_store_dword v[21:22], v23, off
.LBB130_69:
	s_or_b64 exec, exec, s[4:5]
	ds_bpermute_b32 v21, v1, v13
	ds_bpermute_b32 v1, v1, v12
	s_waitcnt lgkmcnt(1)
	v_add_f32_e32 v13, v13, v21
	s_waitcnt lgkmcnt(0)
	v_add_f32_e32 v1, v12, v1
	ds_bpermute_b32 v12, v2, v13
	ds_bpermute_b32 v2, v2, v1
	s_waitcnt lgkmcnt(1)
	v_add_f32_e32 v12, v13, v12
	s_waitcnt lgkmcnt(0)
	v_add_f32_e32 v1, v1, v2
	;; [unrolled: 6-line block ×5, first 2 shown]
	ds_bpermute_b32 v3, v8, v1
	ds_bpermute_b32 v4, v8, v2
	s_and_b64 exec, exec, s[0:1]
	s_cbranch_execz .LBB130_71
; %bb.70:
	s_waitcnt lgkmcnt(1)
	v_add_f32_e32 v1, v1, v3
	v_add_u32_e32 v3, 12, v0
	v_cmp_eq_u32_e32 vcc, 1, v3
	s_waitcnt lgkmcnt(0)
	v_add_f32_e32 v2, v2, v4
	v_cndmask_b32_e32 v4, v6, v7, vcc
	v_cmp_eq_u32_e32 vcc, 2, v3
	v_cndmask_b32_e32 v4, v4, v10, vcc
	v_cmp_eq_u32_e32 vcc, 3, v3
	;; [unrolled: 2-line block ×12, first 2 shown]
	s_mul_i32 s0, s14, 6
	v_cndmask_b32_e32 v2, v1, v2, vcc
	v_or_b32_e32 v0, s0, v0
	v_mov_b32_e32 v1, 0
	v_lshlrev_b64 v[0:1], 2, v[0:1]
	v_mov_b32_e32 v3, s3
	v_add_co_u32_e32 v0, vcc, s2, v0
	v_addc_co_u32_e32 v1, vcc, v3, v1, vcc
	global_store_dword v[0:1], v2, off
.LBB130_71:
	s_endpgm
	.section	.rodata,"a",@progbits
	.p2align	6, 0x0
	.amdhsa_kernel _ZL13mul_mat_vec_qIL9ggml_type12ELi7ELb0ELb0EEvPKvS2_PKi31ggml_cuda_mm_fusion_args_devicePfj15HIP_vector_typeIjLj3EEjjjS8_jjjS8_jjjj
		.amdhsa_group_segment_fixed_size 0
		.amdhsa_private_segment_fixed_size 0
		.amdhsa_kernarg_size 144
		.amdhsa_user_sgpr_count 6
		.amdhsa_user_sgpr_private_segment_buffer 1
		.amdhsa_user_sgpr_dispatch_ptr 0
		.amdhsa_user_sgpr_queue_ptr 0
		.amdhsa_user_sgpr_kernarg_segment_ptr 1
		.amdhsa_user_sgpr_dispatch_id 0
		.amdhsa_user_sgpr_flat_scratch_init 0
		.amdhsa_user_sgpr_private_segment_size 0
		.amdhsa_uses_dynamic_stack 0
		.amdhsa_system_sgpr_private_segment_wavefront_offset 0
		.amdhsa_system_sgpr_workgroup_id_x 1
		.amdhsa_system_sgpr_workgroup_id_y 1
		.amdhsa_system_sgpr_workgroup_id_z 1
		.amdhsa_system_sgpr_workgroup_info 0
		.amdhsa_system_vgpr_workitem_id 1
		.amdhsa_next_free_vgpr 114
		.amdhsa_next_free_sgpr 34
		.amdhsa_reserve_vcc 1
		.amdhsa_reserve_flat_scratch 0
		.amdhsa_float_round_mode_32 0
		.amdhsa_float_round_mode_16_64 0
		.amdhsa_float_denorm_mode_32 3
		.amdhsa_float_denorm_mode_16_64 3
		.amdhsa_dx10_clamp 1
		.amdhsa_ieee_mode 1
		.amdhsa_fp16_overflow 0
		.amdhsa_exception_fp_ieee_invalid_op 0
		.amdhsa_exception_fp_denorm_src 0
		.amdhsa_exception_fp_ieee_div_zero 0
		.amdhsa_exception_fp_ieee_overflow 0
		.amdhsa_exception_fp_ieee_underflow 0
		.amdhsa_exception_fp_ieee_inexact 0
		.amdhsa_exception_int_div_zero 0
	.end_amdhsa_kernel
	.section	.text._ZL13mul_mat_vec_qIL9ggml_type12ELi7ELb0ELb0EEvPKvS2_PKi31ggml_cuda_mm_fusion_args_devicePfj15HIP_vector_typeIjLj3EEjjjS8_jjjS8_jjjj,"axG",@progbits,_ZL13mul_mat_vec_qIL9ggml_type12ELi7ELb0ELb0EEvPKvS2_PKi31ggml_cuda_mm_fusion_args_devicePfj15HIP_vector_typeIjLj3EEjjjS8_jjjS8_jjjj,comdat
.Lfunc_end130:
	.size	_ZL13mul_mat_vec_qIL9ggml_type12ELi7ELb0ELb0EEvPKvS2_PKi31ggml_cuda_mm_fusion_args_devicePfj15HIP_vector_typeIjLj3EEjjjS8_jjjS8_jjjj, .Lfunc_end130-_ZL13mul_mat_vec_qIL9ggml_type12ELi7ELb0ELb0EEvPKvS2_PKi31ggml_cuda_mm_fusion_args_devicePfj15HIP_vector_typeIjLj3EEjjjS8_jjjS8_jjjj
                                        ; -- End function
	.set _ZL13mul_mat_vec_qIL9ggml_type12ELi7ELb0ELb0EEvPKvS2_PKi31ggml_cuda_mm_fusion_args_devicePfj15HIP_vector_typeIjLj3EEjjjS8_jjjS8_jjjj.num_vgpr, 114
	.set _ZL13mul_mat_vec_qIL9ggml_type12ELi7ELb0ELb0EEvPKvS2_PKi31ggml_cuda_mm_fusion_args_devicePfj15HIP_vector_typeIjLj3EEjjjS8_jjjS8_jjjj.num_agpr, 0
	.set _ZL13mul_mat_vec_qIL9ggml_type12ELi7ELb0ELb0EEvPKvS2_PKi31ggml_cuda_mm_fusion_args_devicePfj15HIP_vector_typeIjLj3EEjjjS8_jjjS8_jjjj.numbered_sgpr, 34
	.set _ZL13mul_mat_vec_qIL9ggml_type12ELi7ELb0ELb0EEvPKvS2_PKi31ggml_cuda_mm_fusion_args_devicePfj15HIP_vector_typeIjLj3EEjjjS8_jjjS8_jjjj.num_named_barrier, 0
	.set _ZL13mul_mat_vec_qIL9ggml_type12ELi7ELb0ELb0EEvPKvS2_PKi31ggml_cuda_mm_fusion_args_devicePfj15HIP_vector_typeIjLj3EEjjjS8_jjjS8_jjjj.private_seg_size, 0
	.set _ZL13mul_mat_vec_qIL9ggml_type12ELi7ELb0ELb0EEvPKvS2_PKi31ggml_cuda_mm_fusion_args_devicePfj15HIP_vector_typeIjLj3EEjjjS8_jjjS8_jjjj.uses_vcc, 1
	.set _ZL13mul_mat_vec_qIL9ggml_type12ELi7ELb0ELb0EEvPKvS2_PKi31ggml_cuda_mm_fusion_args_devicePfj15HIP_vector_typeIjLj3EEjjjS8_jjjS8_jjjj.uses_flat_scratch, 0
	.set _ZL13mul_mat_vec_qIL9ggml_type12ELi7ELb0ELb0EEvPKvS2_PKi31ggml_cuda_mm_fusion_args_devicePfj15HIP_vector_typeIjLj3EEjjjS8_jjjS8_jjjj.has_dyn_sized_stack, 0
	.set _ZL13mul_mat_vec_qIL9ggml_type12ELi7ELb0ELb0EEvPKvS2_PKi31ggml_cuda_mm_fusion_args_devicePfj15HIP_vector_typeIjLj3EEjjjS8_jjjS8_jjjj.has_recursion, 0
	.set _ZL13mul_mat_vec_qIL9ggml_type12ELi7ELb0ELb0EEvPKvS2_PKi31ggml_cuda_mm_fusion_args_devicePfj15HIP_vector_typeIjLj3EEjjjS8_jjjS8_jjjj.has_indirect_call, 0
	.section	.AMDGPU.csdata,"",@progbits
; Kernel info:
; codeLenInByte = 7476
; TotalNumSgprs: 38
; NumVgprs: 114
; ScratchSize: 0
; MemoryBound: 0
; FloatMode: 240
; IeeeMode: 1
; LDSByteSize: 0 bytes/workgroup (compile time only)
; SGPRBlocks: 4
; VGPRBlocks: 28
; NumSGPRsForWavesPerEU: 38
; NumVGPRsForWavesPerEU: 114
; Occupancy: 2
; WaveLimiterHint : 0
; COMPUTE_PGM_RSRC2:SCRATCH_EN: 0
; COMPUTE_PGM_RSRC2:USER_SGPR: 6
; COMPUTE_PGM_RSRC2:TRAP_HANDLER: 0
; COMPUTE_PGM_RSRC2:TGID_X_EN: 1
; COMPUTE_PGM_RSRC2:TGID_Y_EN: 1
; COMPUTE_PGM_RSRC2:TGID_Z_EN: 1
; COMPUTE_PGM_RSRC2:TIDIG_COMP_CNT: 1
	.section	.text._ZL13mul_mat_vec_qIL9ggml_type12ELi8ELb0ELb0EEvPKvS2_PKi31ggml_cuda_mm_fusion_args_devicePfj15HIP_vector_typeIjLj3EEjjjS8_jjjS8_jjjj,"axG",@progbits,_ZL13mul_mat_vec_qIL9ggml_type12ELi8ELb0ELb0EEvPKvS2_PKi31ggml_cuda_mm_fusion_args_devicePfj15HIP_vector_typeIjLj3EEjjjS8_jjjS8_jjjj,comdat
	.globl	_ZL13mul_mat_vec_qIL9ggml_type12ELi8ELb0ELb0EEvPKvS2_PKi31ggml_cuda_mm_fusion_args_devicePfj15HIP_vector_typeIjLj3EEjjjS8_jjjS8_jjjj ; -- Begin function _ZL13mul_mat_vec_qIL9ggml_type12ELi8ELb0ELb0EEvPKvS2_PKi31ggml_cuda_mm_fusion_args_devicePfj15HIP_vector_typeIjLj3EEjjjS8_jjjS8_jjjj
	.p2align	8
	.type	_ZL13mul_mat_vec_qIL9ggml_type12ELi8ELb0ELb0EEvPKvS2_PKi31ggml_cuda_mm_fusion_args_devicePfj15HIP_vector_typeIjLj3EEjjjS8_jjjS8_jjjj,@function
_ZL13mul_mat_vec_qIL9ggml_type12ELi8ELb0ELb0EEvPKvS2_PKi31ggml_cuda_mm_fusion_args_devicePfj15HIP_vector_typeIjLj3EEjjjS8_jjjS8_jjjj: ; @_ZL13mul_mat_vec_qIL9ggml_type12ELi8ELb0ELb0EEvPKvS2_PKi31ggml_cuda_mm_fusion_args_devicePfj15HIP_vector_typeIjLj3EEjjjS8_jjjS8_jjjj
; %bb.0:
	s_load_dword s9, s[4:5], 0x40
	s_load_dwordx4 s[12:15], s[4:5], 0x50
	s_load_dword s25, s[4:5], 0x60
	s_load_dwordx4 s[0:3], s[4:5], 0x68
	;; [unrolled: 2-line block ×3, first 2 shown]
	v_lshl_or_b32 v2, v1, 6, v0
	s_waitcnt lgkmcnt(0)
	s_lshr_b32 s9, s9, 8
	v_lshrrev_b32_e32 v28, 4, v2
	v_mov_b32_e32 v12, 0
	s_lshl_b32 s6, s6, 1
	v_cmp_gt_u32_e32 vcc, s9, v28
	v_mov_b32_e32 v13, v12
	v_mov_b32_e32 v14, v12
	;; [unrolled: 1-line block ×15, first 2 shown]
	s_and_saveexec_b64 s[10:11], vcc
	s_cbranch_execz .LBB131_64
; %bb.1:
	s_mul_hi_u32 s15, s15, s7
	s_add_i32 s15, s7, s15
	s_load_dwordx4 s[20:23], s[4:5], 0x0
	s_lshr_b32 s15, s15, s25
	s_mul_i32 s15, s15, s0
	s_mul_hi_u32 s0, s3, s8
	s_add_i32 s0, s8, s0
	s_lshr_b32 s0, s0, s24
	s_mul_i32 s3, s17, s8
	s_mul_i32 s0, s0, s16
	s_mul_hi_u32 s16, s3, 36
	s_mul_i32 s3, s3, 36
	s_waitcnt lgkmcnt(0)
	s_add_u32 s3, s22, s3
	s_mul_i32 s1, s1, s7
	s_addc_u32 s17, s23, s16
	s_mul_hi_u32 s19, s1, 36
	s_mul_i32 s1, s1, 36
	s_add_u32 s16, s3, s1
	s_addc_u32 s17, s17, s19
	s_add_i32 s19, s6, 1
	v_bfe_u32 v4, v0, 2, 2
	s_mul_i32 s3, s6, s12
	s_mul_i32 s12, s12, s19
	v_mul_hi_u32_u24_e32 v5, 0x48, v4
	v_mul_u32_u24_e32 v4, 0x48, v4
	s_movk_i32 s19, 0x120
	v_mad_u64_u32 v[4:5], s[22:23], v28, s19, v[4:5]
	v_lshlrev_b32_e32 v2, 1, v0
	v_bfe_u32 v29, v2, 3, 2
	v_and_b32_e32 v3, 30, v2
	v_lshlrev_b32_e32 v2, 1, v29
	s_add_i32 s15, s0, s15
	v_cmp_lt_u32_e64 s[0:1], 15, v3
	v_mad_u64_u32 v[2:3], s[22:23], v2, 36, s[16:17]
	v_mov_b32_e32 v6, s17
	v_add_co_u32_e32 v4, vcc, s16, v4
	v_addc_co_u32_e32 v5, vcc, v6, v5, vcc
	v_mov_b32_e32 v12, 0
	v_and_b32_e32 v31, 3, v0
	v_add_co_u32_e32 v4, vcc, 36, v4
	v_lshlrev_b32_e32 v30, 5, v29
	v_lshlrev_b32_e32 v32, 2, v31
	s_add_i32 s3, s15, s3
	s_add_i32 s12, s15, s12
	v_addc_co_u32_e32 v5, vcc, 0, v5, vcc
	s_lshl_b32 s15, s13, 1
	v_lshlrev_b32_e32 v33, 3, v28
	s_mul_i32 s19, s13, 3
	s_lshl_b32 s24, s13, 2
	s_mul_i32 s25, s13, 5
	s_mul_i32 s26, s13, 6
	;; [unrolled: 1-line block ×3, first 2 shown]
	s_mov_b64 s[16:17], 0
	s_movk_i32 s28, 0x90
	s_mov_b32 s29, 0x5040100
	s_mov_b32 s30, 0x20004
	;; [unrolled: 1-line block ×5, first 2 shown]
	v_mov_b32_e32 v13, v12
	v_mov_b32_e32 v14, v12
	;; [unrolled: 1-line block ×15, first 2 shown]
	s_branch .LBB131_3
.LBB131_2:                              ;   in Loop: Header=BB131_3 Depth=1
	s_andn2_saveexec_b64 s[22:23], s[22:23]
	s_or_b64 exec, exec, s[22:23]
	s_waitcnt vmcnt(47)
	v_and_b32_e32 v8, 0xf0f0f0f, v65
	s_waitcnt vmcnt(4)
	v_dot4_i32_i8 v6, s33, v88, 0
	v_and_b32_e32 v9, 0xf0f0f0f, v64
	v_lshrrev_b32_e32 v65, 4, v65
	v_dot4_i32_i8 v95, v8, v88, 0
	s_waitcnt vmcnt(3)
	v_dot4_i32_i8 v6, s33, v89, v6
	s_waitcnt vmcnt(2)
	v_dot4_i32_i8 v7, s33, v84, 0
	v_and_b32_e32 v65, 0xf0f0f0f, v65
	v_lshrrev_b32_e32 v64, 4, v64
	v_lshrrev_b16_e32 v93, 8, v79
	v_lshrrev_b16_e32 v94, 8, v78
	v_dot4_i32_i8 v95, v9, v89, v95
	v_and_b32_sdwa v78, s34, v78 dst_sel:DWORD dst_unused:UNUSED_PAD src0_sel:DWORD src1_sel:BYTE_0
	v_and_b32_sdwa v79, s34, v79 dst_sel:DWORD dst_unused:UNUSED_PAD src0_sel:DWORD src1_sel:BYTE_0
	s_waitcnt vmcnt(1)
	v_dot4_i32_i8 v7, s33, v85, v7
	v_and_b32_e32 v64, 0xf0f0f0f, v64
	v_mul_lo_u32 v78, v95, v78
	v_mul_lo_u32 v79, v6, v79
	v_dot4_i32_i8 v95, v65, v84, 0
	v_dot4_i32_i8 v95, v64, v85, v95
	v_mul_lo_u32 v93, v7, v93
	v_mul_lo_u32 v94, v95, v94
	v_cvt_f32_i32_e32 v79, v79
	v_cvt_f32_i32_e32 v78, v78
	;; [unrolled: 1-line block ×3, first 2 shown]
	v_cvt_f32_f16_sdwa v92, v41 dst_sel:DWORD dst_unused:UNUSED_PAD src0_sel:WORD_1
	v_cvt_f32_i32_e32 v94, v94
	v_fma_mix_f32 v79, v80, v79, 0 op_sel_hi:[1,0,0]
	v_fma_mix_f32 v78, v80, v78, 0 op_sel_hi:[1,0,0]
	s_waitcnt vmcnt(0)
	v_fma_mix_f32 v79, v81, v93, v79 op_sel_hi:[1,0,0]
	v_fma_mix_f32 v78, v81, v94, v78 op_sel_hi:[1,0,0]
	v_mul_f32_e32 v79, v79, v92
	v_fma_mix_f32 v78, v78, v41, -v79 op_sel_hi:[0,1,0]
	v_and_b32_e32 v93, 0xf0f0f0f, v67
	v_add_f32_e32 v13, v13, v78
	v_dot4_i32_i8 v78, s33, v116, 0
	v_and_b32_e32 v94, 0xf0f0f0f, v66
	v_lshrrev_b32_e32 v67, 4, v67
	v_dot4_i32_i8 v122, v93, v116, 0
	v_dot4_i32_i8 v78, s33, v117, v78
	;; [unrolled: 1-line block ×3, first 2 shown]
	v_and_b32_e32 v67, 0xf0f0f0f, v67
	v_lshrrev_b32_e32 v66, 4, v66
	v_lshrrev_b16_e32 v96, 8, v120
	v_lshrrev_b16_e32 v98, 8, v121
	v_dot4_i32_i8 v122, v94, v117, v122
	v_and_b32_sdwa v121, s34, v121 dst_sel:DWORD dst_unused:UNUSED_PAD src0_sel:DWORD src1_sel:BYTE_0
	v_and_b32_sdwa v120, s34, v120 dst_sel:DWORD dst_unused:UNUSED_PAD src0_sel:DWORD src1_sel:BYTE_0
	v_dot4_i32_i8 v79, s33, v115, v79
	v_and_b32_e32 v66, 0xf0f0f0f, v66
	v_mul_lo_u32 v121, v122, v121
	v_mul_lo_u32 v120, v78, v120
	v_dot4_i32_i8 v122, v67, v114, 0
	v_dot4_i32_i8 v122, v66, v115, v122
	v_mul_lo_u32 v96, v79, v96
	v_mul_lo_u32 v98, v122, v98
	v_cvt_f32_i32_e32 v120, v120
	v_cvt_f32_i32_e32 v121, v121
	;; [unrolled: 1-line block ×3, first 2 shown]
	v_cvt_f32_f16_sdwa v95, v10 dst_sel:DWORD dst_unused:UNUSED_PAD src0_sel:WORD_1
	v_cvt_f32_i32_e32 v98, v98
	v_fma_mix_f32 v120, v112, v120, 0 op_sel_hi:[1,0,0]
	v_fma_mix_f32 v121, v112, v121, 0 op_sel_hi:[1,0,0]
	v_fma_mix_f32 v96, v113, v96, v120 op_sel_hi:[1,0,0]
	v_dot4_i32_i8 v116, v8, v116, 0
	v_fma_mix_f32 v98, v113, v98, v121 op_sel_hi:[1,0,0]
	v_mul_f32_e32 v96, v96, v95
	v_dot4_i32_i8 v116, v9, v117, v116
	v_and_b32_sdwa v117, s34, v119 dst_sel:DWORD dst_unused:UNUSED_PAD src0_sel:DWORD src1_sel:BYTE_0
	v_fma_mix_f32 v96, v98, v10, -v96 op_sel_hi:[0,1,0]
	v_mul_lo_u32 v116, v116, v117
	v_and_b32_sdwa v117, s34, v118 dst_sel:DWORD dst_unused:UNUSED_PAD src0_sel:DWORD src1_sel:BYTE_0
	v_add_f32_e32 v14, v14, v96
	v_lshrrev_b16_e32 v96, 8, v118
	v_mul_lo_u32 v78, v78, v117
	v_dot4_i32_i8 v114, v65, v114, 0
	v_lshrrev_b16_e32 v98, 8, v119
	v_dot4_i32_i8 v114, v64, v115, v114
	v_mul_lo_u32 v79, v79, v96
	v_mul_lo_u32 v98, v114, v98
	v_cvt_f32_i32_e32 v78, v78
	v_cvt_f32_i32_e32 v96, v116
	v_cvt_f32_i32_e32 v79, v79
	v_cvt_f32_i32_e32 v98, v98
	v_fma_mix_f32 v78, v112, v78, 0 op_sel_hi:[1,0,0]
	v_fma_mix_f32 v96, v112, v96, 0 op_sel_hi:[1,0,0]
	v_fma_mix_f32 v78, v113, v79, v78 op_sel_hi:[1,0,0]
	v_fma_mix_f32 v96, v113, v98, v96 op_sel_hi:[1,0,0]
	v_mul_f32_e32 v78, v78, v92
	v_fma_mix_f32 v78, v96, v41, -v78 op_sel_hi:[0,1,0]
	v_add_f32_e32 v15, v15, v78
	v_dot4_i32_i8 v78, s33, v106, 0
	v_dot4_i32_i8 v112, v93, v106, 0
	v_dot4_i32_i8 v78, s33, v107, v78
	v_dot4_i32_i8 v79, s33, v104, 0
	v_lshrrev_b16_e32 v96, 8, v110
	v_lshrrev_b16_e32 v98, 8, v111
	v_dot4_i32_i8 v112, v94, v107, v112
	v_and_b32_sdwa v111, s34, v111 dst_sel:DWORD dst_unused:UNUSED_PAD src0_sel:DWORD src1_sel:BYTE_0
	v_and_b32_sdwa v110, s34, v110 dst_sel:DWORD dst_unused:UNUSED_PAD src0_sel:DWORD src1_sel:BYTE_0
	v_dot4_i32_i8 v79, s33, v105, v79
	v_mul_lo_u32 v111, v112, v111
	v_mul_lo_u32 v110, v78, v110
	v_dot4_i32_i8 v112, v67, v104, 0
	v_dot4_i32_i8 v112, v66, v105, v112
	v_mul_lo_u32 v96, v79, v96
	v_mul_lo_u32 v98, v112, v98
	v_cvt_f32_i32_e32 v110, v110
	v_cvt_f32_i32_e32 v111, v111
	v_cvt_f32_i32_e32 v96, v96
	v_cvt_f32_i32_e32 v98, v98
	v_fma_mix_f32 v110, v102, v110, 0 op_sel_hi:[1,0,0]
	v_fma_mix_f32 v111, v102, v111, 0 op_sel_hi:[1,0,0]
	v_fma_mix_f32 v96, v103, v96, v110 op_sel_hi:[1,0,0]
	v_dot4_i32_i8 v106, v8, v106, 0
	v_fma_mix_f32 v98, v103, v98, v111 op_sel_hi:[1,0,0]
	v_mul_f32_e32 v96, v96, v95
	v_dot4_i32_i8 v106, v9, v107, v106
	v_and_b32_sdwa v107, s34, v109 dst_sel:DWORD dst_unused:UNUSED_PAD src0_sel:DWORD src1_sel:BYTE_0
	v_fma_mix_f32 v96, v98, v10, -v96 op_sel_hi:[0,1,0]
	v_mul_lo_u32 v106, v106, v107
	v_and_b32_sdwa v107, s34, v108 dst_sel:DWORD dst_unused:UNUSED_PAD src0_sel:DWORD src1_sel:BYTE_0
	v_add_f32_e32 v16, v16, v96
	v_lshrrev_b16_e32 v96, 8, v108
	v_mul_lo_u32 v78, v78, v107
	v_dot4_i32_i8 v104, v65, v104, 0
	v_lshrrev_b16_e32 v98, 8, v109
	v_dot4_i32_i8 v104, v64, v105, v104
	v_mul_lo_u32 v79, v79, v96
	v_mul_lo_u32 v98, v104, v98
	v_cvt_f32_i32_e32 v78, v78
	v_cvt_f32_i32_e32 v96, v106
	v_cvt_f32_i32_e32 v79, v79
	v_cvt_f32_i32_e32 v98, v98
	v_fma_mix_f32 v78, v102, v78, 0 op_sel_hi:[1,0,0]
	v_fma_mix_f32 v96, v102, v96, 0 op_sel_hi:[1,0,0]
	v_fma_mix_f32 v78, v103, v79, v78 op_sel_hi:[1,0,0]
	v_fma_mix_f32 v96, v103, v98, v96 op_sel_hi:[1,0,0]
	v_mul_f32_e32 v78, v78, v92
	v_fma_mix_f32 v78, v96, v41, -v78 op_sel_hi:[0,1,0]
	v_add_f32_e32 v17, v17, v78
	v_dot4_i32_i8 v78, s33, v90, 0
	v_dot4_i32_i8 v102, v93, v90, 0
	v_dot4_i32_i8 v78, s33, v91, v78
	v_dot4_i32_i8 v79, s33, v86, 0
	v_lshrrev_b16_e32 v96, 8, v100
	v_lshrrev_b16_e32 v98, 8, v101
	v_dot4_i32_i8 v102, v94, v91, v102
	v_and_b32_sdwa v101, s34, v101 dst_sel:DWORD dst_unused:UNUSED_PAD src0_sel:DWORD src1_sel:BYTE_0
	v_and_b32_sdwa v100, s34, v100 dst_sel:DWORD dst_unused:UNUSED_PAD src0_sel:DWORD src1_sel:BYTE_0
	v_dot4_i32_i8 v79, s33, v87, v79
	v_mul_lo_u32 v101, v102, v101
	v_mul_lo_u32 v100, v78, v100
	v_dot4_i32_i8 v102, v67, v86, 0
	v_dot4_i32_i8 v102, v66, v87, v102
	v_mul_lo_u32 v96, v79, v96
	v_mul_lo_u32 v98, v102, v98
	v_cvt_f32_i32_e32 v100, v100
	v_cvt_f32_i32_e32 v101, v101
	v_cvt_f32_i32_e32 v96, v96
	;; [unrolled: 50-line block ×5, first 2 shown]
	v_cvt_f32_i32_e32 v57, v57
	v_fma_mix_f32 v52, v11, v52, 0 op_sel_hi:[1,0,0]
	v_fma_mix_f32 v53, v11, v53, 0 op_sel_hi:[1,0,0]
	;; [unrolled: 1-line block ×3, first 2 shown]
	v_dot4_i32_i8 v48, v8, v48, 0
	v_fma_mix_f32 v53, v44, v57, v53 op_sel_hi:[1,0,0]
	v_mul_f32_e32 v52, v52, v95
	v_dot4_i32_i8 v48, v9, v49, v48
	v_and_b32_sdwa v49, s34, v51 dst_sel:DWORD dst_unused:UNUSED_PAD src0_sel:DWORD src1_sel:BYTE_0
	v_fma_mix_f32 v52, v53, v10, -v52 op_sel_hi:[0,1,0]
	v_mul_lo_u32 v48, v48, v49
	v_and_b32_sdwa v49, s34, v50 dst_sel:DWORD dst_unused:UNUSED_PAD src0_sel:DWORD src1_sel:BYTE_0
	v_add_f32_e32 v24, v24, v52
	v_lshrrev_b16_e32 v52, 8, v50
	v_mul_lo_u32 v49, v54, v49
	v_dot4_i32_i8 v45, v65, v45, 0
	v_lshrrev_b16_e32 v53, 8, v51
	v_dot4_i32_i8 v45, v64, v46, v45
	v_mul_lo_u32 v46, v55, v52
	v_mul_lo_u32 v45, v45, v53
	v_cvt_f32_i32_e32 v48, v48
	v_cvt_f32_i32_e32 v49, v49
	;; [unrolled: 1-line block ×4, first 2 shown]
	v_fma_mix_f32 v48, v11, v48, 0 op_sel_hi:[1,0,0]
	v_fma_mix_f32 v11, v11, v49, 0 op_sel_hi:[1,0,0]
	v_fma_mix_f32 v11, v44, v46, v11 op_sel_hi:[1,0,0]
	v_fma_mix_f32 v45, v44, v45, v48 op_sel_hi:[1,0,0]
	v_mul_f32_e32 v11, v11, v92
	v_fma_mix_f32 v11, v45, v41, -v11 op_sel_hi:[0,1,0]
	v_add_f32_e32 v25, v25, v11
	v_dot4_i32_i8 v11, s33, v38, 0
	v_dot4_i32_i8 v48, v93, v38, 0
	;; [unrolled: 1-line block ×4, first 2 shown]
	v_lshrrev_b16_e32 v45, 8, v42
	v_lshrrev_b32_e32 v46, 24, v42
	v_dot4_i32_i8 v48, v94, v39, v48
	v_bfe_u32 v49, v42, 16, 8
	v_and_b32_e32 v42, 0xff, v42
	v_dot4_i32_i8 v44, s33, v37, v44
	v_mul_lo_u32 v48, v48, v49
	v_mul_lo_u32 v42, v11, v42
	v_dot4_i32_i8 v49, v67, v36, 0
	v_dot4_i32_i8 v49, v66, v37, v49
	v_mul_lo_u32 v45, v44, v45
	v_mul_lo_u32 v46, v49, v46
	v_cvt_f32_i32_e32 v42, v42
	v_cvt_f32_i32_e32 v48, v48
	v_cvt_f32_i32_e32 v45, v45
	v_cvt_f32_i32_e32 v46, v46
	v_fma_mix_f32 v42, v34, v42, 0 op_sel_hi:[1,0,0]
	v_fma_mix_f32 v48, v34, v48, 0 op_sel_hi:[1,0,0]
	;; [unrolled: 1-line block ×3, first 2 shown]
	v_dot4_i32_i8 v8, v8, v38, 0
	v_fma_mix_f32 v46, v35, v46, v48 op_sel_hi:[1,0,0]
	v_mul_f32_e32 v42, v42, v95
	v_dot4_i32_i8 v8, v9, v39, v8
	v_bfe_u32 v9, v40, 16, 8
	v_fma_mix_f32 v42, v46, v10, -v42 op_sel_hi:[0,1,0]
	v_mul_lo_u32 v8, v8, v9
	v_and_b32_e32 v9, 0xff, v40
	v_add_f32_e32 v26, v26, v42
	v_lshrrev_b16_e32 v42, 8, v40
	v_mul_lo_u32 v9, v11, v9
	v_dot4_i32_i8 v11, v65, v36, 0
	v_lshrrev_b32_e32 v45, 24, v40
	v_dot4_i32_i8 v11, v64, v37, v11
	v_mul_lo_u32 v36, v44, v42
	v_mul_lo_u32 v11, v11, v45
	v_cvt_f32_i32_e32 v9, v9
	v_cvt_f32_i32_e32 v8, v8
	;; [unrolled: 1-line block ×4, first 2 shown]
	v_fma_mix_f32 v9, v34, v9, 0 op_sel_hi:[1,0,0]
	v_fma_mix_f32 v8, v34, v8, 0 op_sel_hi:[1,0,0]
	;; [unrolled: 1-line block ×4, first 2 shown]
	v_mul_f32_e32 v9, v9, v92
	v_fma_mix_f32 v8, v8, v41, -v9 op_sel_hi:[0,1,0]
	v_dot4_i32_i8 v9, v93, v88, 0
	v_and_b32_sdwa v11, s34, v47 dst_sel:DWORD dst_unused:UNUSED_PAD src0_sel:DWORD src1_sel:BYTE_0
	v_add_f32_e32 v27, v27, v8
	v_lshrrev_b16_e32 v8, 8, v47
	v_dot4_i32_i8 v9, v94, v89, v9
	v_mul_lo_u32 v6, v6, v11
	v_dot4_i32_i8 v11, v67, v84, 0
	v_and_b32_sdwa v35, s34, v43 dst_sel:DWORD dst_unused:UNUSED_PAD src0_sel:DWORD src1_sel:BYTE_0
	v_dot4_i32_i8 v11, v66, v85, v11
	v_lshrrev_b16_e32 v34, 8, v43
	v_mul_lo_u32 v9, v9, v35
	v_mul_lo_u32 v7, v7, v8
	;; [unrolled: 1-line block ×3, first 2 shown]
	v_cvt_f32_i32_e32 v6, v6
	v_cvt_f32_i32_e32 v8, v9
	;; [unrolled: 1-line block ×4, first 2 shown]
	v_fma_mix_f32 v6, v80, v6, 0 op_sel_hi:[1,0,0]
	v_fma_mix_f32 v8, v80, v8, 0 op_sel_hi:[1,0,0]
	v_fma_mix_f32 v6, v81, v7, v6 op_sel_hi:[1,0,0]
	v_add_co_u32_e32 v4, vcc, 0x480, v4
	v_fma_mix_f32 v8, v81, v9, v8 op_sel_hi:[1,0,0]
	v_mul_f32_e32 v6, v6, v95
	v_add_u32_e32 v28, 4, v28
	v_addc_co_u32_e32 v5, vcc, 0, v5, vcc
	v_fma_mix_f32 v6, v8, v10, -v6 op_sel_hi:[0,1,0]
	v_cmp_le_u32_e32 vcc, s9, v28
	v_add_f32_e32 v12, v12, v6
	s_or_b64 s[16:17], vcc, s[16:17]
	v_add_u32_e32 v33, 32, v33
	s_andn2_b64 exec, exec, s[16:17]
	s_cbranch_execz .LBB131_63
.LBB131_3:                              ; =>This Inner Loop Header: Depth=1
	v_mov_b32_e32 v8, s20
	v_add_u32_e32 v10, s3, v28
	v_mov_b32_e32 v9, s21
	v_mad_i64_i32 v[8:9], s[22:23], v10, s28, v[8:9]
	v_add_co_u32_e32 v6, vcc, v4, v32
	v_addc_co_u32_e32 v7, vcc, 0, v5, vcc
	global_load_dword v34, v[4:5], off offset:-36
	global_load_dword v35, v[4:5], off
	global_load_dword v38, v[6:7], off offset:-32
	global_load_dword v39, v[6:7], off offset:-16
	global_load_dword v36, v[6:7], off offset:4
	global_load_dword v37, v[6:7], off offset:20
	v_add_co_u32_e32 v6, vcc, v8, v30
	v_addc_co_u32_e32 v7, vcc, 0, v9, vcc
	v_add_co_u32_e32 v6, vcc, v6, v32
	v_addc_co_u32_e32 v7, vcc, 0, v7, vcc
	global_load_dword v65, v[6:7], off offset:16
	global_load_dword v64, v[6:7], off offset:32
	v_lshlrev_b32_e32 v42, 1, v29
	v_add_co_u32_e32 v6, vcc, v8, v42
	v_addc_co_u32_e32 v7, vcc, 0, v9, vcc
                                        ; implicit-def: $vgpr40
                                        ; implicit-def: $vgpr80
                                        ; implicit-def: $vgpr81
	s_and_saveexec_b64 s[22:23], s[0:1]
	s_xor_b64 s[22:23], exec, s[22:23]
	s_cbranch_execz .LBB131_5
; %bb.4:                                ;   in Loop: Header=BB131_3 Depth=1
	global_load_ushort v10, v[6:7], off
	global_load_ushort v80, v[6:7], off offset:8
	global_load_ushort v81, v[6:7], off offset:4
	s_waitcnt vmcnt(1)
	v_perm_b32 v10, v10, v80, s29
	s_waitcnt vmcnt(0)
	v_perm_b32 v11, v80, v81, s29
	v_pk_lshrrev_b16 v11, 2, v11
	v_pk_lshrrev_b16 v10, s30, v10
	v_and_b32_e32 v11, 0xf0f3030, v11
	v_and_or_b32 v40, v10, s31, v11
.LBB131_5:                              ;   in Loop: Header=BB131_3 Depth=1
	s_andn2_saveexec_b64 s[22:23], s[22:23]
	s_cbranch_execz .LBB131_7
; %bb.6:                                ;   in Loop: Header=BB131_3 Depth=1
	global_load_ushort v81, v[6:7], off offset:4
	global_load_ushort v80, v[6:7], off offset:8
	s_waitcnt vmcnt(0)
	v_perm_b32 v10, v81, v80, s29
	v_and_b32_e32 v40, 0x3f3f3f3f, v10
.LBB131_7:                              ;   in Loop: Header=BB131_3 Depth=1
	s_or_b64 exec, exec, s[22:23]
	v_mov_b32_e32 v10, s20
	v_add_u32_e32 v41, s12, v28
	v_mov_b32_e32 v11, s21
	v_mad_i64_i32 v[10:11], s[22:23], v41, s28, v[10:11]
                                        ; implicit-def: $vgpr84
                                        ; implicit-def: $vgpr85
	v_add_co_u32_e32 v41, vcc, v10, v30
	v_addc_co_u32_e32 v44, vcc, 0, v11, vcc
	v_add_co_u32_e32 v43, vcc, v41, v32
	v_addc_co_u32_e32 v44, vcc, 0, v44, vcc
	global_load_dword v41, v[8:9], off
	global_load_dword v67, v[43:44], off offset:16
	global_load_dword v66, v[43:44], off offset:32
	v_add_co_u32_e32 v8, vcc, v10, v42
	v_addc_co_u32_e32 v9, vcc, 0, v11, vcc
                                        ; implicit-def: $vgpr42
	s_and_saveexec_b64 s[22:23], s[0:1]
	s_xor_b64 s[22:23], exec, s[22:23]
	s_cbranch_execz .LBB131_9
; %bb.8:                                ;   in Loop: Header=BB131_3 Depth=1
	global_load_ushort v42, v[8:9], off
	global_load_ushort v84, v[8:9], off offset:8
	global_load_ushort v85, v[8:9], off offset:4
	s_waitcnt vmcnt(1)
	v_perm_b32 v42, v42, v84, s29
	s_waitcnt vmcnt(0)
	v_perm_b32 v43, v84, v85, s29
	v_pk_lshrrev_b16 v43, 2, v43
	v_pk_lshrrev_b16 v42, s30, v42
	v_and_b32_e32 v43, 0xf0f3030, v43
	v_and_or_b32 v42, v42, s31, v43
.LBB131_9:                              ;   in Loop: Header=BB131_3 Depth=1
	s_andn2_saveexec_b64 s[22:23], s[22:23]
	s_cbranch_execz .LBB131_11
; %bb.10:                               ;   in Loop: Header=BB131_3 Depth=1
	global_load_ushort v85, v[8:9], off offset:4
	global_load_ushort v84, v[8:9], off offset:8
	s_waitcnt vmcnt(0)
	v_perm_b32 v42, v85, v84, s29
	v_and_b32_e32 v42, 0x3f3f3f3f, v42
.LBB131_11:                             ;   in Loop: Header=BB131_3 Depth=1
	s_or_b64 exec, exec, s[22:23]
	v_add_u32_e32 v43, s13, v33
	v_mad_u64_u32 v[50:51], s[22:23], v43, 36, v[2:3]
	v_lshlrev_b32_e32 v88, 2, v31
	global_load_dword v10, v[10:11], off
	v_add_co_u32_e32 v52, vcc, v50, v88
	v_addc_co_u32_e32 v53, vcc, 0, v51, vcc
	global_load_dword v11, v[50:51], off
	global_load_dword v48, v[52:53], off offset:4
	global_load_dword v49, v[52:53], off offset:20
	;; [unrolled: 1-line block ×5, first 2 shown]
	v_lshrrev_b16_e32 v43, 4, v80
	v_lshrrev_b16_e32 v47, 2, v81
	v_and_b32_e32 v92, 0xf0f, v80
	v_and_b32_e32 v93, 0xf0f, v43
	v_and_b32_e32 v94, 0x3030, v47
                                        ; implicit-def: $vgpr51
                                        ; implicit-def: $vgpr50
	s_and_saveexec_b64 s[22:23], s[0:1]
	s_xor_b64 s[22:23], exec, s[22:23]
	s_cbranch_execz .LBB131_13
; %bb.12:                               ;   in Loop: Header=BB131_3 Depth=1
	global_load_ushort v43, v[6:7], off
	v_or_b32_e32 v50, v94, v93
	s_waitcnt vmcnt(0)
	v_lshrrev_b16_e32 v43, 2, v43
	v_and_b32_e32 v43, 0x3030, v43
	v_or_b32_e32 v51, v43, v92
.LBB131_13:                             ;   in Loop: Header=BB131_3 Depth=1
	s_or_saveexec_b64 s[22:23], s[22:23]
	v_and_b32_e32 v78, 0x3f3f, v81
	v_and_b32_e32 v79, 0x3f3f, v80
	s_xor_b64 exec, exec, s[22:23]
; %bb.14:                               ;   in Loop: Header=BB131_3 Depth=1
	v_and_b32_e32 v51, 0x3f3f, v81
	v_and_b32_e32 v50, 0x3f3f, v80
; %bb.15:                               ;   in Loop: Header=BB131_3 Depth=1
	s_or_b64 exec, exec, s[22:23]
	v_lshrrev_b16_e32 v43, 4, v84
	v_lshrrev_b16_e32 v47, 2, v85
	v_and_b32_e32 v95, 0xf0f, v84
	v_and_b32_e32 v96, 0xf0f, v43
	;; [unrolled: 1-line block ×3, first 2 shown]
                                        ; implicit-def: $vgpr53
                                        ; implicit-def: $vgpr52
	s_and_saveexec_b64 s[22:23], s[0:1]
	s_xor_b64 s[22:23], exec, s[22:23]
	s_cbranch_execz .LBB131_17
; %bb.16:                               ;   in Loop: Header=BB131_3 Depth=1
	global_load_ushort v43, v[8:9], off
	v_or_b32_e32 v52, v98, v96
	s_waitcnt vmcnt(0)
	v_lshrrev_b16_e32 v43, 2, v43
	v_and_b32_e32 v43, 0x3030, v43
	v_or_b32_e32 v53, v43, v95
.LBB131_17:                             ;   in Loop: Header=BB131_3 Depth=1
	s_or_saveexec_b64 s[22:23], s[22:23]
	v_and_b32_e32 v43, 0x3f3f, v85
	v_and_b32_e32 v47, 0x3f3f, v84
	s_xor_b64 exec, exec, s[22:23]
; %bb.18:                               ;   in Loop: Header=BB131_3 Depth=1
	v_and_b32_e32 v53, 0x3f3f, v85
	v_and_b32_e32 v52, 0x3f3f, v84
; %bb.19:                               ;   in Loop: Header=BB131_3 Depth=1
	s_or_b64 exec, exec, s[22:23]
	v_add_u32_e32 v54, s15, v33
	v_mad_u64_u32 v[60:61], s[22:23], v54, 36, v[2:3]
	v_add_co_u32_e32 v62, vcc, v60, v88
	v_addc_co_u32_e32 v63, vcc, 0, v61, vcc
	global_load_dword v54, v[60:61], off
	global_load_dword v58, v[62:63], off offset:4
	global_load_dword v59, v[62:63], off offset:20
	;; [unrolled: 1-line block ×5, first 2 shown]
                                        ; implicit-def: $vgpr61
                                        ; implicit-def: $vgpr60
	s_and_saveexec_b64 s[22:23], s[0:1]
	s_xor_b64 s[22:23], exec, s[22:23]
	s_cbranch_execz .LBB131_21
; %bb.20:                               ;   in Loop: Header=BB131_3 Depth=1
	global_load_ushort v60, v[6:7], off
	s_waitcnt vmcnt(0)
	v_lshrrev_b16_e32 v60, 2, v60
	v_and_b32_e32 v60, 0x3030, v60
	v_or_b32_e32 v61, v60, v92
	v_or_b32_e32 v60, v94, v93
	s_andn2_saveexec_b64 s[22:23], s[22:23]
	s_branch .LBB131_22
.LBB131_21:                             ;   in Loop: Header=BB131_3 Depth=1
	s_andn2_saveexec_b64 s[22:23], s[22:23]
.LBB131_22:                             ;   in Loop: Header=BB131_3 Depth=1
	v_and_b32_e32 v61, 0x3f3f, v81
	v_and_b32_e32 v60, 0x3f3f, v80
; %bb.23:                               ;   in Loop: Header=BB131_3 Depth=1
	s_or_b64 exec, exec, s[22:23]
                                        ; implicit-def: $vgpr63
                                        ; implicit-def: $vgpr62
	s_and_saveexec_b64 s[22:23], s[0:1]
	s_xor_b64 s[22:23], exec, s[22:23]
	s_cbranch_execz .LBB131_25
; %bb.24:                               ;   in Loop: Header=BB131_3 Depth=1
	global_load_ushort v62, v[8:9], off
	s_waitcnt vmcnt(0)
	v_lshrrev_b16_e32 v62, 2, v62
	v_and_b32_e32 v62, 0x3030, v62
	v_or_b32_e32 v63, v62, v95
	v_or_b32_e32 v62, v98, v96
	s_andn2_saveexec_b64 s[22:23], s[22:23]
	s_cbranch_execnz .LBB131_26
	s_branch .LBB131_27
.LBB131_25:                             ;   in Loop: Header=BB131_3 Depth=1
	s_andn2_saveexec_b64 s[22:23], s[22:23]
.LBB131_26:                             ;   in Loop: Header=BB131_3 Depth=1
	v_and_b32_e32 v63, 0x3f3f, v85
	v_and_b32_e32 v62, 0x3f3f, v84
.LBB131_27:                             ;   in Loop: Header=BB131_3 Depth=1
	s_or_b64 exec, exec, s[22:23]
	v_add_u32_e32 v68, s19, v33
	v_mad_u64_u32 v[74:75], s[22:23], v68, 36, v[2:3]
	v_add_co_u32_e32 v76, vcc, v74, v88
	v_addc_co_u32_e32 v77, vcc, 0, v75, vcc
	global_load_dword v68, v[74:75], off
	global_load_dword v72, v[76:77], off offset:4
	global_load_dword v73, v[76:77], off offset:20
	;; [unrolled: 1-line block ×5, first 2 shown]
                                        ; implicit-def: $vgpr75
                                        ; implicit-def: $vgpr74
	s_and_saveexec_b64 s[22:23], s[0:1]
	s_xor_b64 s[22:23], exec, s[22:23]
	s_cbranch_execz .LBB131_29
; %bb.28:                               ;   in Loop: Header=BB131_3 Depth=1
	global_load_ushort v74, v[6:7], off
	s_waitcnt vmcnt(0)
	v_lshrrev_b16_e32 v74, 2, v74
	v_and_b32_e32 v74, 0x3030, v74
	v_or_b32_e32 v75, v74, v92
	v_or_b32_e32 v74, v94, v93
	s_andn2_saveexec_b64 s[22:23], s[22:23]
	s_branch .LBB131_30
.LBB131_29:                             ;   in Loop: Header=BB131_3 Depth=1
	s_andn2_saveexec_b64 s[22:23], s[22:23]
.LBB131_30:                             ;   in Loop: Header=BB131_3 Depth=1
	v_and_b32_e32 v75, 0x3f3f, v81
	v_and_b32_e32 v74, 0x3f3f, v80
; %bb.31:                               ;   in Loop: Header=BB131_3 Depth=1
	s_or_b64 exec, exec, s[22:23]
                                        ; implicit-def: $vgpr77
                                        ; implicit-def: $vgpr76
	s_and_saveexec_b64 s[22:23], s[0:1]
	s_xor_b64 s[22:23], exec, s[22:23]
	s_cbranch_execz .LBB131_33
; %bb.32:                               ;   in Loop: Header=BB131_3 Depth=1
	global_load_ushort v76, v[8:9], off
	s_waitcnt vmcnt(0)
	v_lshrrev_b16_e32 v76, 2, v76
	v_and_b32_e32 v76, 0x3030, v76
	v_or_b32_e32 v77, v76, v95
	v_or_b32_e32 v76, v98, v96
	s_andn2_saveexec_b64 s[22:23], s[22:23]
	s_cbranch_execnz .LBB131_34
	s_branch .LBB131_35
.LBB131_33:                             ;   in Loop: Header=BB131_3 Depth=1
	s_andn2_saveexec_b64 s[22:23], s[22:23]
.LBB131_34:                             ;   in Loop: Header=BB131_3 Depth=1
	v_and_b32_e32 v77, 0x3f3f, v85
	v_and_b32_e32 v76, 0x3f3f, v84
.LBB131_35:                             ;   in Loop: Header=BB131_3 Depth=1
	s_or_b64 exec, exec, s[22:23]
	v_add_u32_e32 v82, s24, v33
	v_mad_u64_u32 v[99:100], s[22:23], v82, 36, v[2:3]
                                        ; implicit-def: $vgpr97
	v_add_co_u32_e32 v101, vcc, v99, v88
	v_addc_co_u32_e32 v102, vcc, 0, v100, vcc
	global_load_dword v82, v[99:100], off
	global_load_dword v90, v[101:102], off offset:4
	global_load_dword v91, v[101:102], off offset:20
	;; [unrolled: 1-line block ×5, first 2 shown]
                                        ; implicit-def: $vgpr99
	s_and_saveexec_b64 s[22:23], s[0:1]
	s_xor_b64 s[22:23], exec, s[22:23]
	s_cbranch_execz .LBB131_37
; %bb.36:                               ;   in Loop: Header=BB131_3 Depth=1
	global_load_ushort v89, v[6:7], off
	v_or_b32_e32 v97, v94, v93
	s_waitcnt vmcnt(0)
	v_lshrrev_b16_e32 v89, 2, v89
	v_and_b32_e32 v89, 0x3030, v89
	v_or_b32_e32 v99, v89, v92
	s_andn2_saveexec_b64 s[22:23], s[22:23]
	s_branch .LBB131_38
.LBB131_37:                             ;   in Loop: Header=BB131_3 Depth=1
	s_andn2_saveexec_b64 s[22:23], s[22:23]
.LBB131_38:                             ;   in Loop: Header=BB131_3 Depth=1
	v_and_b32_e32 v99, 0x3f3f, v81
	v_and_b32_e32 v97, 0x3f3f, v80
; %bb.39:                               ;   in Loop: Header=BB131_3 Depth=1
	s_or_b64 exec, exec, s[22:23]
                                        ; implicit-def: $vgpr101
                                        ; implicit-def: $vgpr100
	s_and_saveexec_b64 s[22:23], s[0:1]
	s_xor_b64 s[22:23], exec, s[22:23]
	s_cbranch_execz .LBB131_41
; %bb.40:                               ;   in Loop: Header=BB131_3 Depth=1
	global_load_ushort v89, v[8:9], off
	v_or_b32_e32 v100, v98, v96
	s_waitcnt vmcnt(0)
	v_lshrrev_b16_e32 v89, 2, v89
	v_and_b32_e32 v89, 0x3030, v89
	v_or_b32_e32 v101, v89, v95
	s_andn2_saveexec_b64 s[22:23], s[22:23]
	s_cbranch_execnz .LBB131_42
	s_branch .LBB131_43
.LBB131_41:                             ;   in Loop: Header=BB131_3 Depth=1
	s_andn2_saveexec_b64 s[22:23], s[22:23]
.LBB131_42:                             ;   in Loop: Header=BB131_3 Depth=1
	v_and_b32_e32 v101, 0x3f3f, v85
	v_and_b32_e32 v100, 0x3f3f, v84
.LBB131_43:                             ;   in Loop: Header=BB131_3 Depth=1
	s_or_b64 exec, exec, s[22:23]
	v_add_u32_e32 v89, s25, v33
	v_mad_u64_u32 v[108:109], s[22:23], v89, 36, v[2:3]
	v_add_co_u32_e32 v110, vcc, v108, v88
	v_addc_co_u32_e32 v111, vcc, 0, v109, vcc
	global_load_dword v102, v[108:109], off
	global_load_dword v106, v[110:111], off offset:4
	global_load_dword v107, v[110:111], off offset:20
	;; [unrolled: 1-line block ×5, first 2 shown]
                                        ; implicit-def: $vgpr109
                                        ; implicit-def: $vgpr108
	s_and_saveexec_b64 s[22:23], s[0:1]
	s_xor_b64 s[22:23], exec, s[22:23]
	s_cbranch_execz .LBB131_45
; %bb.44:                               ;   in Loop: Header=BB131_3 Depth=1
	global_load_ushort v89, v[6:7], off
	v_or_b32_e32 v108, v94, v93
	s_waitcnt vmcnt(0)
	v_lshrrev_b16_e32 v89, 2, v89
	v_and_b32_e32 v89, 0x3030, v89
	v_or_b32_e32 v109, v89, v92
	s_andn2_saveexec_b64 s[22:23], s[22:23]
	s_branch .LBB131_46
.LBB131_45:                             ;   in Loop: Header=BB131_3 Depth=1
	s_andn2_saveexec_b64 s[22:23], s[22:23]
.LBB131_46:                             ;   in Loop: Header=BB131_3 Depth=1
	v_and_b32_e32 v109, 0x3f3f, v81
	v_and_b32_e32 v108, 0x3f3f, v80
; %bb.47:                               ;   in Loop: Header=BB131_3 Depth=1
	s_or_b64 exec, exec, s[22:23]
                                        ; implicit-def: $vgpr111
                                        ; implicit-def: $vgpr110
	s_and_saveexec_b64 s[22:23], s[0:1]
	s_xor_b64 s[22:23], exec, s[22:23]
	s_cbranch_execz .LBB131_49
; %bb.48:                               ;   in Loop: Header=BB131_3 Depth=1
	global_load_ushort v89, v[8:9], off
	v_or_b32_e32 v110, v98, v96
	s_waitcnt vmcnt(0)
	v_lshrrev_b16_e32 v89, 2, v89
	v_and_b32_e32 v89, 0x3030, v89
	v_or_b32_e32 v111, v89, v95
	s_andn2_saveexec_b64 s[22:23], s[22:23]
	s_cbranch_execnz .LBB131_50
	s_branch .LBB131_51
.LBB131_49:                             ;   in Loop: Header=BB131_3 Depth=1
	s_andn2_saveexec_b64 s[22:23], s[22:23]
.LBB131_50:                             ;   in Loop: Header=BB131_3 Depth=1
	v_and_b32_e32 v111, 0x3f3f, v85
	v_and_b32_e32 v110, 0x3f3f, v84
.LBB131_51:                             ;   in Loop: Header=BB131_3 Depth=1
	s_or_b64 exec, exec, s[22:23]
	v_add_u32_e32 v89, s26, v33
	v_mad_u64_u32 v[118:119], s[22:23], v89, 36, v[2:3]
	v_add_co_u32_e32 v120, vcc, v118, v88
	v_addc_co_u32_e32 v121, vcc, 0, v119, vcc
	global_load_dword v112, v[118:119], off
	global_load_dword v116, v[120:121], off offset:4
	global_load_dword v117, v[120:121], off offset:20
	;; [unrolled: 1-line block ×5, first 2 shown]
                                        ; implicit-def: $vgpr119
                                        ; implicit-def: $vgpr118
	s_and_saveexec_b64 s[22:23], s[0:1]
	s_xor_b64 s[22:23], exec, s[22:23]
	s_cbranch_execz .LBB131_53
; %bb.52:                               ;   in Loop: Header=BB131_3 Depth=1
	global_load_ushort v80, v[6:7], off
	v_or_b32_e32 v118, v94, v93
                                        ; implicit-def: $vgpr81
	s_waitcnt vmcnt(0)
	v_lshrrev_b16_e32 v80, 2, v80
	v_and_b32_e32 v80, 0x3030, v80
	v_or_b32_e32 v119, v80, v92
                                        ; implicit-def: $vgpr80
	s_andn2_saveexec_b64 s[22:23], s[22:23]
	s_branch .LBB131_54
.LBB131_53:                             ;   in Loop: Header=BB131_3 Depth=1
	s_andn2_saveexec_b64 s[22:23], s[22:23]
.LBB131_54:                             ;   in Loop: Header=BB131_3 Depth=1
	v_and_b32_e32 v119, 0x3f3f, v81
	v_and_b32_e32 v118, 0x3f3f, v80
; %bb.55:                               ;   in Loop: Header=BB131_3 Depth=1
	s_or_b64 exec, exec, s[22:23]
                                        ; implicit-def: $vgpr121
                                        ; implicit-def: $vgpr120
	s_and_saveexec_b64 s[22:23], s[0:1]
	s_xor_b64 s[22:23], exec, s[22:23]
	s_cbranch_execz .LBB131_57
; %bb.56:                               ;   in Loop: Header=BB131_3 Depth=1
	global_load_ushort v80, v[8:9], off
	v_or_b32_e32 v120, v98, v96
                                        ; implicit-def: $vgpr85
                                        ; implicit-def: $vgpr84
	s_waitcnt vmcnt(0)
	v_lshrrev_b16_e32 v80, 2, v80
	v_and_b32_e32 v80, 0x3030, v80
	v_or_b32_e32 v121, v80, v95
	s_andn2_saveexec_b64 s[22:23], s[22:23]
	s_cbranch_execnz .LBB131_58
	s_branch .LBB131_59
.LBB131_57:                             ;   in Loop: Header=BB131_3 Depth=1
	s_andn2_saveexec_b64 s[22:23], s[22:23]
.LBB131_58:                             ;   in Loop: Header=BB131_3 Depth=1
	v_and_b32_e32 v121, 0x3f3f, v85
	v_and_b32_e32 v120, 0x3f3f, v84
.LBB131_59:                             ;   in Loop: Header=BB131_3 Depth=1
	s_or_b64 exec, exec, s[22:23]
	v_add_u32_e32 v80, s27, v33
	v_mad_u64_u32 v[122:123], s[22:23], v80, 36, v[2:3]
	v_add_co_u32_e32 v124, vcc, v122, v88
	v_addc_co_u32_e32 v125, vcc, 0, v123, vcc
	global_load_dword v80, v[122:123], off
	global_load_dword v88, v[124:125], off offset:4
	global_load_dword v89, v[124:125], off offset:20
	;; [unrolled: 1-line block ×5, first 2 shown]
	s_and_saveexec_b64 s[22:23], s[0:1]
	s_xor_b64 s[22:23], exec, s[22:23]
	s_cbranch_execz .LBB131_61
; %bb.60:                               ;   in Loop: Header=BB131_3 Depth=1
	global_load_ushort v6, v[6:7], off
	v_or_b32_e32 v79, v94, v93
	s_waitcnt vmcnt(0)
	v_lshrrev_b16_e32 v6, 2, v6
	v_and_b32_e32 v6, 0x3030, v6
	v_or_b32_e32 v78, v6, v92
.LBB131_61:                             ;   in Loop: Header=BB131_3 Depth=1
	s_andn2_saveexec_b64 s[22:23], s[22:23]
	s_or_b64 exec, exec, s[22:23]
	s_and_saveexec_b64 s[22:23], s[0:1]
	s_xor_b64 s[22:23], exec, s[22:23]
	s_cbranch_execz .LBB131_2
; %bb.62:                               ;   in Loop: Header=BB131_3 Depth=1
	global_load_ushort v6, v[8:9], off
	v_or_b32_e32 v47, v98, v96
	s_waitcnt vmcnt(0)
	v_lshrrev_b16_e32 v6, 2, v6
	v_and_b32_e32 v6, 0x3030, v6
	v_or_b32_e32 v43, v6, v95
	s_branch .LBB131_2
.LBB131_63:
	s_or_b64 exec, exec, s[16:17]
.LBB131_64:
	s_or_b64 exec, exec, s[10:11]
	s_mov_b32 s1, 0
	v_cmp_eq_u32_e32 vcc, 0, v1
	; wave barrier
	s_and_saveexec_b64 s[10:11], vcc
	s_cbranch_execz .LBB131_81
; %bb.65:
	v_mbcnt_lo_u32_b32 v1, -1, 0
	v_mbcnt_hi_u32_b32 v6, -1, v1
	v_and_b32_e32 v1, 64, v6
	v_add_u32_e32 v7, 64, v1
	v_xor_b32_e32 v1, 32, v6
	v_cmp_lt_i32_e32 vcc, v1, v7
	v_cndmask_b32_e32 v1, v6, v1, vcc
	v_lshlrev_b32_e32 v1, 2, v1
	ds_bpermute_b32 v5, v1, v27
	ds_bpermute_b32 v8, v1, v26
	v_xor_b32_e32 v2, 16, v6
	v_cmp_lt_i32_e32 vcc, v2, v7
	v_cndmask_b32_e32 v2, v6, v2, vcc
	v_lshlrev_b32_e32 v2, 2, v2
	s_waitcnt lgkmcnt(1)
	v_add_f32_e32 v5, v27, v5
	s_waitcnt lgkmcnt(0)
	v_add_f32_e32 v8, v26, v8
	ds_bpermute_b32 v10, v2, v5
	ds_bpermute_b32 v11, v2, v8
	v_xor_b32_e32 v3, 8, v6
	v_cmp_lt_i32_e32 vcc, v3, v7
	v_cndmask_b32_e32 v3, v6, v3, vcc
	v_lshlrev_b32_e32 v3, 2, v3
	s_waitcnt lgkmcnt(1)
	v_add_f32_e32 v10, v5, v10
	s_waitcnt lgkmcnt(0)
	v_add_f32_e32 v8, v8, v11
	;; [unrolled: 10-line block ×3, first 2 shown]
	ds_bpermute_b32 v26, v4, v10
	ds_bpermute_b32 v11, v4, v8
	v_xor_b32_e32 v9, 2, v6
	v_cmp_lt_i32_e32 vcc, v9, v7
	v_cndmask_b32_e32 v9, v6, v9, vcc
	v_lshlrev_b32_e32 v5, 2, v9
	v_xor_b32_e32 v9, 1, v6
	v_cmp_lt_i32_e32 vcc, v9, v7
	s_waitcnt lgkmcnt(1)
	v_add_f32_e32 v7, v10, v26
	s_waitcnt lgkmcnt(0)
	v_add_f32_e32 v10, v8, v11
	v_cndmask_b32_e32 v6, v6, v9, vcc
	ds_bpermute_b32 v9, v5, v7
	ds_bpermute_b32 v11, v5, v10
	s_load_dwordx2 s[4:5], s[4:5], 0x38
	s_mul_i32 s2, s2, s7
	v_lshlrev_b32_e32 v8, 2, v6
	s_waitcnt lgkmcnt(0)
	v_add_f32_e32 v6, v7, v9
	v_add_f32_e32 v9, v10, v11
	s_mul_i32 s0, s18, s8
	s_add_i32 s2, s2, s6
	ds_bpermute_b32 v7, v8, v6
	ds_bpermute_b32 v10, v8, v9
	s_add_i32 s0, s2, s0
	s_lshl_b64 s[0:1], s[0:1], 2
	s_add_u32 s2, s4, s0
	v_add_u32_e32 v11, s6, v0
	s_addc_u32 s3, s5, s1
	v_cmp_gt_u32_e32 vcc, 2, v0
	v_cmp_gt_u32_e64 s[0:1], s14, v11
	s_and_b64 s[0:1], vcc, s[0:1]
	s_waitcnt lgkmcnt(1)
	v_add_f32_e32 v6, v6, v7
	s_waitcnt lgkmcnt(0)
	v_add_f32_e32 v7, v9, v10
	s_and_saveexec_b64 s[4:5], s[0:1]
	s_cbranch_execz .LBB131_67
; %bb.66:
	v_cmp_eq_u32_e32 vcc, 1, v0
	v_cndmask_b32_e32 v9, v6, v7, vcc
	v_cmp_eq_u32_e32 vcc, 2, v0
	v_cndmask_b32_e32 v9, v9, v25, vcc
	;; [unrolled: 2-line block ×15, first 2 shown]
	v_lshlrev_b32_e32 v10, 2, v0
	global_store_dword v10, v9, s[2:3]
.LBB131_67:
	s_or_b64 exec, exec, s[4:5]
	ds_bpermute_b32 v9, v1, v25
	ds_bpermute_b32 v10, v1, v24
	s_waitcnt lgkmcnt(1)
	v_add_f32_e32 v9, v25, v9
	s_waitcnt lgkmcnt(0)
	v_add_f32_e32 v10, v24, v10
	ds_bpermute_b32 v11, v2, v9
	ds_bpermute_b32 v24, v2, v10
	s_waitcnt lgkmcnt(1)
	v_add_f32_e32 v9, v9, v11
	s_waitcnt lgkmcnt(0)
	v_add_f32_e32 v10, v10, v24
	;; [unrolled: 6-line block ×6, first 2 shown]
	s_and_saveexec_b64 s[4:5], s[0:1]
	s_cbranch_execz .LBB131_69
; %bb.68:
	v_add_u32_e32 v11, 2, v0
	v_cmp_eq_u32_e32 vcc, 1, v11
	v_cndmask_b32_e32 v24, v6, v7, vcc
	v_cmp_eq_u32_e32 vcc, 2, v11
	v_cndmask_b32_e32 v24, v24, v10, vcc
	;; [unrolled: 2-line block ×15, first 2 shown]
	v_add_u32_e32 v24, s14, v0
	v_mov_b32_e32 v25, 0
	v_lshlrev_b64 v[24:25], 2, v[24:25]
	v_mov_b32_e32 v26, s3
	v_add_co_u32_e32 v24, vcc, s2, v24
	v_addc_co_u32_e32 v25, vcc, v26, v25, vcc
	global_store_dword v[24:25], v11, off
.LBB131_69:
	s_or_b64 exec, exec, s[4:5]
	ds_bpermute_b32 v11, v1, v23
	ds_bpermute_b32 v24, v1, v22
	s_waitcnt lgkmcnt(1)
	v_add_f32_e32 v11, v23, v11
	s_waitcnt lgkmcnt(0)
	v_add_f32_e32 v22, v22, v24
	ds_bpermute_b32 v23, v2, v11
	ds_bpermute_b32 v24, v2, v22
	s_waitcnt lgkmcnt(1)
	v_add_f32_e32 v11, v11, v23
	s_waitcnt lgkmcnt(0)
	v_add_f32_e32 v22, v22, v24
	;; [unrolled: 6-line block ×6, first 2 shown]
	s_and_saveexec_b64 s[4:5], s[0:1]
	s_cbranch_execz .LBB131_71
; %bb.70:
	v_add_u32_e32 v23, 4, v0
	v_cmp_eq_u32_e32 vcc, 1, v23
	v_cndmask_b32_e32 v24, v6, v7, vcc
	v_cmp_eq_u32_e32 vcc, 2, v23
	v_cndmask_b32_e32 v24, v24, v10, vcc
	;; [unrolled: 2-line block ×15, first 2 shown]
	v_lshl_or_b32 v23, s14, 1, v0
	v_mov_b32_e32 v24, 0
	v_lshlrev_b64 v[23:24], 2, v[23:24]
	v_mov_b32_e32 v26, s3
	v_add_co_u32_e32 v23, vcc, s2, v23
	v_addc_co_u32_e32 v24, vcc, v26, v24, vcc
	global_store_dword v[23:24], v25, off
.LBB131_71:
	s_or_b64 exec, exec, s[4:5]
	ds_bpermute_b32 v23, v1, v21
	ds_bpermute_b32 v24, v1, v20
	s_waitcnt lgkmcnt(1)
	v_add_f32_e32 v21, v21, v23
	s_waitcnt lgkmcnt(0)
	v_add_f32_e32 v20, v20, v24
	ds_bpermute_b32 v23, v2, v21
	ds_bpermute_b32 v24, v2, v20
	s_waitcnt lgkmcnt(1)
	v_add_f32_e32 v21, v21, v23
	s_waitcnt lgkmcnt(0)
	v_add_f32_e32 v20, v20, v24
	;; [unrolled: 6-line block ×6, first 2 shown]
	s_and_saveexec_b64 s[4:5], s[0:1]
	s_cbranch_execz .LBB131_73
; %bb.72:
	v_add_u32_e32 v25, 6, v0
	v_cmp_eq_u32_e32 vcc, 1, v25
	v_cndmask_b32_e32 v23, v6, v7, vcc
	v_cmp_eq_u32_e32 vcc, 2, v25
	v_cndmask_b32_e32 v23, v23, v10, vcc
	;; [unrolled: 2-line block ×14, first 2 shown]
	v_mad_u64_u32 v[23:24], s[6:7], s14, 3, v[0:1]
	v_mov_b32_e32 v24, 0
	v_cmp_eq_u32_e32 vcc, 15, v25
	v_lshlrev_b64 v[23:24], 2, v[23:24]
	v_cndmask_b32_e32 v25, v26, v12, vcc
	v_mov_b32_e32 v26, s3
	v_add_co_u32_e32 v23, vcc, s2, v23
	v_addc_co_u32_e32 v24, vcc, v26, v24, vcc
	global_store_dword v[23:24], v25, off
.LBB131_73:
	s_or_b64 exec, exec, s[4:5]
	ds_bpermute_b32 v23, v1, v19
	ds_bpermute_b32 v24, v1, v18
	s_waitcnt lgkmcnt(1)
	v_add_f32_e32 v19, v19, v23
	s_waitcnt lgkmcnt(0)
	v_add_f32_e32 v18, v18, v24
	ds_bpermute_b32 v23, v2, v19
	ds_bpermute_b32 v24, v2, v18
	s_waitcnt lgkmcnt(1)
	v_add_f32_e32 v19, v19, v23
	s_waitcnt lgkmcnt(0)
	v_add_f32_e32 v18, v18, v24
	;; [unrolled: 6-line block ×6, first 2 shown]
	s_and_saveexec_b64 s[4:5], s[0:1]
	s_cbranch_execz .LBB131_75
; %bb.74:
	v_add_u32_e32 v23, 8, v0
	v_cmp_eq_u32_e32 vcc, 1, v23
	v_cndmask_b32_e32 v24, v6, v7, vcc
	v_cmp_eq_u32_e32 vcc, 2, v23
	v_cndmask_b32_e32 v24, v24, v10, vcc
	;; [unrolled: 2-line block ×15, first 2 shown]
	v_lshl_or_b32 v23, s14, 2, v0
	v_mov_b32_e32 v24, 0
	v_lshlrev_b64 v[23:24], 2, v[23:24]
	v_mov_b32_e32 v26, s3
	v_add_co_u32_e32 v23, vcc, s2, v23
	v_addc_co_u32_e32 v24, vcc, v26, v24, vcc
	global_store_dword v[23:24], v25, off
.LBB131_75:
	s_or_b64 exec, exec, s[4:5]
	ds_bpermute_b32 v23, v1, v17
	ds_bpermute_b32 v24, v1, v16
	s_waitcnt lgkmcnt(1)
	v_add_f32_e32 v17, v17, v23
	s_waitcnt lgkmcnt(0)
	v_add_f32_e32 v16, v16, v24
	ds_bpermute_b32 v23, v2, v17
	ds_bpermute_b32 v24, v2, v16
	s_waitcnt lgkmcnt(1)
	v_add_f32_e32 v17, v17, v23
	s_waitcnt lgkmcnt(0)
	v_add_f32_e32 v16, v16, v24
	;; [unrolled: 6-line block ×6, first 2 shown]
	s_and_saveexec_b64 s[4:5], s[0:1]
	s_cbranch_execz .LBB131_77
; %bb.76:
	v_add_u32_e32 v25, 10, v0
	v_cmp_eq_u32_e32 vcc, 1, v25
	v_cndmask_b32_e32 v23, v6, v7, vcc
	v_cmp_eq_u32_e32 vcc, 2, v25
	v_cndmask_b32_e32 v23, v23, v10, vcc
	;; [unrolled: 2-line block ×14, first 2 shown]
	v_mad_u64_u32 v[23:24], s[6:7], s14, 5, v[0:1]
	v_mov_b32_e32 v24, 0
	v_cmp_eq_u32_e32 vcc, 15, v25
	v_lshlrev_b64 v[23:24], 2, v[23:24]
	v_cndmask_b32_e32 v25, v26, v12, vcc
	v_mov_b32_e32 v26, s3
	v_add_co_u32_e32 v23, vcc, s2, v23
	v_addc_co_u32_e32 v24, vcc, v26, v24, vcc
	global_store_dword v[23:24], v25, off
.LBB131_77:
	s_or_b64 exec, exec, s[4:5]
	ds_bpermute_b32 v23, v1, v15
	ds_bpermute_b32 v24, v1, v14
	s_waitcnt lgkmcnt(1)
	v_add_f32_e32 v15, v15, v23
	s_waitcnt lgkmcnt(0)
	v_add_f32_e32 v14, v14, v24
	ds_bpermute_b32 v23, v2, v15
	ds_bpermute_b32 v24, v2, v14
	s_waitcnt lgkmcnt(1)
	v_add_f32_e32 v15, v15, v23
	s_waitcnt lgkmcnt(0)
	v_add_f32_e32 v14, v14, v24
	;; [unrolled: 6-line block ×6, first 2 shown]
	s_and_saveexec_b64 s[4:5], s[0:1]
	s_cbranch_execz .LBB131_79
; %bb.78:
	v_add_u32_e32 v23, 12, v0
	v_cmp_eq_u32_e32 vcc, 1, v23
	v_cndmask_b32_e32 v24, v6, v7, vcc
	v_cmp_eq_u32_e32 vcc, 2, v23
	v_cndmask_b32_e32 v24, v24, v10, vcc
	;; [unrolled: 2-line block ×14, first 2 shown]
	v_cmp_eq_u32_e32 vcc, 15, v23
	s_mul_i32 s6, s14, 6
	v_cndmask_b32_e32 v25, v24, v12, vcc
	v_or_b32_e32 v23, s6, v0
	v_mov_b32_e32 v24, 0
	v_lshlrev_b64 v[23:24], 2, v[23:24]
	v_mov_b32_e32 v26, s3
	v_add_co_u32_e32 v23, vcc, s2, v23
	v_addc_co_u32_e32 v24, vcc, v26, v24, vcc
	global_store_dword v[23:24], v25, off
.LBB131_79:
	s_or_b64 exec, exec, s[4:5]
	ds_bpermute_b32 v23, v1, v13
	ds_bpermute_b32 v1, v1, v12
	s_waitcnt lgkmcnt(1)
	v_add_f32_e32 v13, v13, v23
	s_waitcnt lgkmcnt(0)
	v_add_f32_e32 v1, v12, v1
	ds_bpermute_b32 v12, v2, v13
	ds_bpermute_b32 v2, v2, v1
	s_waitcnt lgkmcnt(1)
	v_add_f32_e32 v12, v13, v12
	s_waitcnt lgkmcnt(0)
	v_add_f32_e32 v1, v1, v2
	;; [unrolled: 6-line block ×5, first 2 shown]
	ds_bpermute_b32 v3, v8, v1
	ds_bpermute_b32 v4, v8, v2
	s_and_b64 exec, exec, s[0:1]
	s_cbranch_execz .LBB131_81
; %bb.80:
	s_waitcnt lgkmcnt(1)
	v_add_f32_e32 v1, v1, v3
	v_add_u32_e32 v3, 14, v0
	v_cmp_eq_u32_e32 vcc, 1, v3
	s_waitcnt lgkmcnt(0)
	v_add_f32_e32 v2, v2, v4
	v_cndmask_b32_e32 v4, v6, v7, vcc
	v_cmp_eq_u32_e32 vcc, 2, v3
	v_cndmask_b32_e32 v4, v4, v10, vcc
	v_cmp_eq_u32_e32 vcc, 3, v3
	;; [unrolled: 2-line block ×13, first 2 shown]
	v_cndmask_b32_e32 v4, v4, v1, vcc
	v_mad_u64_u32 v[0:1], s[0:1], s14, 7, v[0:1]
	v_mov_b32_e32 v1, 0
	v_cmp_eq_u32_e32 vcc, 15, v3
	v_lshlrev_b64 v[0:1], 2, v[0:1]
	v_cndmask_b32_e32 v2, v4, v2, vcc
	v_mov_b32_e32 v3, s3
	v_add_co_u32_e32 v0, vcc, s2, v0
	v_addc_co_u32_e32 v1, vcc, v3, v1, vcc
	global_store_dword v[0:1], v2, off
.LBB131_81:
	s_endpgm
	.section	.rodata,"a",@progbits
	.p2align	6, 0x0
	.amdhsa_kernel _ZL13mul_mat_vec_qIL9ggml_type12ELi8ELb0ELb0EEvPKvS2_PKi31ggml_cuda_mm_fusion_args_devicePfj15HIP_vector_typeIjLj3EEjjjS8_jjjS8_jjjj
		.amdhsa_group_segment_fixed_size 0
		.amdhsa_private_segment_fixed_size 0
		.amdhsa_kernarg_size 144
		.amdhsa_user_sgpr_count 6
		.amdhsa_user_sgpr_private_segment_buffer 1
		.amdhsa_user_sgpr_dispatch_ptr 0
		.amdhsa_user_sgpr_queue_ptr 0
		.amdhsa_user_sgpr_kernarg_segment_ptr 1
		.amdhsa_user_sgpr_dispatch_id 0
		.amdhsa_user_sgpr_flat_scratch_init 0
		.amdhsa_user_sgpr_private_segment_size 0
		.amdhsa_uses_dynamic_stack 0
		.amdhsa_system_sgpr_private_segment_wavefront_offset 0
		.amdhsa_system_sgpr_workgroup_id_x 1
		.amdhsa_system_sgpr_workgroup_id_y 1
		.amdhsa_system_sgpr_workgroup_id_z 1
		.amdhsa_system_sgpr_workgroup_info 0
		.amdhsa_system_vgpr_workitem_id 1
		.amdhsa_next_free_vgpr 126
		.amdhsa_next_free_sgpr 35
		.amdhsa_reserve_vcc 1
		.amdhsa_reserve_flat_scratch 0
		.amdhsa_float_round_mode_32 0
		.amdhsa_float_round_mode_16_64 0
		.amdhsa_float_denorm_mode_32 3
		.amdhsa_float_denorm_mode_16_64 3
		.amdhsa_dx10_clamp 1
		.amdhsa_ieee_mode 1
		.amdhsa_fp16_overflow 0
		.amdhsa_exception_fp_ieee_invalid_op 0
		.amdhsa_exception_fp_denorm_src 0
		.amdhsa_exception_fp_ieee_div_zero 0
		.amdhsa_exception_fp_ieee_overflow 0
		.amdhsa_exception_fp_ieee_underflow 0
		.amdhsa_exception_fp_ieee_inexact 0
		.amdhsa_exception_int_div_zero 0
	.end_amdhsa_kernel
	.section	.text._ZL13mul_mat_vec_qIL9ggml_type12ELi8ELb0ELb0EEvPKvS2_PKi31ggml_cuda_mm_fusion_args_devicePfj15HIP_vector_typeIjLj3EEjjjS8_jjjS8_jjjj,"axG",@progbits,_ZL13mul_mat_vec_qIL9ggml_type12ELi8ELb0ELb0EEvPKvS2_PKi31ggml_cuda_mm_fusion_args_devicePfj15HIP_vector_typeIjLj3EEjjjS8_jjjS8_jjjj,comdat
.Lfunc_end131:
	.size	_ZL13mul_mat_vec_qIL9ggml_type12ELi8ELb0ELb0EEvPKvS2_PKi31ggml_cuda_mm_fusion_args_devicePfj15HIP_vector_typeIjLj3EEjjjS8_jjjS8_jjjj, .Lfunc_end131-_ZL13mul_mat_vec_qIL9ggml_type12ELi8ELb0ELb0EEvPKvS2_PKi31ggml_cuda_mm_fusion_args_devicePfj15HIP_vector_typeIjLj3EEjjjS8_jjjS8_jjjj
                                        ; -- End function
	.set _ZL13mul_mat_vec_qIL9ggml_type12ELi8ELb0ELb0EEvPKvS2_PKi31ggml_cuda_mm_fusion_args_devicePfj15HIP_vector_typeIjLj3EEjjjS8_jjjS8_jjjj.num_vgpr, 126
	.set _ZL13mul_mat_vec_qIL9ggml_type12ELi8ELb0ELb0EEvPKvS2_PKi31ggml_cuda_mm_fusion_args_devicePfj15HIP_vector_typeIjLj3EEjjjS8_jjjS8_jjjj.num_agpr, 0
	.set _ZL13mul_mat_vec_qIL9ggml_type12ELi8ELb0ELb0EEvPKvS2_PKi31ggml_cuda_mm_fusion_args_devicePfj15HIP_vector_typeIjLj3EEjjjS8_jjjS8_jjjj.numbered_sgpr, 35
	.set _ZL13mul_mat_vec_qIL9ggml_type12ELi8ELb0ELb0EEvPKvS2_PKi31ggml_cuda_mm_fusion_args_devicePfj15HIP_vector_typeIjLj3EEjjjS8_jjjS8_jjjj.num_named_barrier, 0
	.set _ZL13mul_mat_vec_qIL9ggml_type12ELi8ELb0ELb0EEvPKvS2_PKi31ggml_cuda_mm_fusion_args_devicePfj15HIP_vector_typeIjLj3EEjjjS8_jjjS8_jjjj.private_seg_size, 0
	.set _ZL13mul_mat_vec_qIL9ggml_type12ELi8ELb0ELb0EEvPKvS2_PKi31ggml_cuda_mm_fusion_args_devicePfj15HIP_vector_typeIjLj3EEjjjS8_jjjS8_jjjj.uses_vcc, 1
	.set _ZL13mul_mat_vec_qIL9ggml_type12ELi8ELb0ELb0EEvPKvS2_PKi31ggml_cuda_mm_fusion_args_devicePfj15HIP_vector_typeIjLj3EEjjjS8_jjjS8_jjjj.uses_flat_scratch, 0
	.set _ZL13mul_mat_vec_qIL9ggml_type12ELi8ELb0ELb0EEvPKvS2_PKi31ggml_cuda_mm_fusion_args_devicePfj15HIP_vector_typeIjLj3EEjjjS8_jjjS8_jjjj.has_dyn_sized_stack, 0
	.set _ZL13mul_mat_vec_qIL9ggml_type12ELi8ELb0ELb0EEvPKvS2_PKi31ggml_cuda_mm_fusion_args_devicePfj15HIP_vector_typeIjLj3EEjjjS8_jjjS8_jjjj.has_recursion, 0
	.set _ZL13mul_mat_vec_qIL9ggml_type12ELi8ELb0ELb0EEvPKvS2_PKi31ggml_cuda_mm_fusion_args_devicePfj15HIP_vector_typeIjLj3EEjjjS8_jjjS8_jjjj.has_indirect_call, 0
	.section	.AMDGPU.csdata,"",@progbits
; Kernel info:
; codeLenInByte = 8536
; TotalNumSgprs: 39
; NumVgprs: 126
; ScratchSize: 0
; MemoryBound: 0
; FloatMode: 240
; IeeeMode: 1
; LDSByteSize: 0 bytes/workgroup (compile time only)
; SGPRBlocks: 4
; VGPRBlocks: 31
; NumSGPRsForWavesPerEU: 39
; NumVGPRsForWavesPerEU: 126
; Occupancy: 2
; WaveLimiterHint : 0
; COMPUTE_PGM_RSRC2:SCRATCH_EN: 0
; COMPUTE_PGM_RSRC2:USER_SGPR: 6
; COMPUTE_PGM_RSRC2:TRAP_HANDLER: 0
; COMPUTE_PGM_RSRC2:TGID_X_EN: 1
; COMPUTE_PGM_RSRC2:TGID_Y_EN: 1
; COMPUTE_PGM_RSRC2:TGID_Z_EN: 1
; COMPUTE_PGM_RSRC2:TIDIG_COMP_CNT: 1
	.section	.text._ZL17mul_mat_vec_q_moeIL9ggml_type13ELi2EEvPKvS2_PKiPfj15HIP_vector_typeIjLj3EEjjjjjjjjj,"axG",@progbits,_ZL17mul_mat_vec_q_moeIL9ggml_type13ELi2EEvPKvS2_PKiPfj15HIP_vector_typeIjLj3EEjjjjjjjjj,comdat
	.globl	_ZL17mul_mat_vec_q_moeIL9ggml_type13ELi2EEvPKvS2_PKiPfj15HIP_vector_typeIjLj3EEjjjjjjjjj ; -- Begin function _ZL17mul_mat_vec_q_moeIL9ggml_type13ELi2EEvPKvS2_PKiPfj15HIP_vector_typeIjLj3EEjjjjjjjjj
	.p2align	8
	.type	_ZL17mul_mat_vec_q_moeIL9ggml_type13ELi2EEvPKvS2_PKiPfj15HIP_vector_typeIjLj3EEjjjjjjjjj,@function
_ZL17mul_mat_vec_q_moeIL9ggml_type13ELi2EEvPKvS2_PKiPfj15HIP_vector_typeIjLj3EEjjjjjjjjj: ; @_ZL17mul_mat_vec_q_moeIL9ggml_type13ELi2EEvPKvS2_PKiPfj15HIP_vector_typeIjLj3EEjjjjjjjjj
; %bb.0:
	s_load_dwordx8 s[8:15], s[4:5], 0x30
	s_waitcnt lgkmcnt(0)
	v_cmp_gt_u32_e32 vcc, s15, v1
	s_and_saveexec_b64 s[0:1], vcc
	s_cbranch_execz .LBB132_15
; %bb.1:
	s_load_dword s1, s[4:5], 0x20
	s_load_dword s0, s[4:5], 0x50
	s_load_dwordx8 s[16:23], s[4:5], 0x0
	v_lshrrev_b32_e32 v10, 4, v0
	s_lshl_b32 s6, s6, 1
	s_waitcnt lgkmcnt(0)
	s_lshr_b32 s15, s1, 8
	v_cmp_gt_u32_e32 vcc, s15, v10
	v_mov_b32_e32 v2, 0
	v_mov_b32_e32 v3, 0
	s_and_saveexec_b64 s[28:29], vcc
	s_cbranch_execz .LBB132_13
; %bb.2:
	v_mul_lo_u32 v2, s0, v1
	v_mov_b32_e32 v3, 0
	v_mov_b32_e32 v6, s21
	s_load_dwordx4 s[24:27], s[4:5], 0x24
	v_add_u32_e32 v2, s7, v2
	v_lshlrev_b64 v[4:5], 2, v[2:3]
	v_bfe_u32 v8, v0, 2, 2
	v_add_co_u32_e32 v4, vcc, s20, v4
	v_addc_co_u32_e32 v5, vcc, v6, v5, vcc
	global_load_dword v2, v[4:5], off
	v_lshlrev_b32_e32 v4, 1, v0
	v_and_b32_e32 v5, 3, v0
	v_lshrrev_b32_e32 v7, 4, v0
	s_movk_i32 s2, 0x120
	v_and_b32_e32 v9, 30, v4
	v_bfe_u32 v11, v4, 3, 2
	v_lshlrev_b32_e32 v12, 2, v5
	v_mul_hi_u32_u24_e32 v5, 0x48, v8
	v_mul_u32_u24_e32 v4, 0x48, v8
	v_mul_lo_u32 v6, s10, v1
	v_mad_u64_u32 v[4:5], s[2:3], v7, s2, v[4:5]
	s_waitcnt lgkmcnt(0)
	s_mul_hi_u32 s2, s24, s7
	s_add_i32 s24, s7, s2
	v_mad_u64_u32 v[4:5], s[2:3], v6, 36, v[4:5]
	s_lshr_b32 s2, s24, s25
	s_mul_i32 s2, s2, s26
	s_sub_i32 s2, s7, s2
	s_mul_i32 s2, s2, s13
	s_add_i32 s0, s6, 1
	s_mul_hi_u32 s3, s2, 36
	s_mul_i32 s2, s2, 36
	s_add_u32 s2, s18, s2
	s_addc_u32 s3, s19, s3
	v_mov_b32_e32 v6, s3
	v_add_co_u32_e32 v4, vcc, s2, v4
	v_addc_co_u32_e32 v5, vcc, v6, v5, vcc
	s_mul_i32 s34, s6, s9
	s_mul_i32 s9, s9, s0
	v_add_co_u32_e32 v4, vcc, 36, v4
	s_mov_b64 s[4:5], 0
	s_movk_i32 s10, 0xb0
	s_mov_b32 s20, 0x5040100
	s_mov_b32 s21, 0x20004
	;; [unrolled: 1-line block ×6, first 2 shown]
	v_lshlrev_b32_e32 v13, 5, v11
	v_cmp_lt_u32_e64 s[0:1], 15, v9
	v_lshlrev_b32_e32 v14, 1, v11
	v_addc_co_u32_e32 v5, vcc, 0, v5, vcc
	s_waitcnt vmcnt(0)
	v_mul_lo_u32 v2, v2, s12
	v_add_u32_e32 v15, s34, v2
	v_add_u32_e32 v16, s9, v2
	v_mov_b32_e32 v2, v3
	s_branch .LBB132_4
.LBB132_3:                              ;   in Loop: Header=BB132_4 Depth=1
	s_or_b64 exec, exec, s[2:3]
	global_load_dword v6, v[6:7], off
	s_waitcnt vmcnt(7)
	v_ashrrev_i32_e32 v7, v14, v32
	v_and_b32_e32 v8, 0xf0f0f0f, v26
	s_waitcnt vmcnt(6)
	v_ashrrev_i32_e32 v9, v14, v31
	v_lshlrev_b32_e32 v41, 4, v7
	v_and_b32_e32 v31, 0xf0f0f0f, v25
	s_waitcnt vmcnt(2)
	v_ashrrev_i32_e32 v32, v14, v34
	v_lshrrev_b32_e32 v25, 4, v25
	v_and_or_b32 v8, v41, s31, v8
	v_lshlrev_b32_e32 v41, 4, v9
	v_and_b32_e32 v34, 0xf0f0f0f, v29
	s_waitcnt vmcnt(1)
	v_ashrrev_i32_e32 v33, v14, v33
	v_lshrrev_b32_e32 v26, 4, v26
	v_and_or_b32 v31, v41, s31, v31
	v_lshlrev_b32_e32 v41, 4, v32
	v_and_b32_e32 v25, 0xf0f0f0f, v25
	v_lshlrev_b32_e32 v9, 3, v9
	v_and_b32_e32 v35, 0xf0f0f0f, v27
	v_and_or_b32 v34, v41, s31, v34
	v_lshlrev_b32_e32 v41, 4, v33
	v_and_b32_e32 v26, 0xf0f0f0f, v26
	v_lshlrev_b32_e32 v7, 3, v7
	v_and_or_b32 v9, v9, s31, v25
	v_dot4_i32_i8 v31, v31, v21, 0
	v_dot4_i32_i8 v36, s30, v21, 0
	v_lshrrev_b32_e32 v29, 4, v29
	v_and_b32_e32 v38, 0xff, v24
	v_lshrrev_b16_e32 v40, 8, v24
	v_and_or_b32 v35, v41, s31, v35
	v_lshrrev_b32_e32 v41, 24, v24
	v_bfe_u32 v24, v24, 16, 8
	v_and_or_b32 v7, v7, s31, v26
	v_dot4_i32_i8 v9, v9, v22, 0
	v_dot4_i32_i8 v8, v8, v19, v31
	;; [unrolled: 1-line block ×3, first 2 shown]
	v_lshrrev_b32_e32 v27, 4, v27
	v_dot4_i32_i8 v36, s30, v19, v36
	v_and_b32_e32 v29, 0xf0f0f0f, v29
	v_lshlrev_b32_e32 v32, 3, v32
	v_dot4_i32_i8 v7, v7, v20, v9
	v_mul_lo_u32 v8, v8, v24
	v_and_b32_sdwa v39, s33, v30 dst_sel:DWORD dst_unused:UNUSED_PAD src0_sel:DWORD src1_sel:BYTE_0
	v_and_b32_e32 v27, 0xf0f0f0f, v27
	v_lshlrev_b32_e32 v33, 3, v33
	v_dot4_i32_i8 v37, s30, v20, v37
	v_and_or_b32 v29, v32, s31, v29
	v_mul_lo_u32 v32, v36, v38
	v_mul_lo_u32 v7, v7, v41
	v_and_or_b32 v27, v33, s31, v27
	v_mul_lo_u32 v33, v36, v39
	v_mul_lo_u32 v36, v37, v40
	v_dot4_i32_i8 v21, v35, v21, 0
	v_lshrrev_b16_e32 v30, 8, v30
	v_lshrrev_b16_e32 v25, 8, v28
	v_and_b32_sdwa v28, s33, v28 dst_sel:DWORD dst_unused:UNUSED_PAD src0_sel:DWORD src1_sel:BYTE_0
	v_dot4_i32_i8 v22, v27, v22, 0
	v_dot4_i32_i8 v19, v34, v19, v21
	v_mul_lo_u32 v30, v37, v30
	v_dot4_i32_i8 v9, v29, v20, v22
	v_mul_lo_u32 v19, v19, v28
	v_cvt_f32_i32_e32 v8, v8
	v_mul_lo_u32 v9, v9, v25
	v_cvt_f32_i32_e32 v20, v32
	v_cvt_f32_i32_e32 v7, v7
	;; [unrolled: 1-line block ×3, first 2 shown]
	v_cvt_f32_f16_sdwa v26, v23 dst_sel:DWORD dst_unused:UNUSED_PAD src0_sel:WORD_1
	v_cvt_f32_i32_e32 v22, v33
	v_cvt_f32_i32_e32 v24, v30
	;; [unrolled: 1-line block ×3, first 2 shown]
	v_fma_mix_f32 v8, v17, v8, 0 op_sel_hi:[1,0,0]
	v_cvt_f32_i32_e32 v9, v9
	v_fma_mix_f32 v20, v17, v20, 0 op_sel_hi:[1,0,0]
	v_fma_mix_f32 v7, v18, v7, v8 op_sel_hi:[1,0,0]
	;; [unrolled: 1-line block ×4, first 2 shown]
	v_mul_f32_e32 v20, v20, v26
	v_fma_mix_f32 v21, v18, v24, v22 op_sel_hi:[1,0,0]
	v_fma_mix_f32 v17, v17, v19, 0 op_sel_hi:[1,0,0]
	v_fma_mix_f32 v7, v7, v23, -v20 op_sel_hi:[0,1,0]
	v_add_u32_e32 v10, 4, v10
	s_waitcnt vmcnt(0)
	v_cvt_f32_f16_sdwa v8, v6 dst_sel:DWORD dst_unused:UNUSED_PAD src0_sel:WORD_1
	v_fma_mix_f32 v9, v18, v9, v17 op_sel_hi:[1,0,0]
	v_add_f32_e32 v3, v3, v7
	v_add_co_u32_e32 v4, vcc, 0x480, v4
	v_mul_f32_e32 v7, v21, v8
	v_fma_mix_f32 v6, v9, v6, -v7 op_sel_hi:[0,1,0]
	v_cmp_le_u32_e64 s[2:3], s15, v10
	v_add_f32_e32 v2, v2, v6
	s_or_b64 s[4:5], s[2:3], s[4:5]
	v_addc_co_u32_e32 v5, vcc, 0, v5, vcc
	s_andn2_b64 exec, exec, s[4:5]
	s_cbranch_execz .LBB132_12
.LBB132_4:                              ; =>This Inner Loop Header: Depth=1
	v_mov_b32_e32 v8, s16
	v_add_u32_e32 v19, v15, v10
	v_mov_b32_e32 v9, s17
	v_mad_i64_i32 v[8:9], s[2:3], v19, s10, v[8:9]
	v_add_co_u32_e32 v6, vcc, v4, v12
	v_addc_co_u32_e32 v7, vcc, 0, v5, vcc
	global_load_dword v17, v[4:5], off offset:-36
	global_load_dword v18, v[4:5], off
	global_load_dword v19, v[6:7], off offset:-32
	global_load_dword v21, v[6:7], off offset:-16
	global_load_dword v20, v[6:7], off offset:4
	global_load_dword v22, v[6:7], off offset:20
	v_add_co_u32_e32 v6, vcc, v8, v13
	v_addc_co_u32_e32 v7, vcc, 0, v9, vcc
	v_add_co_u32_e32 v6, vcc, v6, v12
	v_addc_co_u32_e32 v7, vcc, 0, v7, vcc
	;; [unrolled: 2-line block ×3, first 2 shown]
	global_load_dword v26, v[6:7], off offset:48
	global_load_dword v25, v[6:7], off offset:64
	;; [unrolled: 1-line block ×4, first 2 shown]
	v_lshlrev_b32_e32 v28, 1, v11
	v_add_co_u32_e32 v6, vcc, v8, v28
	v_addc_co_u32_e32 v7, vcc, 0, v9, vcc
                                        ; implicit-def: $vgpr24
	s_and_saveexec_b64 s[2:3], s[0:1]
	s_xor_b64 s[2:3], exec, s[2:3]
	s_cbranch_execz .LBB132_6
; %bb.5:                                ;   in Loop: Header=BB132_4 Depth=1
	global_load_ushort v23, v[6:7], off
	global_load_ushort v24, v[6:7], off offset:8
	global_load_ushort v27, v[6:7], off offset:4
	s_waitcnt vmcnt(1)
	v_perm_b32 v6, v23, v24, s20
	s_waitcnt vmcnt(0)
	v_perm_b32 v7, v24, v27, s20
	v_pk_lshrrev_b16 v7, 2, v7
	v_pk_lshrrev_b16 v6, s21, v6
	v_and_b32_e32 v7, 0xf0f3030, v7
	v_and_or_b32 v24, v6, s27, v7
                                        ; implicit-def: $vgpr6_vgpr7
.LBB132_6:                              ;   in Loop: Header=BB132_4 Depth=1
	s_andn2_saveexec_b64 s[2:3], s[2:3]
	s_cbranch_execz .LBB132_8
; %bb.7:                                ;   in Loop: Header=BB132_4 Depth=1
	global_load_ushort v23, v[6:7], off offset:4
	global_load_ushort v24, v[6:7], off offset:8
	s_waitcnt vmcnt(0)
	v_perm_b32 v6, v23, v24, s20
	v_and_b32_e32 v24, 0x3f3f3f3f, v6
.LBB132_8:                              ;   in Loop: Header=BB132_4 Depth=1
	s_or_b64 exec, exec, s[2:3]
	v_mov_b32_e32 v6, s16
	v_add_u32_e32 v23, v16, v10
	v_mov_b32_e32 v7, s17
	v_mad_i64_i32 v[6:7], s[2:3], v23, s10, v[6:7]
                                        ; implicit-def: $vgpr30
	v_add_co_u32_e32 v23, vcc, v6, v13
	v_addc_co_u32_e32 v27, vcc, 0, v7, vcc
	v_add_co_u32_e32 v35, vcc, v23, v12
	v_addc_co_u32_e32 v36, vcc, 0, v27, vcc
	;; [unrolled: 2-line block ×3, first 2 shown]
	global_load_dword v23, v[8:9], off
	global_load_dword v29, v[35:36], off offset:48
	global_load_dword v27, v[35:36], off offset:64
	;; [unrolled: 1-line block ×4, first 2 shown]
	v_add_co_u32_e32 v8, vcc, v6, v28
	v_addc_co_u32_e32 v9, vcc, 0, v7, vcc
                                        ; implicit-def: $vgpr28
	s_and_saveexec_b64 s[2:3], s[0:1]
	s_xor_b64 s[2:3], exec, s[2:3]
	s_cbranch_execz .LBB132_10
; %bb.9:                                ;   in Loop: Header=BB132_4 Depth=1
	global_load_ushort v28, v[8:9], off offset:8
	global_load_ushort v30, v[8:9], off
	global_load_ushort v35, v[8:9], off offset:4
	s_waitcnt vmcnt(2)
	v_and_b32_e32 v8, 0xf0f, v28
	s_waitcnt vmcnt(1)
	v_lshrrev_b16_e32 v9, 2, v30
	v_lshrrev_b16_e32 v28, 4, v28
	s_waitcnt vmcnt(0)
	v_lshrrev_b16_e32 v30, 2, v35
	v_and_b32_e32 v9, 0x3030, v9
	v_and_b32_e32 v35, 0xf0f, v28
	v_and_b32_e32 v30, 0x3030, v30
	v_or_b32_e32 v28, v9, v8
	v_or_b32_e32 v30, v30, v35
                                        ; implicit-def: $vgpr8_vgpr9
.LBB132_10:                             ;   in Loop: Header=BB132_4 Depth=1
	s_andn2_saveexec_b64 s[2:3], s[2:3]
	s_cbranch_execz .LBB132_3
; %bb.11:                               ;   in Loop: Header=BB132_4 Depth=1
	global_load_ushort v28, v[8:9], off offset:4
	global_load_ushort v30, v[8:9], off offset:8
	s_waitcnt vmcnt(1)
	v_and_b32_e32 v28, 0x3f3f, v28
	s_waitcnt vmcnt(0)
	v_and_b32_e32 v30, 0x3f3f, v30
	s_branch .LBB132_3
.LBB132_12:
	s_or_b64 exec, exec, s[4:5]
.LBB132_13:
	s_or_b64 exec, exec, s[28:29]
	v_mbcnt_lo_u32_b32 v4, -1, 0
	v_mbcnt_hi_u32_b32 v4, -1, v4
	v_and_b32_e32 v5, 64, v4
	v_add_u32_e32 v5, 64, v5
	v_xor_b32_e32 v6, 32, v4
	v_cmp_lt_i32_e32 vcc, v6, v5
	v_cndmask_b32_e32 v6, v4, v6, vcc
	v_lshlrev_b32_e32 v6, 2, v6
	ds_bpermute_b32 v9, v6, v3
	ds_bpermute_b32 v6, v6, v2
	v_xor_b32_e32 v7, 16, v4
	v_cmp_lt_i32_e32 vcc, v7, v5
	v_cndmask_b32_e32 v7, v4, v7, vcc
	v_lshlrev_b32_e32 v7, 2, v7
	s_waitcnt lgkmcnt(1)
	v_add_f32_e32 v3, v3, v9
	s_waitcnt lgkmcnt(0)
	v_add_f32_e32 v2, v2, v6
	ds_bpermute_b32 v9, v7, v3
	ds_bpermute_b32 v6, v7, v2
	v_xor_b32_e32 v8, 8, v4
	v_cmp_lt_i32_e32 vcc, v8, v5
	v_cndmask_b32_e32 v8, v4, v8, vcc
	v_lshlrev_b32_e32 v8, 2, v8
	s_waitcnt lgkmcnt(1)
	v_add_f32_e32 v3, v3, v9
	s_waitcnt lgkmcnt(0)
	v_add_f32_e32 v2, v2, v6
	;; [unrolled: 10-line block ×5, first 2 shown]
	ds_bpermute_b32 v3, v5, v2
	ds_bpermute_b32 v5, v5, v4
	v_add_u32_e32 v6, s6, v0
	v_cmp_gt_u32_e32 vcc, 2, v0
	v_cmp_gt_u32_e64 s[0:1], s8, v6
	s_and_b64 s[0:1], vcc, s[0:1]
	s_and_b64 exec, exec, s[0:1]
	s_cbranch_execz .LBB132_15
; %bb.14:
	v_mul_lo_u32 v1, s11, v1
	v_cmp_eq_u32_e32 vcc, 1, v0
	s_mul_i32 s0, s14, s7
	v_or_b32_e32 v0, s6, v0
	v_add3_u32 v0, v0, v1, s0
	v_mov_b32_e32 v1, 0
	v_lshlrev_b64 v[0:1], 2, v[0:1]
	s_waitcnt lgkmcnt(1)
	v_add_f32_e32 v2, v2, v3
	s_waitcnt lgkmcnt(0)
	v_add_f32_e32 v3, v4, v5
	v_cndmask_b32_e32 v2, v2, v3, vcc
	v_mov_b32_e32 v3, s23
	v_add_co_u32_e32 v0, vcc, s22, v0
	v_addc_co_u32_e32 v1, vcc, v3, v1, vcc
	global_store_dword v[0:1], v2, off
.LBB132_15:
	s_endpgm
	.section	.rodata,"a",@progbits
	.p2align	6, 0x0
	.amdhsa_kernel _ZL17mul_mat_vec_q_moeIL9ggml_type13ELi2EEvPKvS2_PKiPfj15HIP_vector_typeIjLj3EEjjjjjjjjj
		.amdhsa_group_segment_fixed_size 0
		.amdhsa_private_segment_fixed_size 0
		.amdhsa_kernarg_size 84
		.amdhsa_user_sgpr_count 6
		.amdhsa_user_sgpr_private_segment_buffer 1
		.amdhsa_user_sgpr_dispatch_ptr 0
		.amdhsa_user_sgpr_queue_ptr 0
		.amdhsa_user_sgpr_kernarg_segment_ptr 1
		.amdhsa_user_sgpr_dispatch_id 0
		.amdhsa_user_sgpr_flat_scratch_init 0
		.amdhsa_user_sgpr_private_segment_size 0
		.amdhsa_uses_dynamic_stack 0
		.amdhsa_system_sgpr_private_segment_wavefront_offset 0
		.amdhsa_system_sgpr_workgroup_id_x 1
		.amdhsa_system_sgpr_workgroup_id_y 1
		.amdhsa_system_sgpr_workgroup_id_z 0
		.amdhsa_system_sgpr_workgroup_info 0
		.amdhsa_system_vgpr_workitem_id 1
		.amdhsa_next_free_vgpr 42
		.amdhsa_next_free_sgpr 35
		.amdhsa_reserve_vcc 1
		.amdhsa_reserve_flat_scratch 0
		.amdhsa_float_round_mode_32 0
		.amdhsa_float_round_mode_16_64 0
		.amdhsa_float_denorm_mode_32 3
		.amdhsa_float_denorm_mode_16_64 3
		.amdhsa_dx10_clamp 1
		.amdhsa_ieee_mode 1
		.amdhsa_fp16_overflow 0
		.amdhsa_exception_fp_ieee_invalid_op 0
		.amdhsa_exception_fp_denorm_src 0
		.amdhsa_exception_fp_ieee_div_zero 0
		.amdhsa_exception_fp_ieee_overflow 0
		.amdhsa_exception_fp_ieee_underflow 0
		.amdhsa_exception_fp_ieee_inexact 0
		.amdhsa_exception_int_div_zero 0
	.end_amdhsa_kernel
	.section	.text._ZL17mul_mat_vec_q_moeIL9ggml_type13ELi2EEvPKvS2_PKiPfj15HIP_vector_typeIjLj3EEjjjjjjjjj,"axG",@progbits,_ZL17mul_mat_vec_q_moeIL9ggml_type13ELi2EEvPKvS2_PKiPfj15HIP_vector_typeIjLj3EEjjjjjjjjj,comdat
.Lfunc_end132:
	.size	_ZL17mul_mat_vec_q_moeIL9ggml_type13ELi2EEvPKvS2_PKiPfj15HIP_vector_typeIjLj3EEjjjjjjjjj, .Lfunc_end132-_ZL17mul_mat_vec_q_moeIL9ggml_type13ELi2EEvPKvS2_PKiPfj15HIP_vector_typeIjLj3EEjjjjjjjjj
                                        ; -- End function
	.set _ZL17mul_mat_vec_q_moeIL9ggml_type13ELi2EEvPKvS2_PKiPfj15HIP_vector_typeIjLj3EEjjjjjjjjj.num_vgpr, 42
	.set _ZL17mul_mat_vec_q_moeIL9ggml_type13ELi2EEvPKvS2_PKiPfj15HIP_vector_typeIjLj3EEjjjjjjjjj.num_agpr, 0
	.set _ZL17mul_mat_vec_q_moeIL9ggml_type13ELi2EEvPKvS2_PKiPfj15HIP_vector_typeIjLj3EEjjjjjjjjj.numbered_sgpr, 35
	.set _ZL17mul_mat_vec_q_moeIL9ggml_type13ELi2EEvPKvS2_PKiPfj15HIP_vector_typeIjLj3EEjjjjjjjjj.num_named_barrier, 0
	.set _ZL17mul_mat_vec_q_moeIL9ggml_type13ELi2EEvPKvS2_PKiPfj15HIP_vector_typeIjLj3EEjjjjjjjjj.private_seg_size, 0
	.set _ZL17mul_mat_vec_q_moeIL9ggml_type13ELi2EEvPKvS2_PKiPfj15HIP_vector_typeIjLj3EEjjjjjjjjj.uses_vcc, 1
	.set _ZL17mul_mat_vec_q_moeIL9ggml_type13ELi2EEvPKvS2_PKiPfj15HIP_vector_typeIjLj3EEjjjjjjjjj.uses_flat_scratch, 0
	.set _ZL17mul_mat_vec_q_moeIL9ggml_type13ELi2EEvPKvS2_PKiPfj15HIP_vector_typeIjLj3EEjjjjjjjjj.has_dyn_sized_stack, 0
	.set _ZL17mul_mat_vec_q_moeIL9ggml_type13ELi2EEvPKvS2_PKiPfj15HIP_vector_typeIjLj3EEjjjjjjjjj.has_recursion, 0
	.set _ZL17mul_mat_vec_q_moeIL9ggml_type13ELi2EEvPKvS2_PKiPfj15HIP_vector_typeIjLj3EEjjjjjjjjj.has_indirect_call, 0
	.section	.AMDGPU.csdata,"",@progbits
; Kernel info:
; codeLenInByte = 1948
; TotalNumSgprs: 39
; NumVgprs: 42
; ScratchSize: 0
; MemoryBound: 0
; FloatMode: 240
; IeeeMode: 1
; LDSByteSize: 0 bytes/workgroup (compile time only)
; SGPRBlocks: 4
; VGPRBlocks: 10
; NumSGPRsForWavesPerEU: 39
; NumVGPRsForWavesPerEU: 42
; Occupancy: 5
; WaveLimiterHint : 1
; COMPUTE_PGM_RSRC2:SCRATCH_EN: 0
; COMPUTE_PGM_RSRC2:USER_SGPR: 6
; COMPUTE_PGM_RSRC2:TRAP_HANDLER: 0
; COMPUTE_PGM_RSRC2:TGID_X_EN: 1
; COMPUTE_PGM_RSRC2:TGID_Y_EN: 1
; COMPUTE_PGM_RSRC2:TGID_Z_EN: 0
; COMPUTE_PGM_RSRC2:TIDIG_COMP_CNT: 1
	.section	.text._ZL13mul_mat_vec_qIL9ggml_type13ELi1ELb1ELb1EEvPKvS2_PKi31ggml_cuda_mm_fusion_args_devicePfj15HIP_vector_typeIjLj3EEjjjS8_jjjS8_jjjj,"axG",@progbits,_ZL13mul_mat_vec_qIL9ggml_type13ELi1ELb1ELb1EEvPKvS2_PKi31ggml_cuda_mm_fusion_args_devicePfj15HIP_vector_typeIjLj3EEjjjS8_jjjS8_jjjj,comdat
	.globl	_ZL13mul_mat_vec_qIL9ggml_type13ELi1ELb1ELb1EEvPKvS2_PKi31ggml_cuda_mm_fusion_args_devicePfj15HIP_vector_typeIjLj3EEjjjS8_jjjS8_jjjj ; -- Begin function _ZL13mul_mat_vec_qIL9ggml_type13ELi1ELb1ELb1EEvPKvS2_PKi31ggml_cuda_mm_fusion_args_devicePfj15HIP_vector_typeIjLj3EEjjjS8_jjjS8_jjjj
	.p2align	8
	.type	_ZL13mul_mat_vec_qIL9ggml_type13ELi1ELb1ELb1EEvPKvS2_PKi31ggml_cuda_mm_fusion_args_devicePfj15HIP_vector_typeIjLj3EEjjjS8_jjjS8_jjjj,@function
_ZL13mul_mat_vec_qIL9ggml_type13ELi1ELb1ELb1EEvPKvS2_PKi31ggml_cuda_mm_fusion_args_devicePfj15HIP_vector_typeIjLj3EEjjjS8_jjjS8_jjjj: ; @_ZL13mul_mat_vec_qIL9ggml_type13ELi1ELb1ELb1EEvPKvS2_PKi31ggml_cuda_mm_fusion_args_devicePfj15HIP_vector_typeIjLj3EEjjjS8_jjjS8_jjjj
; %bb.0:
	s_load_dwordx8 s[12:19], s[4:5], 0x0
	s_load_dwordx4 s[28:31], s[4:5], 0x20
	s_load_dwordx4 s[36:39], s[4:5], 0x40
	;; [unrolled: 1-line block ×3, first 2 shown]
	s_mov_b32 s34, s7
	s_waitcnt lgkmcnt(0)
	s_cmp_lg_u64 s[16:17], 0
	s_cselect_b64 s[0:1], -1, 0
	s_cmp_eq_u64 s[16:17], 0
	s_mov_b64 s[2:3], 0
	s_cbranch_scc1 .LBB133_5
; %bb.1:
	s_mov_b32 s35, 0
	s_lshl_b64 s[10:11], s[34:35], 2
	s_add_u32 s10, s16, s10
	s_addc_u32 s11, s17, s11
	s_load_dword s35, s[10:11], 0x0
	s_load_dword s33, s[4:5], 0x50
	s_load_dword s42, s[4:5], 0x78
	s_andn2_b64 vcc, exec, s[2:3]
	s_cbranch_vccnz .LBB133_3
.LBB133_2:
	s_load_dwordx2 s[2:3], s[4:5], 0x5c
	s_waitcnt lgkmcnt(0)
	s_mul_hi_u32 s2, s2, s34
	s_add_i32 s2, s34, s2
	s_lshr_b32 s35, s2, s3
.LBB133_3:
	s_andn2_b64 vcc, exec, s[0:1]
	s_cbranch_vccnz .LBB133_6
; %bb.4:
	s_mul_hi_u32 s0, s37, s34
	s_add_i32 s0, s34, s0
	s_lshr_b32 s0, s0, s38
	s_mul_i32 s0, s0, s39
	s_sub_i32 s37, s34, s0
	s_waitcnt lgkmcnt(0)
	s_mov_b32 s43, s35
	s_branch .LBB133_7
.LBB133_5:
                                        ; implicit-def: $sgpr35
	s_load_dword s33, s[4:5], 0x50
	s_load_dword s42, s[4:5], 0x78
	s_branch .LBB133_2
.LBB133_6:
	s_mov_b32 s43, s34
	s_mov_b32 s37, s34
.LBB133_7:
	s_load_dword s9, s[4:5], 0x58
	s_load_dwordx4 s[24:27], s[4:5], 0x80
	s_lshl_b32 s16, s6, 1
	s_cmp_eq_u64 s[18:19], 0
	s_cselect_b64 s[0:1], -1, 0
	v_mov_b32_e32 v14, 0
	s_and_b64 vcc, exec, s[0:1]
	v_cmp_gt_u32_e64 s[2:3], 2, v0
	v_cmp_eq_u32_e64 s[6:7], 0, v1
	v_add_u32_e32 v13, s16, v0
	v_mov_b32_e32 v15, 0
	s_cbranch_vccnz .LBB133_11
; %bb.8:
	s_waitcnt lgkmcnt(0)
	v_cmp_gt_u32_e32 vcc, s9, v13
	s_and_b64 s[2:3], s[2:3], vcc
	s_mov_b32 s11, 0
	s_and_b64 s[6:7], s[2:3], s[6:7]
	v_mov_b32_e32 v15, 0
	s_and_saveexec_b64 s[2:3], s[6:7]
	s_cbranch_execz .LBB133_10
; %bb.9:
	s_mul_i32 s10, s26, s8
	s_lshl_b64 s[6:7], s[10:11], 2
	s_add_u32 s17, s18, s6
	s_mul_i32 s10, s43, s22
	s_addc_u32 s18, s19, s7
	s_lshl_b64 s[6:7], s[10:11], 2
	s_add_u32 s10, s17, s6
	s_addc_u32 s11, s18, s7
	s_ashr_i32 s17, s16, 31
	s_lshl_b64 s[6:7], s[16:17], 2
	s_add_u32 s6, s10, s6
	s_addc_u32 s7, s11, s7
	v_lshlrev_b32_e32 v2, 2, v0
	global_load_dword v15, v2, s[6:7]
.LBB133_10:
	s_or_b64 exec, exec, s[2:3]
.LBB133_11:
	s_cmp_lg_u64 s[28:29], 0
	s_cselect_b64 s[18:19], -1, 0
	s_cmp_eq_u64 s[28:29], 0
	s_cselect_b64 s[38:39], -1, 0
	s_cmp_lg_u64 s[30:31], 0
	s_cselect_b64 s[2:3], -1, 0
	s_and_b64 s[6:7], s[2:3], s[18:19]
	s_andn2_b64 vcc, exec, s[6:7]
	s_waitcnt lgkmcnt(0)
	v_cmp_gt_u32_e64 s[6:7], s9, v13
	s_cbranch_vccnz .LBB133_15
; %bb.12:
	v_cmp_gt_u32_e32 vcc, 2, v0
	v_cmp_eq_u32_e64 s[10:11], 0, v1
	s_and_b64 s[6:7], vcc, s[6:7]
	s_mov_b32 s41, 0
	s_and_b64 s[10:11], s[6:7], s[10:11]
	v_mov_b32_e32 v14, 0
	s_and_saveexec_b64 s[6:7], s[10:11]
	s_cbranch_execz .LBB133_14
; %bb.13:
	s_mul_i32 s40, s26, s8
	s_lshl_b64 s[10:11], s[40:41], 2
	s_add_u32 s17, s30, s10
	s_mul_i32 s40, s43, s22
	s_addc_u32 s27, s31, s11
	s_lshl_b64 s[10:11], s[40:41], 2
	s_add_u32 s30, s17, s10
	s_addc_u32 s27, s27, s11
	s_ashr_i32 s17, s16, 31
	s_lshl_b64 s[10:11], s[16:17], 2
	s_add_u32 s10, s30, s10
	s_addc_u32 s11, s27, s11
	v_lshlrev_b32_e32 v2, 2, v0
	global_load_dword v14, v2, s[10:11]
.LBB133_14:
	s_or_b64 exec, exec, s[6:7]
.LBB133_15:
	v_lshl_add_u32 v6, v1, 6, v0
	v_mov_b32_e32 v4, 0
	s_lshr_b32 s17, s36, 8
	v_lshrrev_b32_e32 v17, 4, v6
	v_mov_b32_e32 v5, v4
	v_mov_b32_e32 v2, v4
	v_cmp_gt_u32_e32 vcc, s17, v17
	v_mov_b32_e32 v16, v4
	v_mov_b32_e32 v3, v5
	s_and_saveexec_b64 s[30:31], vcc
	s_cbranch_execz .LBB133_39
; %bb.16:
	s_mul_hi_u32 s6, s23, s8
	s_add_i32 s6, s8, s6
	s_lshr_b32 s6, s6, s42
	s_mul_i32 s7, s35, s20
	s_mul_i32 s6, s6, s24
	v_lshlrev_b32_e32 v2, 1, v0
	v_and_b32_e32 v3, 30, v2
	s_add_i32 s24, s7, s6
	s_mul_i32 s10, s16, s33
	v_and_b32_e32 v4, 3, v0
	v_cmp_lt_u32_e64 s[6:7], 15, v3
	s_add_i32 s23, s24, s10
	s_add_i32 s10, s16, 1
	v_bfe_u32 v3, v0, 2, 2
	v_lshlrev_b32_e32 v20, 2, v4
	s_mul_i32 s33, s33, s10
	v_lshrrev_b32_e32 v5, 4, v6
	v_mul_hi_u32_u24_e32 v4, 0x48, v3
	v_mul_u32_u24_e32 v3, 0x48, v3
	s_movk_i32 s10, 0x120
	s_mul_i32 s20, s25, s8
	v_mad_u64_u32 v[3:4], s[10:11], v5, s10, v[3:4]
	s_add_i32 s24, s24, s33
	s_mul_hi_u32 s11, s20, 36
	s_mul_i32 s20, s20, 36
	s_mul_i32 s21, s37, s21
	s_add_u32 s14, s14, s20
	s_mul_hi_u32 s10, s21, 36
	s_mul_i32 s21, s21, 36
	s_addc_u32 s11, s15, s11
	s_add_u32 s14, s14, s21
	s_addc_u32 s10, s11, s10
	v_mov_b32_e32 v5, s10
	v_add_co_u32_e32 v3, vcc, s14, v3
	v_addc_co_u32_e32 v4, vcc, v5, v4, vcc
	v_bfe_u32 v18, v2, 3, 2
	v_mov_b32_e32 v2, 0
	v_add_co_u32_e32 v5, vcc, 36, v3
	v_mov_b32_e32 v7, s12
	v_lshlrev_b32_e32 v19, 5, v18
	v_lshlrev_b32_e32 v21, 1, v18
	v_addc_co_u32_e32 v6, vcc, 0, v4, vcc
	v_mov_b32_e32 v3, v2
	s_mov_b64 s[14:15], 0
	s_movk_i32 s25, 0xb0
	s_mov_b32 s27, 0x5040100
	s_mov_b32 s33, 0x20004
	;; [unrolled: 1-line block ×6, first 2 shown]
	v_mov_b32_e32 v8, s13
	v_mov_b32_e32 v16, v2
	v_mov_b32_e32 v4, v2
	s_branch .LBB133_19
.LBB133_17:                             ;   in Loop: Header=BB133_19 Depth=1
	s_or_b64 exec, exec, s[10:11]
	global_load_dword v9, v[9:10], off
	s_waitcnt vmcnt(1)
	v_ashrrev_i32_e32 v10, v21, v46
	v_ashrrev_i32_e32 v11, v21, v45
	v_and_b32_e32 v45, 0xf0f0f0f, v43
	v_lshlrev_b32_e32 v47, 4, v10
	v_lshrrev_b32_e32 v43, 4, v43
	v_and_b32_e32 v12, 0xf0f0f0f, v44
	v_lshlrev_b32_e32 v46, 4, v11
	v_and_or_b32 v45, v47, s37, v45
	v_lshrrev_b32_e32 v44, 4, v44
	v_and_b32_e32 v43, 0xf0f0f0f, v43
	v_lshlrev_b32_e32 v10, 3, v10
	v_and_or_b32 v12, v46, s37, v12
	v_dot4_i32_i8 v45, v45, v25, 0
	v_and_b32_e32 v44, 0xf0f0f0f, v44
	v_lshlrev_b32_e32 v11, 3, v11
	v_and_or_b32 v10, v10, s37, v43
	v_dot4_i32_i8 v12, v12, v24, v45
	v_bfe_u32 v45, v36, 16, 8
	v_and_or_b32 v11, v11, s37, v44
	v_dot4_i32_i8 v10, v10, v23, 0
	v_mul_lo_u32 v12, v12, v45
	v_lshrrev_b32_e32 v45, 24, v36
	v_dot4_i32_i8 v10, v11, v22, v10
	v_lshrrev_b16_e32 v11, 8, v36
	v_and_b32_e32 v36, 0xff, v36
	v_mul_lo_u32 v10, v10, v45
	v_mul_lo_u32 v36, v31, v36
	;; [unrolled: 1-line block ×3, first 2 shown]
	v_cvt_f32_i32_e32 v12, v12
	v_cvt_f32_i32_e32 v10, v10
	;; [unrolled: 1-line block ×4, first 2 shown]
	v_fma_f32 v12, v27, v12, 0
	v_fmac_f32_e32 v12, v26, v10
	v_fma_f32 v10, v27, v36, 0
	v_fmac_f32_e32 v10, v26, v11
	s_waitcnt vmcnt(0)
	v_cvt_f32_f16_sdwa v43, v9 dst_sel:DWORD dst_unused:UNUSED_PAD src0_sel:WORD_1
	v_mul_f32_e32 v10, v10, v43
	v_fma_mix_f32 v9, v12, v9, -v10 op_sel_hi:[0,1,0]
	v_add_f32_e32 v3, v3, v9
.LBB133_18:                             ;   in Loop: Header=BB133_19 Depth=1
	s_waitcnt vmcnt(6)
	v_ashrrev_i32_e32 v9, v21, v33
	v_ashrrev_i32_e32 v10, v21, v32
	v_and_b32_e32 v12, 0xf0f0f0f, v28
	v_lshlrev_b32_e32 v33, 4, v9
	v_and_b32_e32 v11, 0xf0f0f0f, v29
	v_lshlrev_b32_e32 v32, 4, v10
	v_and_or_b32 v12, v33, s37, v12
	v_lshrrev_b32_e32 v28, 4, v28
	v_and_or_b32 v11, v32, s37, v11
	v_dot4_i32_i8 v12, v12, v25, 0
	v_lshrrev_b32_e32 v29, 4, v29
	v_and_b32_e32 v28, 0xf0f0f0f, v28
	v_lshlrev_b32_e32 v9, 3, v9
	v_dot4_i32_i8 v11, v11, v24, v12
	v_bfe_u32 v12, v34, 16, 8
	v_and_b32_e32 v33, 0xff, v34
	v_and_b32_e32 v29, 0xf0f0f0f, v29
	v_lshlrev_b32_e32 v10, 3, v10
	v_and_or_b32 v9, v9, s37, v28
	v_mul_lo_u32 v11, v11, v12
	v_lshrrev_b16_e32 v12, 8, v34
	v_mul_lo_u32 v33, v31, v33
	v_and_or_b32 v10, v10, s37, v29
	v_dot4_i32_i8 v9, v9, v23, 0
	v_lshrrev_b32_e32 v32, 24, v34
	v_dot4_i32_i8 v9, v10, v22, v9
	v_mul_lo_u32 v10, v30, v12
	v_mul_lo_u32 v9, v9, v32
	v_cvt_f32_i32_e32 v12, v33
	v_cvt_f32_i32_e32 v11, v11
	;; [unrolled: 1-line block ×4, first 2 shown]
	s_waitcnt vmcnt(5)
	v_cvt_f32_f16_sdwa v28, v35 dst_sel:DWORD dst_unused:UNUSED_PAD src0_sel:WORD_1
	v_fma_f32 v12, v27, v12, 0
	v_fma_f32 v11, v27, v11, 0
	v_fmac_f32_e32 v12, v26, v10
	v_fmac_f32_e32 v11, v26, v9
	v_mul_f32_e32 v9, v12, v28
	s_waitcnt vmcnt(1)
	v_ashrrev_i32_e32 v10, v21, v40
	v_fma_mix_f32 v9, v11, v35, -v9 op_sel_hi:[0,1,0]
	v_ashrrev_i32_e32 v11, v21, v39
	v_and_b32_e32 v28, 0xf0f0f0f, v37
	v_lshlrev_b32_e32 v32, 4, v10
	v_and_b32_e32 v12, 0xf0f0f0f, v38
	v_lshlrev_b32_e32 v29, 4, v11
	v_and_or_b32 v28, v32, s37, v28
	v_and_or_b32 v12, v29, s37, v12
	v_dot4_i32_i8 v25, v28, v25, 0
	v_dot4_i32_i8 v12, v12, v24, v25
	v_bfe_u32 v24, v42, 16, 8
	v_mul_lo_u32 v12, v12, v24
	v_lshrrev_b32_e32 v29, 4, v37
	v_lshrrev_b32_e32 v28, 4, v38
	v_and_b32_e32 v29, 0xf0f0f0f, v29
	v_lshlrev_b32_e32 v10, 3, v10
	v_and_b32_e32 v25, 0xff, v42
	v_and_b32_e32 v28, 0xf0f0f0f, v28
	v_lshlrev_b32_e32 v11, 3, v11
	v_and_or_b32 v10, v10, s37, v29
	v_add_f32_e32 v16, v16, v9
	v_lshrrev_b16_e32 v9, 8, v42
	v_cvt_f32_i32_e32 v12, v12
	v_mul_lo_u32 v25, v31, v25
	v_and_or_b32 v11, v11, s37, v28
	v_dot4_i32_i8 v10, v10, v23, 0
	v_lshrrev_b32_e32 v24, 24, v42
	v_dot4_i32_i8 v10, v11, v22, v10
	v_mul_lo_u32 v9, v30, v9
	v_mul_lo_u32 v10, v10, v24
	v_fma_f32 v11, v27, v12, 0
	v_cvt_f32_i32_e32 v12, v25
	v_cvt_f32_i32_e32 v9, v9
	;; [unrolled: 1-line block ×3, first 2 shown]
	s_waitcnt vmcnt(0)
	v_cvt_f32_f16_sdwa v22, v41 dst_sel:DWORD dst_unused:UNUSED_PAD src0_sel:WORD_1
	v_fma_f32 v12, v27, v12, 0
	v_fmac_f32_e32 v12, v26, v9
	v_fmac_f32_e32 v11, v26, v10
	v_mul_f32_e32 v9, v12, v22
	v_add_u32_e32 v17, 8, v17
	v_fma_mix_f32 v9, v11, v41, -v9 op_sel_hi:[0,1,0]
	v_add_co_u32_e32 v5, vcc, 0x900, v5
	v_cmp_le_u32_e64 s[10:11], s17, v17
	v_add_f32_e32 v4, v4, v9
	s_or_b64 s[14:15], s[10:11], s[14:15]
	v_addc_co_u32_e32 v6, vcc, 0, v6, vcc
	s_andn2_b64 exec, exec, s[14:15]
	s_cbranch_execz .LBB133_38
.LBB133_19:                             ; =>This Inner Loop Header: Depth=1
	v_add_u32_e32 v37, s23, v17
	v_mad_i64_i32 v[9:10], s[10:11], v37, s25, v[7:8]
	v_add_co_u32_e32 v11, vcc, v5, v20
	v_addc_co_u32_e32 v12, vcc, 0, v6, vcc
	global_load_dword v26, v[5:6], off offset:-36
	global_load_dword v30, v[5:6], off
	global_load_dword v24, v[11:12], off offset:-32
	global_load_dword v25, v[11:12], off offset:-16
	global_load_dword v22, v[11:12], off offset:4
	global_load_dword v23, v[11:12], off offset:20
	v_add_co_u32_e32 v11, vcc, v9, v19
	v_addc_co_u32_e32 v12, vcc, 0, v10, vcc
	v_add_co_u32_e32 v11, vcc, v11, v20
	v_addc_co_u32_e32 v12, vcc, 0, v12, vcc
	;; [unrolled: 2-line block ×3, first 2 shown]
	global_load_dword v29, v[11:12], off offset:48
	global_load_dword v28, v[11:12], off offset:64
	global_load_dword v32, v[34:35], off offset:16
	global_load_dword v33, v[34:35], off offset:32
	v_lshlrev_b32_e32 v36, 1, v18
	v_add_co_u32_e32 v11, vcc, v9, v36
	v_addc_co_u32_e32 v12, vcc, 0, v10, vcc
                                        ; implicit-def: $vgpr34
	s_and_saveexec_b64 s[10:11], s[6:7]
	s_xor_b64 s[10:11], exec, s[10:11]
	s_cbranch_execz .LBB133_21
; %bb.20:                               ;   in Loop: Header=BB133_19 Depth=1
	global_load_ushort v27, v[11:12], off
	global_load_ushort v31, v[11:12], off offset:8
	global_load_ushort v34, v[11:12], off offset:4
	s_waitcnt vmcnt(1)
	v_perm_b32 v11, v27, v31, s27
	s_waitcnt vmcnt(0)
	v_perm_b32 v12, v31, v34, s27
	v_pk_lshrrev_b16 v12, 2, v12
	v_pk_lshrrev_b16 v11, s33, v11
	v_and_b32_e32 v12, 0xf0f3030, v12
	v_and_or_b32 v34, v11, s35, v12
                                        ; implicit-def: $vgpr11_vgpr12
.LBB133_21:                             ;   in Loop: Header=BB133_19 Depth=1
	s_andn2_saveexec_b64 s[10:11], s[10:11]
	s_cbranch_execz .LBB133_23
; %bb.22:                               ;   in Loop: Header=BB133_19 Depth=1
	global_load_ushort v27, v[11:12], off offset:4
	global_load_ushort v31, v[11:12], off offset:8
	s_waitcnt vmcnt(0)
	v_perm_b32 v11, v27, v31, s27
	v_and_b32_e32 v34, 0x3f3f3f3f, v11
.LBB133_23:                             ;   in Loop: Header=BB133_19 Depth=1
	s_or_b64 exec, exec, s[10:11]
	global_load_dword v35, v[9:10], off
	s_waitcnt vmcnt(10)
	v_cvt_f32_f16_e32 v27, v26
	s_waitcnt vmcnt(9)
	v_cvt_f32_f16_e32 v26, v30
	s_waitcnt vmcnt(7)
	v_dot4_i32_i8 v9, s36, v25, 0
	v_dot4_i32_i8 v31, s36, v24, v9
	s_waitcnt vmcnt(5)
	v_dot4_i32_i8 v9, s36, v23, 0
	v_cndmask_b32_e64 v10, 0, 1, s[18:19]
	v_cmp_ne_u32_e64 s[10:11], 1, v10
	s_andn2_b64 vcc, exec, s[18:19]
	v_dot4_i32_i8 v30, s36, v22, v9
	s_cbranch_vccnz .LBB133_29
; %bb.24:                               ;   in Loop: Header=BB133_19 Depth=1
	v_mov_b32_e32 v9, s28
	v_mov_b32_e32 v10, s29
	v_mad_i64_i32 v[9:10], s[20:21], v37, s25, v[9:10]
	v_add_co_u32_e32 v11, vcc, v9, v19
	v_addc_co_u32_e32 v12, vcc, 0, v10, vcc
	v_add_co_u32_e32 v11, vcc, v11, v20
	v_addc_co_u32_e32 v12, vcc, 0, v12, vcc
	;; [unrolled: 2-line block ×3, first 2 shown]
	global_load_dword v38, v[11:12], off offset:48
	global_load_dword v37, v[11:12], off offset:64
	;; [unrolled: 1-line block ×4, first 2 shown]
	v_add_co_u32_e32 v11, vcc, v9, v36
	v_addc_co_u32_e32 v12, vcc, 0, v10, vcc
                                        ; implicit-def: $vgpr42
                                        ; implicit-def: $vgpr41
	s_and_saveexec_b64 s[20:21], s[6:7]
	s_xor_b64 s[20:21], exec, s[20:21]
	s_cbranch_execz .LBB133_26
; %bb.25:                               ;   in Loop: Header=BB133_19 Depth=1
	global_load_ushort v41, v[11:12], off offset:8
	global_load_ushort v42, v[11:12], off
	global_load_ushort v43, v[11:12], off offset:4
	s_waitcnt vmcnt(2)
	v_and_b32_e32 v11, 0xf0f, v41
	s_waitcnt vmcnt(1)
	v_lshrrev_b16_e32 v12, 2, v42
	v_lshrrev_b16_e32 v41, 4, v41
	s_waitcnt vmcnt(0)
	v_lshrrev_b16_e32 v42, 2, v43
	v_and_b32_e32 v12, 0x3030, v12
	v_and_b32_e32 v41, 0xf0f, v41
	;; [unrolled: 1-line block ×3, first 2 shown]
	v_or_b32_e32 v42, v12, v11
	v_or_b32_e32 v41, v43, v41
                                        ; implicit-def: $vgpr11_vgpr12
.LBB133_26:                             ;   in Loop: Header=BB133_19 Depth=1
	s_andn2_saveexec_b64 s[20:21], s[20:21]
	s_cbranch_execz .LBB133_28
; %bb.27:                               ;   in Loop: Header=BB133_19 Depth=1
	global_load_ushort v41, v[11:12], off offset:4
	global_load_ushort v43, v[11:12], off offset:8
	s_waitcnt vmcnt(1)
	v_and_b32_e32 v42, 0x3f3f, v41
	s_waitcnt vmcnt(0)
	v_and_b32_e32 v41, 0x3f3f, v43
.LBB133_28:                             ;   in Loop: Header=BB133_19 Depth=1
	s_or_b64 exec, exec, s[20:21]
	global_load_dword v9, v[9:10], off
	s_waitcnt vmcnt(1)
	v_ashrrev_i32_e32 v10, v21, v40
	v_ashrrev_i32_e32 v11, v21, v39
	v_and_b32_e32 v39, 0xf0f0f0f, v37
	v_lshlrev_b32_e32 v43, 4, v10
	v_and_b32_e32 v12, 0xf0f0f0f, v38
	v_lshlrev_b32_e32 v40, 4, v11
	v_and_or_b32 v39, v43, s37, v39
	v_and_or_b32 v12, v40, s37, v12
	v_dot4_i32_i8 v39, v39, v25, 0
	v_lshrrev_b32_e32 v37, 4, v37
	v_dot4_i32_i8 v12, v12, v24, v39
	v_and_b32_sdwa v39, s40, v42 dst_sel:DWORD dst_unused:UNUSED_PAD src0_sel:DWORD src1_sel:BYTE_0
	v_lshrrev_b32_e32 v38, 4, v38
	v_and_b32_e32 v37, 0xf0f0f0f, v37
	v_lshlrev_b32_e32 v10, 3, v10
	v_mul_lo_u32 v12, v12, v39
	v_lshrrev_b16_e32 v39, 8, v41
	v_and_b32_sdwa v41, s40, v41 dst_sel:DWORD dst_unused:UNUSED_PAD src0_sel:DWORD src1_sel:BYTE_0
	v_and_b32_e32 v38, 0xf0f0f0f, v38
	v_lshlrev_b32_e32 v11, 3, v11
	v_and_or_b32 v10, v10, s37, v37
	v_mul_lo_u32 v41, v31, v41
	v_and_or_b32 v11, v11, s37, v38
	v_dot4_i32_i8 v10, v10, v23, 0
	v_lshrrev_b16_e32 v40, 8, v42
	v_dot4_i32_i8 v10, v11, v22, v10
	v_mul_lo_u32 v11, v30, v39
	v_mul_lo_u32 v10, v10, v40
	v_cvt_f32_i32_e32 v37, v41
	v_cvt_f32_i32_e32 v12, v12
	;; [unrolled: 1-line block ×4, first 2 shown]
	v_fma_f32 v37, v27, v37, 0
	v_fma_f32 v12, v27, v12, 0
	v_fmac_f32_e32 v37, v26, v11
	v_fmac_f32_e32 v12, v26, v10
	s_waitcnt vmcnt(0)
	v_cvt_f32_f16_sdwa v38, v9 dst_sel:DWORD dst_unused:UNUSED_PAD src0_sel:WORD_1
	v_mul_f32_e32 v10, v37, v38
	v_fma_mix_f32 v9, v12, v9, -v10 op_sel_hi:[0,1,0]
	v_add_f32_e32 v2, v2, v9
.LBB133_29:                             ;   in Loop: Header=BB133_19 Depth=1
	v_mov_b32_e32 v9, s12
	v_add_u32_e32 v43, s24, v17
	v_mov_b32_e32 v10, s13
	v_mad_i64_i32 v[9:10], s[20:21], v43, s25, v[9:10]
	v_add_co_u32_e32 v11, vcc, v9, v19
	v_addc_co_u32_e32 v12, vcc, 0, v10, vcc
	v_add_co_u32_e32 v11, vcc, v11, v20
	v_addc_co_u32_e32 v12, vcc, 0, v12, vcc
	;; [unrolled: 2-line block ×3, first 2 shown]
	global_load_dword v38, v[11:12], off offset:48
	global_load_dword v37, v[11:12], off offset:64
	global_load_dword v39, v[41:42], off offset:16
	global_load_dword v40, v[41:42], off offset:32
	v_add_co_u32_e32 v11, vcc, v9, v36
	v_addc_co_u32_e32 v12, vcc, 0, v10, vcc
                                        ; implicit-def: $vgpr42
	s_and_saveexec_b64 s[20:21], s[6:7]
	s_xor_b64 s[20:21], exec, s[20:21]
	s_cbranch_execnz .LBB133_32
; %bb.30:                               ;   in Loop: Header=BB133_19 Depth=1
	s_andn2_saveexec_b64 s[20:21], s[20:21]
	s_cbranch_execnz .LBB133_33
.LBB133_31:                             ;   in Loop: Header=BB133_19 Depth=1
	s_or_b64 exec, exec, s[20:21]
	global_load_dword v41, v[9:10], off
	s_and_b64 vcc, exec, s[10:11]
	s_cbranch_vccz .LBB133_34
	s_branch .LBB133_18
.LBB133_32:                             ;   in Loop: Header=BB133_19 Depth=1
	global_load_ushort v41, v[11:12], off
	global_load_ushort v42, v[11:12], off offset:8
	global_load_ushort v44, v[11:12], off offset:4
	s_waitcnt vmcnt(1)
	v_perm_b32 v11, v41, v42, s27
	s_waitcnt vmcnt(0)
	v_perm_b32 v12, v42, v44, s27
	v_pk_lshrrev_b16 v12, 2, v12
	v_pk_lshrrev_b16 v11, s33, v11
	v_and_b32_e32 v12, 0xf0f3030, v12
	v_and_or_b32 v42, v11, s35, v12
                                        ; implicit-def: $vgpr11_vgpr12
	s_andn2_saveexec_b64 s[20:21], s[20:21]
	s_cbranch_execz .LBB133_31
.LBB133_33:                             ;   in Loop: Header=BB133_19 Depth=1
	global_load_ushort v41, v[11:12], off offset:4
	global_load_ushort v42, v[11:12], off offset:8
	s_waitcnt vmcnt(0)
	v_perm_b32 v11, v41, v42, s27
	v_and_b32_e32 v42, 0x3f3f3f3f, v11
	s_or_b64 exec, exec, s[20:21]
	global_load_dword v41, v[9:10], off
	s_and_b64 vcc, exec, s[10:11]
	s_cbranch_vccnz .LBB133_18
.LBB133_34:                             ;   in Loop: Header=BB133_19 Depth=1
	v_mov_b32_e32 v9, s28
	v_mov_b32_e32 v10, s29
	v_mad_i64_i32 v[9:10], s[10:11], v43, s25, v[9:10]
	v_add_co_u32_e32 v11, vcc, v9, v19
	v_addc_co_u32_e32 v12, vcc, 0, v10, vcc
	v_add_co_u32_e32 v11, vcc, v11, v20
	v_addc_co_u32_e32 v12, vcc, 0, v12, vcc
	;; [unrolled: 2-line block ×3, first 2 shown]
	global_load_dword v44, v[11:12], off offset:48
	global_load_dword v43, v[11:12], off offset:64
	;; [unrolled: 1-line block ×4, first 2 shown]
	v_add_co_u32_e32 v11, vcc, v9, v36
	v_addc_co_u32_e32 v12, vcc, 0, v10, vcc
                                        ; implicit-def: $vgpr36
	s_and_saveexec_b64 s[10:11], s[6:7]
	s_xor_b64 s[10:11], exec, s[10:11]
	s_cbranch_execz .LBB133_36
; %bb.35:                               ;   in Loop: Header=BB133_19 Depth=1
	global_load_ushort v36, v[11:12], off
	global_load_ushort v47, v[11:12], off offset:8
	global_load_ushort v48, v[11:12], off offset:4
	s_waitcnt vmcnt(1)
	v_perm_b32 v11, v36, v47, s27
	s_waitcnt vmcnt(0)
	v_perm_b32 v12, v47, v48, s27
	v_pk_lshrrev_b16 v12, 2, v12
	v_pk_lshrrev_b16 v11, s33, v11
	v_and_b32_e32 v12, 0xf0f3030, v12
	v_and_or_b32 v36, v11, s35, v12
                                        ; implicit-def: $vgpr11_vgpr12
.LBB133_36:                             ;   in Loop: Header=BB133_19 Depth=1
	s_andn2_saveexec_b64 s[10:11], s[10:11]
	s_cbranch_execz .LBB133_17
; %bb.37:                               ;   in Loop: Header=BB133_19 Depth=1
	global_load_ushort v36, v[11:12], off offset:4
	global_load_ushort v47, v[11:12], off offset:8
	s_waitcnt vmcnt(0)
	v_perm_b32 v11, v36, v47, s27
	v_and_b32_e32 v36, 0x3f3f3f3f, v11
	s_branch .LBB133_17
.LBB133_38:
	s_or_b64 exec, exec, s[14:15]
.LBB133_39:
	s_or_b64 exec, exec, s[30:31]
	s_load_dword s14, s[4:5], 0x30
	v_cmp_eq_u32_e64 s[6:7], 0, v1
	v_cmp_ne_u32_e32 vcc, 0, v1
	v_lshlrev_b32_e32 v5, 2, v0
	s_and_saveexec_b64 s[10:11], vcc
	s_cbranch_execz .LBB133_44
; %bb.40:
	v_lshl_or_b32 v1, v1, 9, v5
	v_add_u32_e32 v6, 0xfffffe00, v1
	s_mov_b64 s[12:13], -1
	s_and_b64 vcc, exec, s[38:39]
	ds_write_b32 v6, v16
	s_cbranch_vccz .LBB133_42
; %bb.41:
	ds_write_b32 v6, v4 offset:256
	s_mov_b64 s[12:13], 0
.LBB133_42:
	s_andn2_b64 vcc, exec, s[12:13]
	s_cbranch_vccnz .LBB133_44
; %bb.43:
	ds_write_b32 v6, v4 offset:256
	ds_write2st64_b32 v1, v2, v3 offset1:1
.LBB133_44:
	s_or_b64 exec, exec, s[10:11]
	s_waitcnt vmcnt(0) lgkmcnt(0)
	s_barrier
	s_and_saveexec_b64 s[10:11], s[6:7]
	s_cbranch_execz .LBB133_77
; %bb.45:
	ds_read_b32 v7, v5
	v_cndmask_b32_e64 v1, 0, 1, s[18:19]
	v_cmp_ne_u32_e64 s[6:7], 1, v1
	s_andn2_b64 vcc, exec, s[18:19]
	v_or_b32_e32 v6, 0x200, v5
	s_cbranch_vccnz .LBB133_47
; %bb.46:
	ds_read_b32 v1, v6
	s_waitcnt lgkmcnt(0)
	v_add_f32_e32 v2, v2, v1
.LBB133_47:
	v_mbcnt_lo_u32_b32 v1, -1, 0
	v_mbcnt_hi_u32_b32 v8, -1, v1
	v_and_b32_e32 v1, 64, v8
	v_add_u32_e32 v17, 64, v1
	v_xor_b32_e32 v1, 32, v8
	v_cmp_lt_i32_e32 vcc, v1, v17
	v_cndmask_b32_e32 v1, v8, v1, vcc
	v_lshlrev_b32_e32 v1, 2, v1
	s_waitcnt lgkmcnt(0)
	v_add_f32_e32 v7, v16, v7
	ds_bpermute_b32 v10, v1, v7
	v_xor_b32_e32 v9, 16, v8
	v_cmp_lt_i32_e32 vcc, v9, v17
	v_cndmask_b32_e32 v9, v8, v9, vcc
	v_lshlrev_b32_e32 v9, 2, v9
	s_waitcnt lgkmcnt(0)
	v_add_f32_e32 v7, v7, v10
	ds_bpermute_b32 v11, v9, v7
	;; [unrolled: 7-line block ×6, first 2 shown]
	s_and_b64 vcc, exec, s[6:7]
	s_cbranch_vccnz .LBB133_49
; %bb.48:
	ds_bpermute_b32 v17, v1, v2
	s_waitcnt lgkmcnt(0)
	v_add_f32_e32 v2, v2, v17
	ds_bpermute_b32 v17, v9, v2
	s_waitcnt lgkmcnt(0)
	v_add_f32_e32 v2, v2, v17
	ds_bpermute_b32 v17, v10, v2
	s_waitcnt lgkmcnt(0)
	v_add_f32_e32 v2, v2, v17
	ds_bpermute_b32 v17, v11, v2
	s_waitcnt lgkmcnt(0)
	v_add_f32_e32 v2, v2, v17
	ds_bpermute_b32 v17, v12, v2
	s_waitcnt lgkmcnt(0)
	v_add_f32_e32 v2, v2, v17
	ds_bpermute_b32 v17, v16, v2
	s_waitcnt lgkmcnt(0)
	v_add_f32_e32 v2, v2, v17
.LBB133_49:
	ds_read_b32 v17, v5 offset:256
	s_and_b64 vcc, exec, s[6:7]
	s_cbranch_vccnz .LBB133_51
; %bb.50:
	ds_read_b32 v6, v6 offset:256
	s_waitcnt lgkmcnt(0)
	v_add_f32_e32 v3, v3, v6
.LBB133_51:
	s_waitcnt lgkmcnt(0)
	v_add_f32_e32 v4, v4, v17
	ds_bpermute_b32 v6, v1, v4
	s_and_b64 vcc, exec, s[6:7]
	s_waitcnt lgkmcnt(0)
	v_add_f32_e32 v4, v4, v6
	ds_bpermute_b32 v6, v9, v4
	s_waitcnt lgkmcnt(0)
	v_add_f32_e32 v4, v4, v6
	ds_bpermute_b32 v6, v10, v4
	;; [unrolled: 3-line block ×5, first 2 shown]
	s_cbranch_vccnz .LBB133_53
; %bb.52:
	ds_bpermute_b32 v1, v1, v3
	s_waitcnt lgkmcnt(0)
	v_add_f32_e32 v1, v3, v1
	ds_bpermute_b32 v3, v9, v1
	s_waitcnt lgkmcnt(0)
	v_add_f32_e32 v1, v1, v3
	;; [unrolled: 3-line block ×6, first 2 shown]
.LBB133_53:
	v_cmp_gt_u32_e32 vcc, s9, v13
	v_cmp_gt_u32_e64 s[10:11], 2, v0
	s_and_b64 s[10:11], s[10:11], vcc
	s_and_b64 exec, exec, s[10:11]
	s_cbranch_execz .LBB133_77
; %bb.54:
	v_add_f32_e32 v1, v7, v8
	s_waitcnt lgkmcnt(0)
	v_add_f32_e32 v4, v4, v6
	v_cmp_eq_u32_e64 s[10:11], 1, v0
	v_cndmask_b32_e64 v0, v1, v4, s[10:11]
	v_add_f32_e32 v1, v15, v0
	s_and_b64 vcc, exec, s[6:7]
	v_cndmask_b32_e64 v0, v1, v0, s[0:1]
	s_cbranch_vccnz .LBB133_76
; %bb.55:
	v_cndmask_b32_e64 v1, v2, v3, s[10:11]
	v_add_f32_e32 v2, v14, v1
	v_cndmask_b32_e64 v1, v1, v2, s[2:3]
	s_cmp_lt_i32 s14, 2
	s_mov_b64 s[0:1], 0
	s_cbranch_scc1 .LBB133_59
; %bb.56:
	s_cmp_gt_i32 s14, 2
	s_cbranch_scc0 .LBB133_60
; %bb.57:
	s_cmp_eq_u32 s14, 3
	s_cbranch_scc0 .LBB133_61
; %bb.58:
	v_max_f32_e32 v2, v1, v1
	v_min_f32_e32 v2, 0x40e00000, v2
	v_mul_f32_e32 v3, 0xbfd9db23, v2
	s_mov_b32 s2, 0x3fb8aa3b
	v_mul_f32_e32 v4, 0x3fb8aa3b, v3
	v_fma_f32 v6, v3, s2, -v4
	v_rndne_f32_e32 v7, v4
	v_fmac_f32_e32 v6, 0x32a5705f, v3
	v_sub_f32_e32 v4, v4, v7
	v_add_f32_e32 v4, v4, v6
	v_exp_f32_e32 v4, v4
	v_cvt_i32_f32_e32 v6, v7
	s_mov_b32 s2, 0xc2ce8ed0
	v_cmp_ngt_f32_e32 vcc, s2, v3
	s_mov_b32 s2, 0x42b17218
	v_ldexp_f32 v4, v4, v6
	v_cndmask_b32_e32 v4, 0, v4, vcc
	v_mov_b32_e32 v6, 0x7f800000
	v_cmp_nlt_f32_e32 vcc, s2, v3
	v_cndmask_b32_e32 v3, v6, v4, vcc
	v_add_f32_e32 v3, 1.0, v3
	v_div_scale_f32 v4, s[2:3], v3, v3, v2
	v_div_scale_f32 v6, vcc, v2, v3, v2
	s_mov_b64 s[2:3], 0
	v_rcp_f32_e32 v7, v4
	v_fma_f32 v8, -v4, v7, 1.0
	v_fmac_f32_e32 v7, v8, v7
	v_mul_f32_e32 v8, v6, v7
	v_fma_f32 v9, -v4, v8, v6
	v_fmac_f32_e32 v8, v9, v7
	v_fma_f32 v4, -v4, v8, v6
	v_div_fmas_f32 v4, v4, v7, v8
	v_max_f32_e32 v6, v0, v0
	v_min_f32_e32 v6, 0x40e00000, v6
	v_max_f32_e32 v6, 0xc0e00000, v6
	v_add_f32_e32 v6, 1.0, v6
	v_div_fixup_f32 v2, v4, v3, v2
	v_mul_f32_e32 v2, v6, v2
	s_branch .LBB133_62
.LBB133_59:
                                        ; implicit-def: $vgpr2
	s_mov_b64 s[2:3], 0
	s_cbranch_execnz .LBB133_66
	s_branch .LBB133_67
.LBB133_60:
	s_mov_b64 s[6:7], -1
	s_mov_b64 s[2:3], 0
                                        ; implicit-def: $vgpr2
	s_branch .LBB133_63
.LBB133_61:
	s_mov_b64 s[2:3], -1
                                        ; implicit-def: $vgpr2
.LBB133_62:
	s_mov_b64 s[6:7], 0
.LBB133_63:
	s_and_b64 vcc, exec, s[6:7]
	s_cbranch_vccz .LBB133_65
; %bb.64:
	v_mul_f32_e32 v2, 0xbfb8aa3b, v1
	s_mov_b32 s6, 0xbfb8aa3b
	v_rndne_f32_e32 v3, v2
	v_sub_f32_e32 v4, v2, v3
	v_fma_f32 v2, v1, s6, -v2
	v_fmac_f32_e32 v2, 0xb2a5705f, v1
	v_add_f32_e32 v2, v4, v2
	v_exp_f32_e32 v2, v2
	v_cvt_i32_f32_e32 v3, v3
	s_mov_b32 s6, 0x42ce8ed0
	v_cmp_nlt_f32_e32 vcc, s6, v1
	s_mov_b32 s6, 0xc2b17218
	v_ldexp_f32 v2, v2, v3
	v_cndmask_b32_e32 v2, 0, v2, vcc
	v_mov_b32_e32 v3, 0x7f800000
	v_cmp_ngt_f32_e32 vcc, s6, v1
	v_cndmask_b32_e32 v2, v3, v2, vcc
	v_add_f32_e32 v2, 1.0, v2
	v_div_scale_f32 v3, s[6:7], v2, v2, v1
	v_div_scale_f32 v4, vcc, v1, v2, v1
	v_rcp_f32_e32 v6, v3
	v_fma_f32 v7, -v3, v6, 1.0
	v_fmac_f32_e32 v6, v7, v6
	v_mul_f32_e32 v7, v4, v6
	v_fma_f32 v8, -v3, v7, v4
	v_fmac_f32_e32 v7, v8, v6
	v_fma_f32 v3, -v3, v7, v4
	v_div_fmas_f32 v3, v3, v6, v7
	v_div_fixup_f32 v2, v3, v2, v1
	v_mul_f32_e32 v2, v0, v2
.LBB133_65:
	s_branch .LBB133_67
.LBB133_66:
	s_cmp_lg_u32 s14, 1
	s_mov_b64 s[0:1], -1
	s_cselect_b64 s[2:3], -1, 0
.LBB133_67:
	s_andn2_b64 vcc, exec, s[2:3]
	s_cbranch_vccz .LBB133_69
; %bb.68:
	s_andn2_b64 vcc, exec, s[0:1]
	s_cbranch_vccz .LBB133_70
	s_branch .LBB133_75
.LBB133_69:
	v_mul_f32_e32 v2, v1, v0
	s_cbranch_execnz .LBB133_75
.LBB133_70:
	v_mul_f32_e32 v3, 0x3d372713, v1
	v_mul_f32_e32 v2, 0x3f4c422a, v1
	v_fma_f32 v3, v1, v3, 1.0
	v_mul_f32_e32 v2, v2, v3
	s_mov_b32 s0, 0x3f200000
	v_cmp_nlt_f32_e64 s[0:1], |v2|, s0
                                        ; implicit-def: $vgpr3
	s_and_saveexec_b64 s[2:3], s[0:1]
	s_xor_b64 s[0:1], exec, s[2:3]
	s_cbranch_execz .LBB133_72
; %bb.71:
	v_add_f32_e64 v3, |v2|, |v2|
	v_mul_f32_e32 v4, 0x3fb8aa3b, v3
	s_mov_b32 s2, 0x3fb8aa3b
	v_rndne_f32_e32 v6, v4
	v_sub_f32_e32 v7, v4, v6
	v_fma_f32 v4, v3, s2, -v4
	v_fmac_f32_e32 v4, 0x32a5705f, v3
	v_add_f32_e32 v4, v7, v4
	v_exp_f32_e32 v4, v4
	v_cvt_i32_f32_e32 v6, v6
	s_mov_b32 s2, 0xc2ce8ed0
	v_cmp_ngt_f32_e32 vcc, s2, v3
	s_mov_b32 s2, 0x42b17218
	v_ldexp_f32 v4, v4, v6
	v_cndmask_b32_e32 v4, 0, v4, vcc
	v_mov_b32_e32 v6, 0x7f800000
	v_cmp_nlt_f32_e32 vcc, s2, v3
	v_cndmask_b32_e32 v3, v6, v4, vcc
	v_add_f32_e32 v3, 1.0, v3
	v_rcp_f32_e32 v3, v3
	v_fma_f32 v3, v3, -2.0, 1.0
.LBB133_72:
	s_andn2_saveexec_b64 s[0:1], s[0:1]
	s_cbranch_execz .LBB133_74
; %bb.73:
	v_mul_f32_e32 v3, v2, v2
	v_mov_b32_e32 v4, 0x3ca908c9
	v_fmac_f32_e32 v4, 0xbbbac73d, v3
	v_mov_b32_e32 v6, 0xbd5c1c4e
	v_fmac_f32_e32 v6, v3, v4
	;; [unrolled: 2-line block ×4, first 2 shown]
	v_mul_f32_e64 v4, |v2|, v6
	v_fma_f32 v3, v3, v4, |v2|
.LBB133_74:
	s_or_b64 exec, exec, s[0:1]
	s_brev_b32 s0, -2
	v_bfi_b32 v2, s0, v3, v2
	v_mul_f32_e32 v1, 0.5, v1
	v_add_f32_e32 v2, 1.0, v2
	v_mul_f32_e32 v1, v1, v2
	v_mul_f32_e32 v2, v0, v1
.LBB133_75:
	v_mov_b32_e32 v0, v2
.LBB133_76:
	s_load_dwordx2 s[0:1], s[4:5], 0x38
	s_mul_i32 s3, s22, s34
	s_mul_i32 s2, s26, s8
	s_add_i32 s3, s3, s16
	s_add_i32 s2, s3, s2
	s_mov_b32 s3, 0
	s_lshl_b64 s[2:3], s[2:3], 2
	s_waitcnt lgkmcnt(0)
	s_add_u32 s0, s0, s2
	s_addc_u32 s1, s1, s3
	global_store_dword v5, v0, s[0:1]
.LBB133_77:
	s_endpgm
	.section	.rodata,"a",@progbits
	.p2align	6, 0x0
	.amdhsa_kernel _ZL13mul_mat_vec_qIL9ggml_type13ELi1ELb1ELb1EEvPKvS2_PKi31ggml_cuda_mm_fusion_args_devicePfj15HIP_vector_typeIjLj3EEjjjS8_jjjS8_jjjj
		.amdhsa_group_segment_fixed_size 1024
		.amdhsa_private_segment_fixed_size 0
		.amdhsa_kernarg_size 144
		.amdhsa_user_sgpr_count 6
		.amdhsa_user_sgpr_private_segment_buffer 1
		.amdhsa_user_sgpr_dispatch_ptr 0
		.amdhsa_user_sgpr_queue_ptr 0
		.amdhsa_user_sgpr_kernarg_segment_ptr 1
		.amdhsa_user_sgpr_dispatch_id 0
		.amdhsa_user_sgpr_flat_scratch_init 0
		.amdhsa_user_sgpr_private_segment_size 0
		.amdhsa_uses_dynamic_stack 0
		.amdhsa_system_sgpr_private_segment_wavefront_offset 0
		.amdhsa_system_sgpr_workgroup_id_x 1
		.amdhsa_system_sgpr_workgroup_id_y 1
		.amdhsa_system_sgpr_workgroup_id_z 1
		.amdhsa_system_sgpr_workgroup_info 0
		.amdhsa_system_vgpr_workitem_id 1
		.amdhsa_next_free_vgpr 49
		.amdhsa_next_free_sgpr 44
		.amdhsa_reserve_vcc 1
		.amdhsa_reserve_flat_scratch 0
		.amdhsa_float_round_mode_32 0
		.amdhsa_float_round_mode_16_64 0
		.amdhsa_float_denorm_mode_32 3
		.amdhsa_float_denorm_mode_16_64 3
		.amdhsa_dx10_clamp 1
		.amdhsa_ieee_mode 1
		.amdhsa_fp16_overflow 0
		.amdhsa_exception_fp_ieee_invalid_op 0
		.amdhsa_exception_fp_denorm_src 0
		.amdhsa_exception_fp_ieee_div_zero 0
		.amdhsa_exception_fp_ieee_overflow 0
		.amdhsa_exception_fp_ieee_underflow 0
		.amdhsa_exception_fp_ieee_inexact 0
		.amdhsa_exception_int_div_zero 0
	.end_amdhsa_kernel
	.section	.text._ZL13mul_mat_vec_qIL9ggml_type13ELi1ELb1ELb1EEvPKvS2_PKi31ggml_cuda_mm_fusion_args_devicePfj15HIP_vector_typeIjLj3EEjjjS8_jjjS8_jjjj,"axG",@progbits,_ZL13mul_mat_vec_qIL9ggml_type13ELi1ELb1ELb1EEvPKvS2_PKi31ggml_cuda_mm_fusion_args_devicePfj15HIP_vector_typeIjLj3EEjjjS8_jjjS8_jjjj,comdat
.Lfunc_end133:
	.size	_ZL13mul_mat_vec_qIL9ggml_type13ELi1ELb1ELb1EEvPKvS2_PKi31ggml_cuda_mm_fusion_args_devicePfj15HIP_vector_typeIjLj3EEjjjS8_jjjS8_jjjj, .Lfunc_end133-_ZL13mul_mat_vec_qIL9ggml_type13ELi1ELb1ELb1EEvPKvS2_PKi31ggml_cuda_mm_fusion_args_devicePfj15HIP_vector_typeIjLj3EEjjjS8_jjjS8_jjjj
                                        ; -- End function
	.set _ZL13mul_mat_vec_qIL9ggml_type13ELi1ELb1ELb1EEvPKvS2_PKi31ggml_cuda_mm_fusion_args_devicePfj15HIP_vector_typeIjLj3EEjjjS8_jjjS8_jjjj.num_vgpr, 49
	.set _ZL13mul_mat_vec_qIL9ggml_type13ELi1ELb1ELb1EEvPKvS2_PKi31ggml_cuda_mm_fusion_args_devicePfj15HIP_vector_typeIjLj3EEjjjS8_jjjS8_jjjj.num_agpr, 0
	.set _ZL13mul_mat_vec_qIL9ggml_type13ELi1ELb1ELb1EEvPKvS2_PKi31ggml_cuda_mm_fusion_args_devicePfj15HIP_vector_typeIjLj3EEjjjS8_jjjS8_jjjj.numbered_sgpr, 44
	.set _ZL13mul_mat_vec_qIL9ggml_type13ELi1ELb1ELb1EEvPKvS2_PKi31ggml_cuda_mm_fusion_args_devicePfj15HIP_vector_typeIjLj3EEjjjS8_jjjS8_jjjj.num_named_barrier, 0
	.set _ZL13mul_mat_vec_qIL9ggml_type13ELi1ELb1ELb1EEvPKvS2_PKi31ggml_cuda_mm_fusion_args_devicePfj15HIP_vector_typeIjLj3EEjjjS8_jjjS8_jjjj.private_seg_size, 0
	.set _ZL13mul_mat_vec_qIL9ggml_type13ELi1ELb1ELb1EEvPKvS2_PKi31ggml_cuda_mm_fusion_args_devicePfj15HIP_vector_typeIjLj3EEjjjS8_jjjS8_jjjj.uses_vcc, 1
	.set _ZL13mul_mat_vec_qIL9ggml_type13ELi1ELb1ELb1EEvPKvS2_PKi31ggml_cuda_mm_fusion_args_devicePfj15HIP_vector_typeIjLj3EEjjjS8_jjjS8_jjjj.uses_flat_scratch, 0
	.set _ZL13mul_mat_vec_qIL9ggml_type13ELi1ELb1ELb1EEvPKvS2_PKi31ggml_cuda_mm_fusion_args_devicePfj15HIP_vector_typeIjLj3EEjjjS8_jjjS8_jjjj.has_dyn_sized_stack, 0
	.set _ZL13mul_mat_vec_qIL9ggml_type13ELi1ELb1ELb1EEvPKvS2_PKi31ggml_cuda_mm_fusion_args_devicePfj15HIP_vector_typeIjLj3EEjjjS8_jjjS8_jjjj.has_recursion, 0
	.set _ZL13mul_mat_vec_qIL9ggml_type13ELi1ELb1ELb1EEvPKvS2_PKi31ggml_cuda_mm_fusion_args_devicePfj15HIP_vector_typeIjLj3EEjjjS8_jjjS8_jjjj.has_indirect_call, 0
	.section	.AMDGPU.csdata,"",@progbits
; Kernel info:
; codeLenInByte = 4700
; TotalNumSgprs: 48
; NumVgprs: 49
; ScratchSize: 0
; MemoryBound: 0
; FloatMode: 240
; IeeeMode: 1
; LDSByteSize: 1024 bytes/workgroup (compile time only)
; SGPRBlocks: 5
; VGPRBlocks: 12
; NumSGPRsForWavesPerEU: 48
; NumVGPRsForWavesPerEU: 49
; Occupancy: 4
; WaveLimiterHint : 0
; COMPUTE_PGM_RSRC2:SCRATCH_EN: 0
; COMPUTE_PGM_RSRC2:USER_SGPR: 6
; COMPUTE_PGM_RSRC2:TRAP_HANDLER: 0
; COMPUTE_PGM_RSRC2:TGID_X_EN: 1
; COMPUTE_PGM_RSRC2:TGID_Y_EN: 1
; COMPUTE_PGM_RSRC2:TGID_Z_EN: 1
; COMPUTE_PGM_RSRC2:TIDIG_COMP_CNT: 1
	.section	.text._ZL13mul_mat_vec_qIL9ggml_type13ELi1ELb0ELb1EEvPKvS2_PKi31ggml_cuda_mm_fusion_args_devicePfj15HIP_vector_typeIjLj3EEjjjS8_jjjS8_jjjj,"axG",@progbits,_ZL13mul_mat_vec_qIL9ggml_type13ELi1ELb0ELb1EEvPKvS2_PKi31ggml_cuda_mm_fusion_args_devicePfj15HIP_vector_typeIjLj3EEjjjS8_jjjS8_jjjj,comdat
	.globl	_ZL13mul_mat_vec_qIL9ggml_type13ELi1ELb0ELb1EEvPKvS2_PKi31ggml_cuda_mm_fusion_args_devicePfj15HIP_vector_typeIjLj3EEjjjS8_jjjS8_jjjj ; -- Begin function _ZL13mul_mat_vec_qIL9ggml_type13ELi1ELb0ELb1EEvPKvS2_PKi31ggml_cuda_mm_fusion_args_devicePfj15HIP_vector_typeIjLj3EEjjjS8_jjjS8_jjjj
	.p2align	8
	.type	_ZL13mul_mat_vec_qIL9ggml_type13ELi1ELb0ELb1EEvPKvS2_PKi31ggml_cuda_mm_fusion_args_devicePfj15HIP_vector_typeIjLj3EEjjjS8_jjjS8_jjjj,@function
_ZL13mul_mat_vec_qIL9ggml_type13ELi1ELb0ELb1EEvPKvS2_PKi31ggml_cuda_mm_fusion_args_devicePfj15HIP_vector_typeIjLj3EEjjjS8_jjjS8_jjjj: ; @_ZL13mul_mat_vec_qIL9ggml_type13ELi1ELb0ELb1EEvPKvS2_PKi31ggml_cuda_mm_fusion_args_devicePfj15HIP_vector_typeIjLj3EEjjjS8_jjjS8_jjjj
; %bb.0:
	s_load_dwordx2 s[12:13], s[4:5], 0x10
	s_load_dwordx4 s[0:3], s[4:5], 0x40
	s_mov_b32 s10, s7
	s_mov_b64 s[18:19], 0
	s_waitcnt lgkmcnt(0)
	s_cmp_lg_u64 s[12:13], 0
	s_cselect_b64 s[16:17], -1, 0
	s_cmp_eq_u64 s[12:13], 0
	s_cbranch_scc1 .LBB134_5
; %bb.1:
	s_mov_b32 s11, 0
	s_lshl_b64 s[14:15], s[10:11], 2
	s_add_u32 s12, s12, s14
	s_addc_u32 s13, s13, s15
	s_load_dword s25, s[12:13], 0x0
	s_nop 0
	s_load_dwordx4 s[12:15], s[4:5], 0x68
	s_load_dword s24, s[4:5], 0x50
	s_andn2_b64 vcc, exec, s[18:19]
	s_cbranch_vccnz .LBB134_3
.LBB134_2:
	s_load_dwordx2 s[18:19], s[4:5], 0x5c
	s_waitcnt lgkmcnt(0)
	s_mul_hi_u32 s7, s18, s10
	s_add_i32 s7, s10, s7
	s_lshr_b32 s25, s7, s19
.LBB134_3:
	s_load_dword s26, s[4:5], 0x78
	s_andn2_b64 vcc, exec, s[16:17]
	s_cbranch_vccnz .LBB134_6
; %bb.4:
	s_mul_hi_u32 s1, s1, s10
	s_add_i32 s1, s10, s1
	s_lshr_b32 s1, s1, s2
	s_mul_i32 s1, s1, s3
	s_sub_i32 s1, s10, s1
	s_branch .LBB134_7
.LBB134_5:
                                        ; implicit-def: $sgpr25
	s_load_dwordx4 s[12:15], s[4:5], 0x68
	s_load_dword s24, s[4:5], 0x50
	s_branch .LBB134_2
.LBB134_6:
	s_mov_b32 s1, s10
.LBB134_7:
	s_load_dwordx4 s[16:19], s[4:5], 0x80
	v_lshl_add_u32 v2, v1, 6, v0
	s_lshr_b32 s11, s0, 8
	v_lshrrev_b32_e32 v12, 4, v2
	s_lshl_b32 s9, s6, 1
	v_cmp_gt_u32_e32 vcc, s11, v12
	v_mov_b32_e32 v11, 0
	v_mov_b32_e32 v10, 0
	s_and_saveexec_b64 s[6:7], vcc
	s_cbranch_execz .LBB134_19
; %bb.8:
	s_waitcnt lgkmcnt(0)
	s_mul_hi_u32 s2, s15, s8
	s_add_i32 s2, s8, s2
	s_lshr_b32 s2, s2, s26
	s_mul_i32 s0, s25, s12
	s_mul_i32 s2, s2, s16
	v_lshlrev_b32_e32 v3, 1, v0
	s_load_dwordx4 s[20:23], s[4:5], 0x0
	v_and_b32_e32 v4, 30, v3
	s_add_i32 s16, s0, s2
	s_mul_i32 s2, s9, s24
	s_mul_i32 s13, s1, s13
	v_bfe_u32 v6, v3, 3, 2
	v_and_b32_e32 v3, 3, v0
	v_cmp_lt_u32_e64 s[0:1], 15, v4
	s_add_i32 s15, s16, s2
	s_add_i32 s2, s9, 1
	v_lshrrev_b32_e32 v4, 4, v2
	v_bfe_u32 v2, v0, 2, 2
	v_lshlrev_b32_e32 v14, 2, v3
	s_mul_i32 s24, s24, s2
	v_mul_hi_u32_u24_e32 v3, 0x48, v2
	v_mul_u32_u24_e32 v2, 0x48, v2
	s_movk_i32 s2, 0x120
	s_mul_i32 s12, s17, s8
	v_mad_u64_u32 v[2:3], s[2:3], v4, s2, v[2:3]
	s_add_i32 s16, s16, s24
	s_mul_hi_u32 s3, s12, 36
	s_mul_i32 s12, s12, 36
	s_waitcnt lgkmcnt(0)
	s_add_u32 s12, s22, s12
	s_mul_hi_u32 s2, s13, 36
	s_mul_i32 s13, s13, 36
	s_addc_u32 s3, s23, s3
	s_add_u32 s12, s12, s13
	s_addc_u32 s2, s3, s2
	v_mov_b32_e32 v4, s2
	v_add_co_u32_e32 v2, vcc, s12, v2
	v_addc_co_u32_e32 v3, vcc, v4, v3, vcc
	v_add_co_u32_e32 v2, vcc, 36, v2
	v_mov_b32_e32 v4, s20
	v_lshlrev_b32_e32 v13, 5, v6
	v_mov_b32_e32 v10, 0
	v_lshlrev_b32_e32 v15, 1, v6
	v_addc_co_u32_e32 v3, vcc, 0, v3, vcc
	s_mov_b64 s[12:13], 0
	s_movk_i32 s17, 0xb0
	s_mov_b32 s19, 0x5040100
	s_mov_b32 s22, 0x20004
	;; [unrolled: 1-line block ×6, first 2 shown]
	v_mov_b32_e32 v5, s21
	v_lshlrev_b32_e32 v16, 1, v6
	v_mov_b32_e32 v11, 0
	s_branch .LBB134_10
.LBB134_9:                              ;   in Loop: Header=BB134_10 Depth=1
	s_or_b64 exec, exec, s[2:3]
	global_load_dword v6, v[6:7], off
	s_waitcnt vmcnt(7)
	v_ashrrev_i32_e32 v7, v15, v32
	v_and_b32_e32 v8, 0xf0f0f0f, v26
	v_lshlrev_b32_e32 v9, 4, v7
	v_and_or_b32 v8, v9, s25, v8
	s_waitcnt vmcnt(6)
	v_ashrrev_i32_e32 v9, v15, v31
	v_and_b32_e32 v31, 0xf0f0f0f, v25
	v_lshlrev_b32_e32 v32, 4, v9
	v_and_or_b32 v31, v32, s25, v31
	s_waitcnt vmcnt(2)
	v_ashrrev_i32_e32 v32, v15, v34
	v_and_b32_e32 v34, 0xf0f0f0f, v29
	v_lshlrev_b32_e32 v35, 4, v32
	s_waitcnt vmcnt(1)
	v_ashrrev_i32_e32 v33, v15, v33
	v_and_or_b32 v34, v35, s25, v34
	v_and_b32_e32 v35, 0xf0f0f0f, v28
	v_lshlrev_b32_e32 v36, 4, v33
	v_and_or_b32 v35, v36, s25, v35
	v_dot4_i32_i8 v31, v31, v24, 0
	v_dot4_i32_i8 v8, v8, v23, v31
	;; [unrolled: 1-line block ×6, first 2 shown]
	v_lshrrev_b32_e32 v24, 4, v26
	v_and_b32_e32 v24, 0xf0f0f0f, v24
	v_lshlrev_b32_e32 v7, 3, v7
	v_and_or_b32 v7, v7, s25, v24
	v_lshrrev_b32_e32 v24, 4, v25
	v_and_b32_e32 v24, 0xf0f0f0f, v24
	v_lshlrev_b32_e32 v9, 3, v9
	v_and_or_b32 v9, v9, s25, v24
	v_and_b32_e32 v24, 0xff, v22
	v_and_b32_sdwa v25, s26, v30 dst_sel:DWORD dst_unused:UNUSED_PAD src0_sel:DWORD src1_sel:BYTE_0
	v_mul_lo_u32 v24, v23, v24
	v_mul_lo_u32 v23, v23, v25
	v_lshrrev_b32_e32 v25, 4, v29
	v_and_b32_e32 v25, 0xf0f0f0f, v25
	v_lshlrev_b32_e32 v26, 3, v32
	v_lshrrev_b32_e32 v28, 4, v28
	v_and_or_b32 v25, v26, s25, v25
	v_dot4_i32_i8 v26, s24, v20, 0
	v_and_b32_e32 v28, 0xf0f0f0f, v28
	v_lshlrev_b32_e32 v29, 3, v33
	v_and_or_b32 v28, v29, s25, v28
	v_lshrrev_b16_e32 v29, 8, v22
	v_lshrrev_b16_e32 v30, 8, v30
	v_dot4_i32_i8 v26, s24, v19, v26
	v_mul_lo_u32 v29, v26, v29
	v_mul_lo_u32 v26, v26, v30
	v_lshrrev_b32_e32 v30, 24, v22
	v_bfe_u32 v22, v22, 16, 8
	v_dot4_i32_i8 v9, v9, v20, 0
	v_dot4_i32_i8 v7, v7, v19, v9
	v_mul_lo_u32 v8, v8, v22
	v_mul_lo_u32 v7, v7, v30
	v_dot4_i32_i8 v20, v28, v20, 0
	v_lshrrev_b16_e32 v9, 8, v27
	v_and_b32_sdwa v27, s26, v27 dst_sel:DWORD dst_unused:UNUSED_PAD src0_sel:DWORD src1_sel:BYTE_0
	v_dot4_i32_i8 v19, v25, v19, v20
	v_mul_lo_u32 v20, v31, v27
	v_cvt_f32_i32_e32 v8, v8
	v_mul_lo_u32 v9, v19, v9
	v_cvt_f32_i32_e32 v19, v24
	v_cvt_f32_i32_e32 v7, v7
	;; [unrolled: 1-line block ×3, first 2 shown]
	v_cvt_f32_f16_sdwa v28, v21 dst_sel:DWORD dst_unused:UNUSED_PAD src0_sel:WORD_1
	v_cvt_f32_i32_e32 v23, v23
	v_cvt_f32_i32_e32 v24, v26
	;; [unrolled: 1-line block ×3, first 2 shown]
	v_fma_mix_f32 v8, v17, v8, 0 op_sel_hi:[1,0,0]
	v_cvt_f32_i32_e32 v9, v9
	v_fma_mix_f32 v19, v17, v19, 0 op_sel_hi:[1,0,0]
	v_fma_mix_f32 v7, v18, v7, v8 op_sel_hi:[1,0,0]
	;; [unrolled: 1-line block ×4, first 2 shown]
	v_mul_f32_e32 v19, v19, v28
	v_fma_mix_f32 v22, v18, v24, v23 op_sel_hi:[1,0,0]
	v_fma_mix_f32 v17, v17, v20, 0 op_sel_hi:[1,0,0]
	v_fma_mix_f32 v7, v7, v21, -v19 op_sel_hi:[0,1,0]
	v_add_u32_e32 v12, 8, v12
	s_waitcnt vmcnt(0)
	v_cvt_f32_f16_sdwa v8, v6 dst_sel:DWORD dst_unused:UNUSED_PAD src0_sel:WORD_1
	v_fma_mix_f32 v9, v18, v9, v17 op_sel_hi:[1,0,0]
	v_add_f32_e32 v10, v10, v7
	v_add_co_u32_e32 v2, vcc, 0x900, v2
	v_mul_f32_e32 v7, v22, v8
	v_fma_mix_f32 v6, v9, v6, -v7 op_sel_hi:[0,1,0]
	v_cmp_le_u32_e64 s[2:3], s11, v12
	v_add_f32_e32 v11, v11, v6
	s_or_b64 s[12:13], s[2:3], s[12:13]
	v_addc_co_u32_e32 v3, vcc, 0, v3, vcc
	s_andn2_b64 exec, exec, s[12:13]
	s_cbranch_execz .LBB134_18
.LBB134_10:                             ; =>This Inner Loop Header: Depth=1
	v_add_u32_e32 v8, s15, v12
	v_mad_i64_i32 v[8:9], s[2:3], v8, s17, v[4:5]
	v_add_co_u32_e32 v6, vcc, v2, v14
	v_addc_co_u32_e32 v7, vcc, 0, v3, vcc
	global_load_dword v17, v[2:3], off offset:-36
	global_load_dword v18, v[2:3], off
	global_load_dword v23, v[6:7], off offset:-32
	global_load_dword v24, v[6:7], off offset:-16
	global_load_dword v19, v[6:7], off offset:4
	global_load_dword v20, v[6:7], off offset:20
	v_add_co_u32_e32 v6, vcc, v8, v13
	v_addc_co_u32_e32 v7, vcc, 0, v9, vcc
	v_add_co_u32_e32 v6, vcc, v6, v14
	v_addc_co_u32_e32 v7, vcc, 0, v7, vcc
	;; [unrolled: 2-line block ×3, first 2 shown]
	global_load_dword v26, v[6:7], off offset:48
	global_load_dword v25, v[6:7], off offset:64
	;; [unrolled: 1-line block ×4, first 2 shown]
	v_add_co_u32_e32 v6, vcc, v8, v16
	v_addc_co_u32_e32 v7, vcc, 0, v9, vcc
                                        ; implicit-def: $vgpr22
	s_and_saveexec_b64 s[2:3], s[0:1]
	s_xor_b64 s[2:3], exec, s[2:3]
	s_cbranch_execz .LBB134_12
; %bb.11:                               ;   in Loop: Header=BB134_10 Depth=1
	global_load_ushort v21, v[6:7], off
	global_load_ushort v22, v[6:7], off offset:8
	global_load_ushort v27, v[6:7], off offset:4
	s_waitcnt vmcnt(1)
	v_perm_b32 v6, v21, v22, s19
	s_waitcnt vmcnt(0)
	v_perm_b32 v7, v22, v27, s19
	v_pk_lshrrev_b16 v7, 2, v7
	v_pk_lshrrev_b16 v6, s22, v6
	v_and_b32_e32 v7, 0xf0f3030, v7
	v_and_or_b32 v22, v6, s23, v7
                                        ; implicit-def: $vgpr6_vgpr7
.LBB134_12:                             ;   in Loop: Header=BB134_10 Depth=1
	s_andn2_saveexec_b64 s[2:3], s[2:3]
	s_cbranch_execz .LBB134_14
; %bb.13:                               ;   in Loop: Header=BB134_10 Depth=1
	global_load_ushort v21, v[6:7], off offset:4
	global_load_ushort v22, v[6:7], off offset:8
	s_waitcnt vmcnt(0)
	v_perm_b32 v6, v21, v22, s19
	v_and_b32_e32 v22, 0x3f3f3f3f, v6
.LBB134_14:                             ;   in Loop: Header=BB134_10 Depth=1
	s_or_b64 exec, exec, s[2:3]
	v_mov_b32_e32 v6, s20
	v_add_u32_e32 v21, s16, v12
	v_mov_b32_e32 v7, s21
	v_mad_i64_i32 v[6:7], s[2:3], v21, s17, v[6:7]
                                        ; implicit-def: $vgpr30
	v_add_co_u32_e32 v21, vcc, v6, v13
	v_addc_co_u32_e32 v27, vcc, 0, v7, vcc
	v_add_co_u32_e32 v35, vcc, v21, v14
	v_addc_co_u32_e32 v36, vcc, 0, v27, vcc
	;; [unrolled: 2-line block ×3, first 2 shown]
	global_load_dword v21, v[8:9], off
	global_load_dword v29, v[35:36], off offset:48
	global_load_dword v28, v[35:36], off offset:64
	;; [unrolled: 1-line block ×4, first 2 shown]
	v_add_co_u32_e32 v8, vcc, v6, v16
	v_addc_co_u32_e32 v9, vcc, 0, v7, vcc
                                        ; implicit-def: $vgpr27
	s_and_saveexec_b64 s[2:3], s[0:1]
	s_xor_b64 s[2:3], exec, s[2:3]
	s_cbranch_execz .LBB134_16
; %bb.15:                               ;   in Loop: Header=BB134_10 Depth=1
	global_load_ushort v27, v[8:9], off offset:8
	global_load_ushort v30, v[8:9], off
	global_load_ushort v35, v[8:9], off offset:4
	s_waitcnt vmcnt(2)
	v_and_b32_e32 v8, 0xf0f, v27
	s_waitcnt vmcnt(1)
	v_lshrrev_b16_e32 v9, 2, v30
	v_lshrrev_b16_e32 v27, 4, v27
	s_waitcnt vmcnt(0)
	v_lshrrev_b16_e32 v30, 2, v35
	v_and_b32_e32 v9, 0x3030, v9
	v_and_b32_e32 v35, 0xf0f, v27
	;; [unrolled: 1-line block ×3, first 2 shown]
	v_or_b32_e32 v27, v9, v8
	v_or_b32_e32 v30, v30, v35
                                        ; implicit-def: $vgpr8_vgpr9
.LBB134_16:                             ;   in Loop: Header=BB134_10 Depth=1
	s_andn2_saveexec_b64 s[2:3], s[2:3]
	s_cbranch_execz .LBB134_9
; %bb.17:                               ;   in Loop: Header=BB134_10 Depth=1
	global_load_ushort v27, v[8:9], off offset:4
	global_load_ushort v30, v[8:9], off offset:8
	s_waitcnt vmcnt(1)
	v_and_b32_e32 v27, 0x3f3f, v27
	s_waitcnt vmcnt(0)
	v_and_b32_e32 v30, 0x3f3f, v30
	s_branch .LBB134_9
.LBB134_18:
	s_or_b64 exec, exec, s[12:13]
.LBB134_19:
	s_or_b64 exec, exec, s[6:7]
	v_cmp_eq_u32_e32 vcc, 0, v1
	v_cmp_ne_u32_e64 s[0:1], 0, v1
	v_lshlrev_b32_e32 v2, 2, v0
	s_and_saveexec_b64 s[2:3], s[0:1]
; %bb.20:
	v_lshl_or_b32 v1, v1, 9, v2
	v_add_u32_e32 v1, 0xfffffe00, v1
	ds_write2st64_b32 v1, v10, v11 offset1:1
; %bb.21:
	s_or_b64 exec, exec, s[2:3]
	s_waitcnt lgkmcnt(0)
	s_barrier
	s_and_saveexec_b64 s[0:1], vcc
	s_cbranch_execz .LBB134_24
; %bb.22:
	v_mbcnt_lo_u32_b32 v1, -1, 0
	v_mbcnt_hi_u32_b32 v1, -1, v1
	v_and_b32_e32 v3, 64, v1
	v_add_u32_e32 v5, 64, v3
	v_xor_b32_e32 v3, 32, v1
	v_cmp_lt_i32_e32 vcc, v3, v5
	v_cndmask_b32_e32 v3, v1, v3, vcc
	v_lshlrev_b32_e32 v6, 2, v3
	v_xor_b32_e32 v3, 16, v1
	v_cmp_lt_i32_e32 vcc, v3, v5
	v_cndmask_b32_e32 v3, v1, v3, vcc
	v_lshlrev_b32_e32 v7, 2, v3
	ds_read2st64_b32 v[3:4], v2 offset1:1
	v_xor_b32_e32 v8, 8, v1
	v_cmp_lt_i32_e32 vcc, v8, v5
	v_cndmask_b32_e32 v8, v1, v8, vcc
	v_lshlrev_b32_e32 v8, 2, v8
	s_waitcnt lgkmcnt(0)
	v_add_f32_e32 v3, v10, v3
	v_add_f32_e32 v4, v11, v4
	ds_bpermute_b32 v10, v6, v3
	ds_bpermute_b32 v6, v6, v4
	v_xor_b32_e32 v9, 4, v1
	v_cmp_lt_i32_e32 vcc, v9, v5
	v_cndmask_b32_e32 v9, v1, v9, vcc
	s_waitcnt lgkmcnt(1)
	v_add_f32_e32 v3, v3, v10
	s_waitcnt lgkmcnt(0)
	v_add_f32_e32 v4, v4, v6
	ds_bpermute_b32 v10, v7, v3
	ds_bpermute_b32 v6, v7, v4
	v_lshlrev_b32_e32 v7, 2, v9
	v_xor_b32_e32 v9, 2, v1
	v_cmp_lt_i32_e32 vcc, v9, v5
	s_waitcnt lgkmcnt(1)
	v_add_f32_e32 v3, v3, v10
	s_waitcnt lgkmcnt(0)
	v_add_f32_e32 v4, v4, v6
	ds_bpermute_b32 v10, v8, v3
	ds_bpermute_b32 v6, v8, v4
	v_cndmask_b32_e32 v8, v1, v9, vcc
	s_load_dword s0, s[4:5], 0x58
	s_mov_b32 s3, 0
	s_waitcnt lgkmcnt(0)
	v_add_f32_e32 v3, v3, v10
	v_add_f32_e32 v4, v4, v6
	ds_bpermute_b32 v9, v7, v3
	ds_bpermute_b32 v6, v7, v4
	v_lshlrev_b32_e32 v7, 2, v8
	v_xor_b32_e32 v8, 1, v1
	v_cmp_lt_i32_e32 vcc, v8, v5
	s_waitcnt lgkmcnt(1)
	v_add_f32_e32 v3, v3, v9
	s_waitcnt lgkmcnt(0)
	v_add_f32_e32 v4, v4, v6
	ds_bpermute_b32 v9, v7, v3
	ds_bpermute_b32 v6, v7, v4
	v_cndmask_b32_e32 v1, v1, v8, vcc
	v_lshlrev_b32_e32 v5, 2, v1
	s_waitcnt lgkmcnt(1)
	v_add_f32_e32 v1, v3, v9
	s_waitcnt lgkmcnt(0)
	v_add_f32_e32 v4, v4, v6
	ds_bpermute_b32 v3, v5, v1
	ds_bpermute_b32 v5, v5, v4
	v_or_b32_e32 v6, s9, v0
	v_cmp_gt_u32_e32 vcc, s0, v6
	v_cmp_gt_u32_e64 s[0:1], 2, v0
	s_and_b64 s[0:1], s[0:1], vcc
	s_and_b64 exec, exec, s[0:1]
	s_cbranch_execz .LBB134_24
; %bb.23:
	s_load_dwordx2 s[0:1], s[4:5], 0x38
	s_mul_i32 s2, s14, s10
	s_add_i32 s2, s2, s9
	s_mul_i32 s4, s18, s8
	s_add_i32 s2, s2, s4
	s_lshl_b64 s[2:3], s[2:3], 2
	s_waitcnt lgkmcnt(0)
	s_add_u32 s0, s0, s2
	v_add_f32_e32 v4, v4, v5
	v_add_f32_e32 v1, v1, v3
	v_cmp_eq_u32_e32 vcc, 1, v0
	s_addc_u32 s1, s1, s3
	v_cndmask_b32_e32 v0, v1, v4, vcc
	global_store_dword v2, v0, s[0:1]
.LBB134_24:
	s_endpgm
	.section	.rodata,"a",@progbits
	.p2align	6, 0x0
	.amdhsa_kernel _ZL13mul_mat_vec_qIL9ggml_type13ELi1ELb0ELb1EEvPKvS2_PKi31ggml_cuda_mm_fusion_args_devicePfj15HIP_vector_typeIjLj3EEjjjS8_jjjS8_jjjj
		.amdhsa_group_segment_fixed_size 512
		.amdhsa_private_segment_fixed_size 0
		.amdhsa_kernarg_size 144
		.amdhsa_user_sgpr_count 6
		.amdhsa_user_sgpr_private_segment_buffer 1
		.amdhsa_user_sgpr_dispatch_ptr 0
		.amdhsa_user_sgpr_queue_ptr 0
		.amdhsa_user_sgpr_kernarg_segment_ptr 1
		.amdhsa_user_sgpr_dispatch_id 0
		.amdhsa_user_sgpr_flat_scratch_init 0
		.amdhsa_user_sgpr_private_segment_size 0
		.amdhsa_uses_dynamic_stack 0
		.amdhsa_system_sgpr_private_segment_wavefront_offset 0
		.amdhsa_system_sgpr_workgroup_id_x 1
		.amdhsa_system_sgpr_workgroup_id_y 1
		.amdhsa_system_sgpr_workgroup_id_z 1
		.amdhsa_system_sgpr_workgroup_info 0
		.amdhsa_system_vgpr_workitem_id 1
		.amdhsa_next_free_vgpr 39
		.amdhsa_next_free_sgpr 27
		.amdhsa_reserve_vcc 1
		.amdhsa_reserve_flat_scratch 0
		.amdhsa_float_round_mode_32 0
		.amdhsa_float_round_mode_16_64 0
		.amdhsa_float_denorm_mode_32 3
		.amdhsa_float_denorm_mode_16_64 3
		.amdhsa_dx10_clamp 1
		.amdhsa_ieee_mode 1
		.amdhsa_fp16_overflow 0
		.amdhsa_exception_fp_ieee_invalid_op 0
		.amdhsa_exception_fp_denorm_src 0
		.amdhsa_exception_fp_ieee_div_zero 0
		.amdhsa_exception_fp_ieee_overflow 0
		.amdhsa_exception_fp_ieee_underflow 0
		.amdhsa_exception_fp_ieee_inexact 0
		.amdhsa_exception_int_div_zero 0
	.end_amdhsa_kernel
	.section	.text._ZL13mul_mat_vec_qIL9ggml_type13ELi1ELb0ELb1EEvPKvS2_PKi31ggml_cuda_mm_fusion_args_devicePfj15HIP_vector_typeIjLj3EEjjjS8_jjjS8_jjjj,"axG",@progbits,_ZL13mul_mat_vec_qIL9ggml_type13ELi1ELb0ELb1EEvPKvS2_PKi31ggml_cuda_mm_fusion_args_devicePfj15HIP_vector_typeIjLj3EEjjjS8_jjjS8_jjjj,comdat
.Lfunc_end134:
	.size	_ZL13mul_mat_vec_qIL9ggml_type13ELi1ELb0ELb1EEvPKvS2_PKi31ggml_cuda_mm_fusion_args_devicePfj15HIP_vector_typeIjLj3EEjjjS8_jjjS8_jjjj, .Lfunc_end134-_ZL13mul_mat_vec_qIL9ggml_type13ELi1ELb0ELb1EEvPKvS2_PKi31ggml_cuda_mm_fusion_args_devicePfj15HIP_vector_typeIjLj3EEjjjS8_jjjS8_jjjj
                                        ; -- End function
	.set _ZL13mul_mat_vec_qIL9ggml_type13ELi1ELb0ELb1EEvPKvS2_PKi31ggml_cuda_mm_fusion_args_devicePfj15HIP_vector_typeIjLj3EEjjjS8_jjjS8_jjjj.num_vgpr, 39
	.set _ZL13mul_mat_vec_qIL9ggml_type13ELi1ELb0ELb1EEvPKvS2_PKi31ggml_cuda_mm_fusion_args_devicePfj15HIP_vector_typeIjLj3EEjjjS8_jjjS8_jjjj.num_agpr, 0
	.set _ZL13mul_mat_vec_qIL9ggml_type13ELi1ELb0ELb1EEvPKvS2_PKi31ggml_cuda_mm_fusion_args_devicePfj15HIP_vector_typeIjLj3EEjjjS8_jjjS8_jjjj.numbered_sgpr, 27
	.set _ZL13mul_mat_vec_qIL9ggml_type13ELi1ELb0ELb1EEvPKvS2_PKi31ggml_cuda_mm_fusion_args_devicePfj15HIP_vector_typeIjLj3EEjjjS8_jjjS8_jjjj.num_named_barrier, 0
	.set _ZL13mul_mat_vec_qIL9ggml_type13ELi1ELb0ELb1EEvPKvS2_PKi31ggml_cuda_mm_fusion_args_devicePfj15HIP_vector_typeIjLj3EEjjjS8_jjjS8_jjjj.private_seg_size, 0
	.set _ZL13mul_mat_vec_qIL9ggml_type13ELi1ELb0ELb1EEvPKvS2_PKi31ggml_cuda_mm_fusion_args_devicePfj15HIP_vector_typeIjLj3EEjjjS8_jjjS8_jjjj.uses_vcc, 1
	.set _ZL13mul_mat_vec_qIL9ggml_type13ELi1ELb0ELb1EEvPKvS2_PKi31ggml_cuda_mm_fusion_args_devicePfj15HIP_vector_typeIjLj3EEjjjS8_jjjS8_jjjj.uses_flat_scratch, 0
	.set _ZL13mul_mat_vec_qIL9ggml_type13ELi1ELb0ELb1EEvPKvS2_PKi31ggml_cuda_mm_fusion_args_devicePfj15HIP_vector_typeIjLj3EEjjjS8_jjjS8_jjjj.has_dyn_sized_stack, 0
	.set _ZL13mul_mat_vec_qIL9ggml_type13ELi1ELb0ELb1EEvPKvS2_PKi31ggml_cuda_mm_fusion_args_devicePfj15HIP_vector_typeIjLj3EEjjjS8_jjjS8_jjjj.has_recursion, 0
	.set _ZL13mul_mat_vec_qIL9ggml_type13ELi1ELb0ELb1EEvPKvS2_PKi31ggml_cuda_mm_fusion_args_devicePfj15HIP_vector_typeIjLj3EEjjjS8_jjjS8_jjjj.has_indirect_call, 0
	.section	.AMDGPU.csdata,"",@progbits
; Kernel info:
; codeLenInByte = 2132
; TotalNumSgprs: 31
; NumVgprs: 39
; ScratchSize: 0
; MemoryBound: 0
; FloatMode: 240
; IeeeMode: 1
; LDSByteSize: 512 bytes/workgroup (compile time only)
; SGPRBlocks: 3
; VGPRBlocks: 9
; NumSGPRsForWavesPerEU: 31
; NumVGPRsForWavesPerEU: 39
; Occupancy: 6
; WaveLimiterHint : 0
; COMPUTE_PGM_RSRC2:SCRATCH_EN: 0
; COMPUTE_PGM_RSRC2:USER_SGPR: 6
; COMPUTE_PGM_RSRC2:TRAP_HANDLER: 0
; COMPUTE_PGM_RSRC2:TGID_X_EN: 1
; COMPUTE_PGM_RSRC2:TGID_Y_EN: 1
; COMPUTE_PGM_RSRC2:TGID_Z_EN: 1
; COMPUTE_PGM_RSRC2:TIDIG_COMP_CNT: 1
	.section	.text._ZL13mul_mat_vec_qIL9ggml_type13ELi1ELb1ELb0EEvPKvS2_PKi31ggml_cuda_mm_fusion_args_devicePfj15HIP_vector_typeIjLj3EEjjjS8_jjjS8_jjjj,"axG",@progbits,_ZL13mul_mat_vec_qIL9ggml_type13ELi1ELb1ELb0EEvPKvS2_PKi31ggml_cuda_mm_fusion_args_devicePfj15HIP_vector_typeIjLj3EEjjjS8_jjjS8_jjjj,comdat
	.globl	_ZL13mul_mat_vec_qIL9ggml_type13ELi1ELb1ELb0EEvPKvS2_PKi31ggml_cuda_mm_fusion_args_devicePfj15HIP_vector_typeIjLj3EEjjjS8_jjjS8_jjjj ; -- Begin function _ZL13mul_mat_vec_qIL9ggml_type13ELi1ELb1ELb0EEvPKvS2_PKi31ggml_cuda_mm_fusion_args_devicePfj15HIP_vector_typeIjLj3EEjjjS8_jjjS8_jjjj
	.p2align	8
	.type	_ZL13mul_mat_vec_qIL9ggml_type13ELi1ELb1ELb0EEvPKvS2_PKi31ggml_cuda_mm_fusion_args_devicePfj15HIP_vector_typeIjLj3EEjjjS8_jjjS8_jjjj,@function
_ZL13mul_mat_vec_qIL9ggml_type13ELi1ELb1ELb0EEvPKvS2_PKi31ggml_cuda_mm_fusion_args_devicePfj15HIP_vector_typeIjLj3EEjjjS8_jjjS8_jjjj: ; @_ZL13mul_mat_vec_qIL9ggml_type13ELi1ELb1ELb0EEvPKvS2_PKi31ggml_cuda_mm_fusion_args_devicePfj15HIP_vector_typeIjLj3EEjjjS8_jjjS8_jjjj
; %bb.0:
	s_load_dwordx8 s[12:19], s[4:5], 0x0
	s_load_dwordx4 s[28:31], s[4:5], 0x20
	s_load_dwordx4 s[36:39], s[4:5], 0x40
	;; [unrolled: 1-line block ×3, first 2 shown]
	s_mov_b32 s34, s7
	s_waitcnt lgkmcnt(0)
	s_cmp_lg_u64 s[16:17], 0
	s_cselect_b64 s[0:1], -1, 0
	s_cmp_eq_u64 s[16:17], 0
	s_mov_b64 s[2:3], 0
	s_cbranch_scc1 .LBB135_5
; %bb.1:
	s_mov_b32 s35, 0
	s_lshl_b64 s[10:11], s[34:35], 2
	s_add_u32 s10, s16, s10
	s_addc_u32 s11, s17, s11
	s_load_dword s9, s[10:11], 0x0
	s_load_dword s33, s[4:5], 0x50
	;; [unrolled: 1-line block ×3, first 2 shown]
	s_andn2_b64 vcc, exec, s[2:3]
	s_cbranch_vccnz .LBB135_3
.LBB135_2:
	s_load_dwordx2 s[2:3], s[4:5], 0x5c
	s_waitcnt lgkmcnt(0)
	s_mul_hi_u32 s2, s2, s34
	s_add_i32 s2, s34, s2
	s_lshr_b32 s9, s2, s3
.LBB135_3:
	s_andn2_b64 vcc, exec, s[0:1]
	s_cbranch_vccnz .LBB135_6
; %bb.4:
	s_mul_hi_u32 s0, s37, s34
	s_add_i32 s0, s34, s0
	s_lshr_b32 s0, s0, s38
	s_mul_i32 s0, s0, s39
	s_sub_i32 s37, s34, s0
	s_waitcnt lgkmcnt(0)
	s_mov_b32 s2, s9
	s_branch .LBB135_7
.LBB135_5:
                                        ; implicit-def: $sgpr9
	s_load_dword s33, s[4:5], 0x50
	s_load_dword s35, s[4:5], 0x78
	s_branch .LBB135_2
.LBB135_6:
	s_mov_b32 s2, s34
	s_mov_b32 s37, s34
.LBB135_7:
	s_load_dwordx4 s[24:27], s[4:5], 0x80
	s_cmp_lg_u64 s[18:19], 0
	v_or_b32_e32 v2, v0, v1
	s_cselect_b64 s[0:1], -1, 0
	v_cmp_eq_u32_e32 vcc, 0, v2
	s_mov_b32 s17, 0
	s_and_b64 s[38:39], s[0:1], vcc
	v_mov_b32_e32 v11, 0
	s_mul_i32 s10, s2, s22
	v_lshlrev_b32_e32 v10, 2, v0
	v_mov_b32_e32 v12, 0
	s_and_saveexec_b64 s[2:3], s[38:39]
	s_cbranch_execz .LBB135_9
; %bb.8:
	s_waitcnt lgkmcnt(0)
	s_mul_i32 s16, s26, s8
	s_lshl_b64 s[38:39], s[16:17], 2
	s_add_u32 s7, s18, s38
	s_mov_b32 s11, s17
	s_addc_u32 s18, s19, s39
	s_lshl_b64 s[16:17], s[10:11], 2
	s_add_u32 s11, s7, s16
	s_addc_u32 s18, s18, s17
	s_ashr_i32 s7, s6, 31
	s_lshl_b64 s[16:17], s[6:7], 2
	s_add_u32 s16, s11, s16
	s_addc_u32 s17, s18, s17
	global_load_dword v12, v10, s[16:17]
.LBB135_9:
	s_or_b64 exec, exec, s[2:3]
	s_cmp_lg_u64 s[28:29], 0
	s_cselect_b64 s[16:17], -1, 0
	s_cmp_lg_u64 s[30:31], 0
	s_cselect_b64 s[2:3], -1, 0
	s_and_b64 s[18:19], s[2:3], s[16:17]
	s_and_b64 s[38:39], s[18:19], vcc
	s_and_saveexec_b64 s[18:19], s[38:39]
	s_cbranch_execz .LBB135_11
; %bb.10:
	s_waitcnt lgkmcnt(0)
	s_mul_i32 s38, s26, s8
	s_mov_b32 s39, 0
	s_lshl_b64 s[40:41], s[38:39], 2
	s_add_u32 s7, s30, s40
	s_mov_b32 s11, s39
	s_addc_u32 s27, s31, s41
	s_lshl_b64 s[10:11], s[10:11], 2
	s_add_u32 s30, s7, s10
	s_addc_u32 s27, s27, s11
	s_ashr_i32 s7, s6, 31
	s_lshl_b64 s[10:11], s[6:7], 2
	s_add_u32 s10, s30, s10
	s_addc_u32 s11, s27, s11
	global_load_dword v11, v10, s[10:11]
.LBB135_11:
	s_or_b64 exec, exec, s[18:19]
	v_lshl_add_u32 v2, v1, 6, v0
	s_lshr_b32 s7, s36, 8
	v_lshrrev_b32_e32 v15, 4, v2
	v_cmp_gt_u32_e32 vcc, s7, v15
	v_mov_b32_e32 v14, 0
	v_mov_b32_e32 v13, 0
	s_and_saveexec_b64 s[18:19], vcc
	s_cbranch_execz .LBB135_25
; %bb.12:
	s_mul_hi_u32 s10, s23, s8
	s_add_i32 s10, s8, s10
	s_waitcnt lgkmcnt(0)
	s_lshr_b32 s10, s10, s35
	s_mul_i32 s33, s33, s6
	s_mul_i32 s10, s10, s24
	v_lshlrev_b32_e32 v3, 1, v0
	s_mul_i32 s9, s9, s20
	v_and_b32_e32 v4, 30, v3
	s_add_i32 s10, s10, s33
	s_add_i32 s9, s9, s10
	v_bfe_u32 v6, v3, 3, 2
	v_and_b32_e32 v3, 3, v0
	v_cmp_lt_u32_e64 s[10:11], 15, v4
	v_lshrrev_b32_e32 v4, 4, v2
	v_bfe_u32 v2, v0, 2, 2
	v_lshlrev_b32_e32 v17, 2, v3
	v_mul_hi_u32_u24_e32 v3, 0x48, v2
	v_mul_u32_u24_e32 v2, 0x48, v2
	s_movk_i32 s20, 0x120
	s_mul_i32 s23, s25, s8
	s_mul_i32 s24, s37, s21
	v_mad_u64_u32 v[2:3], s[20:21], v4, s20, v[2:3]
	s_mul_hi_u32 s21, s23, 36
	s_mul_i32 s23, s23, 36
	s_add_u32 s14, s14, s23
	s_mul_hi_u32 s20, s24, 36
	s_mul_i32 s24, s24, 36
	s_addc_u32 s15, s15, s21
	s_add_u32 s14, s14, s24
	s_addc_u32 s15, s15, s20
	v_mov_b32_e32 v4, s15
	v_add_co_u32_e32 v2, vcc, s14, v2
	v_addc_co_u32_e32 v3, vcc, v4, v3, vcc
	v_add_co_u32_e32 v2, vcc, 36, v2
	v_mov_b32_e32 v4, s12
	v_lshlrev_b32_e32 v16, 5, v6
	v_mov_b32_e32 v14, 0
	v_lshlrev_b32_e32 v18, 1, v6
	v_addc_co_u32_e32 v3, vcc, 0, v3, vcc
	s_mov_b64 s[14:15], 0
	s_movk_i32 s20, 0xb0
	s_mov_b32 s21, 0x5040100
	s_mov_b32 s23, 0x20004
	;; [unrolled: 1-line block ×5, first 2 shown]
	v_mov_b32_e32 v5, s13
	v_lshlrev_b32_e32 v19, 1, v6
	v_mov_b32_e32 v13, 0
	s_branch .LBB135_15
.LBB135_13:                             ;   in Loop: Header=BB135_15 Depth=1
	s_or_b64 exec, exec, s[12:13]
	global_load_dword v6, v[6:7], off
	s_waitcnt vmcnt(1)
	v_ashrrev_i32_e32 v7, v18, v38
	v_ashrrev_i32_e32 v8, v18, v37
	v_and_b32_e32 v37, 0xf0f0f0f, v34
	v_lshlrev_b32_e32 v39, 4, v7
	v_lshrrev_b32_e32 v34, 4, v34
	v_and_b32_e32 v9, 0xf0f0f0f, v35
	v_lshlrev_b32_e32 v38, 4, v8
	v_and_or_b32 v37, v39, s27, v37
	v_lshrrev_b32_e32 v35, 4, v35
	v_and_b32_e32 v34, 0xf0f0f0f, v34
	v_lshlrev_b32_e32 v7, 3, v7
	v_and_or_b32 v9, v38, s27, v9
	v_dot4_i32_i8 v37, v37, v24, 0
	v_and_b32_e32 v35, 0xf0f0f0f, v35
	v_lshlrev_b32_e32 v8, 3, v8
	v_and_or_b32 v7, v7, s27, v34
	v_dot4_i32_i8 v9, v9, v23, v37
	v_bfe_u32 v37, v36, 16, 8
	v_and_or_b32 v8, v8, s27, v35
	v_dot4_i32_i8 v7, v7, v22, 0
	v_mul_lo_u32 v9, v9, v37
	v_lshrrev_b32_e32 v37, 24, v36
	v_dot4_i32_i8 v7, v8, v21, v7
	v_and_b32_e32 v34, 0xff, v36
	v_mul_lo_u32 v7, v7, v37
	v_lshrrev_b16_e32 v8, 8, v36
	v_mul_lo_u32 v34, v33, v34
	v_mul_lo_u32 v8, v32, v8
	v_cvt_f32_i32_e32 v9, v9
	v_cvt_f32_i32_e32 v7, v7
	;; [unrolled: 1-line block ×4, first 2 shown]
	v_fma_f32 v9, v31, v9, 0
	v_fmac_f32_e32 v9, v30, v7
	v_fma_f32 v7, v31, v34, 0
	v_fmac_f32_e32 v7, v30, v8
	s_waitcnt vmcnt(0)
	v_cvt_f32_f16_sdwa v35, v6 dst_sel:DWORD dst_unused:UNUSED_PAD src0_sel:WORD_1
	v_mul_f32_e32 v7, v7, v35
	v_fma_mix_f32 v6, v9, v6, -v7 op_sel_hi:[0,1,0]
	v_add_f32_e32 v13, v13, v6
.LBB135_14:                             ;   in Loop: Header=BB135_15 Depth=1
	s_waitcnt vmcnt(1)
	v_ashrrev_i32_e32 v6, v18, v29
	v_ashrrev_i32_e32 v7, v18, v27
	v_and_b32_e32 v9, 0xf0f0f0f, v25
	v_lshlrev_b32_e32 v29, 4, v6
	v_and_b32_e32 v8, 0xf0f0f0f, v26
	v_lshlrev_b32_e32 v27, 4, v7
	v_and_or_b32 v9, v29, s27, v9
	v_and_or_b32 v8, v27, s27, v8
	v_dot4_i32_i8 v9, v9, v24, 0
	v_dot4_i32_i8 v8, v8, v23, v9
	v_lshrrev_b32_e32 v23, 4, v25
	v_and_b32_e32 v23, 0xf0f0f0f, v23
	v_lshlrev_b32_e32 v6, 3, v6
	v_and_or_b32 v6, v6, s27, v23
	v_lshrrev_b32_e32 v9, 4, v26
	v_dot4_i32_i8 v6, v6, v22, 0
	v_bfe_u32 v22, v28, 16, 8
	v_and_b32_e32 v9, 0xf0f0f0f, v9
	v_lshlrev_b32_e32 v7, 3, v7
	v_mul_lo_u32 v8, v8, v22
	v_and_b32_e32 v22, 0xff, v28
	v_and_or_b32 v7, v7, s27, v9
	v_lshrrev_b16_e32 v9, 8, v28
	v_mul_lo_u32 v22, v33, v22
	v_dot4_i32_i8 v6, v7, v21, v6
	v_lshrrev_b32_e32 v21, 24, v28
	v_mul_lo_u32 v9, v32, v9
	v_mul_lo_u32 v6, v6, v21
	v_cvt_f32_i32_e32 v21, v22
	v_cvt_f32_i32_e32 v8, v8
	;; [unrolled: 1-line block ×3, first 2 shown]
	s_waitcnt vmcnt(0)
	v_cvt_f32_f16_sdwa v7, v20 dst_sel:DWORD dst_unused:UNUSED_PAD src0_sel:WORD_1
	v_cvt_f32_i32_e32 v6, v6
	v_fma_f32 v21, v31, v21, 0
	v_fma_f32 v8, v31, v8, 0
	v_fmac_f32_e32 v21, v30, v9
	v_fmac_f32_e32 v8, v30, v6
	v_mul_f32_e32 v6, v21, v7
	v_add_u32_e32 v15, 8, v15
	v_fma_mix_f32 v6, v8, v20, -v6 op_sel_hi:[0,1,0]
	v_add_co_u32_e32 v2, vcc, 0x900, v2
	v_cmp_le_u32_e64 s[12:13], s7, v15
	v_add_f32_e32 v14, v14, v6
	s_or_b64 s[14:15], s[12:13], s[14:15]
	v_addc_co_u32_e32 v3, vcc, 0, v3, vcc
	s_andn2_b64 exec, exec, s[14:15]
	s_cbranch_execz .LBB135_24
.LBB135_15:                             ; =>This Inner Loop Header: Depth=1
	v_add_u32_e32 v8, s9, v15
	v_mad_i64_i32 v[6:7], s[12:13], v8, s20, v[4:5]
                                        ; implicit-def: $vgpr28
	v_add_co_u32_e32 v9, vcc, v6, v16
	v_addc_co_u32_e32 v20, vcc, 0, v7, vcc
	v_add_co_u32_e32 v31, vcc, v9, v17
	v_addc_co_u32_e32 v32, vcc, 0, v20, vcc
	;; [unrolled: 2-line block ×4, first 2 shown]
	global_load_dword v9, v[2:3], off offset:-36
	global_load_dword v23, v[35:36], off offset:-32
	;; [unrolled: 1-line block ×3, first 2 shown]
	global_load_dword v30, v[2:3], off
	global_load_dword v21, v[35:36], off offset:4
	global_load_dword v22, v[35:36], off offset:20
	;; [unrolled: 1-line block ×6, first 2 shown]
	global_load_dword v20, v[6:7], off
	v_add_co_u32_e32 v6, vcc, v6, v19
	v_addc_co_u32_e32 v7, vcc, 0, v7, vcc
	s_and_saveexec_b64 s[12:13], s[10:11]
	s_xor_b64 s[12:13], exec, s[12:13]
	s_cbranch_execz .LBB135_17
; %bb.16:                               ;   in Loop: Header=BB135_15 Depth=1
	global_load_ushort v28, v[6:7], off
	global_load_ushort v31, v[6:7], off offset:8
	global_load_ushort v32, v[6:7], off offset:4
	s_waitcnt vmcnt(1)
	v_perm_b32 v6, v28, v31, s21
	s_waitcnt vmcnt(0)
	v_perm_b32 v7, v31, v32, s21
	v_pk_lshrrev_b16 v7, 2, v7
	v_pk_lshrrev_b16 v6, s23, v6
	v_and_b32_e32 v7, 0xf0f3030, v7
	v_and_or_b32 v28, v6, s24, v7
                                        ; implicit-def: $vgpr6_vgpr7
.LBB135_17:                             ;   in Loop: Header=BB135_15 Depth=1
	s_andn2_saveexec_b64 s[12:13], s[12:13]
	s_cbranch_execz .LBB135_19
; %bb.18:                               ;   in Loop: Header=BB135_15 Depth=1
	global_load_ushort v28, v[6:7], off offset:4
	global_load_ushort v31, v[6:7], off offset:8
	s_waitcnt vmcnt(0)
	v_perm_b32 v6, v28, v31, s21
	v_and_b32_e32 v28, 0x3f3f3f3f, v6
.LBB135_19:                             ;   in Loop: Header=BB135_15 Depth=1
	s_or_b64 exec, exec, s[12:13]
	s_waitcnt vmcnt(10)
	v_cvt_f32_f16_e32 v31, v9
	s_waitcnt vmcnt(7)
	v_cvt_f32_f16_e32 v30, v30
	v_dot4_i32_i8 v6, s25, v24, 0
	v_dot4_i32_i8 v33, s25, v23, v6
	s_waitcnt vmcnt(5)
	v_dot4_i32_i8 v6, s25, v22, 0
	s_andn2_b64 vcc, exec, s[16:17]
	v_dot4_i32_i8 v32, s25, v21, v6
	s_cbranch_vccnz .LBB135_14
; %bb.20:                               ;   in Loop: Header=BB135_15 Depth=1
	v_mov_b32_e32 v6, s28
	v_mov_b32_e32 v7, s29
	v_mad_i64_i32 v[6:7], s[12:13], v8, s20, v[6:7]
                                        ; implicit-def: $vgpr36
	v_add_co_u32_e32 v8, vcc, v6, v16
	v_addc_co_u32_e32 v9, vcc, 0, v7, vcc
	v_add_co_u32_e32 v8, vcc, v8, v17
	v_addc_co_u32_e32 v9, vcc, 0, v9, vcc
	;; [unrolled: 2-line block ×3, first 2 shown]
	global_load_dword v35, v[8:9], off offset:48
	global_load_dword v34, v[8:9], off offset:64
	;; [unrolled: 1-line block ×4, first 2 shown]
	v_add_co_u32_e32 v8, vcc, v6, v19
	v_addc_co_u32_e32 v9, vcc, 0, v7, vcc
	s_and_saveexec_b64 s[12:13], s[10:11]
	s_xor_b64 s[12:13], exec, s[12:13]
	s_cbranch_execz .LBB135_22
; %bb.21:                               ;   in Loop: Header=BB135_15 Depth=1
	global_load_ushort v36, v[8:9], off
	global_load_ushort v39, v[8:9], off offset:8
	global_load_ushort v40, v[8:9], off offset:4
	s_waitcnt vmcnt(1)
	v_perm_b32 v8, v36, v39, s21
	s_waitcnt vmcnt(0)
	v_perm_b32 v9, v39, v40, s21
	v_pk_lshrrev_b16 v9, 2, v9
	v_pk_lshrrev_b16 v8, s23, v8
	v_and_b32_e32 v9, 0xf0f3030, v9
	v_and_or_b32 v36, v8, s24, v9
                                        ; implicit-def: $vgpr8_vgpr9
.LBB135_22:                             ;   in Loop: Header=BB135_15 Depth=1
	s_andn2_saveexec_b64 s[12:13], s[12:13]
	s_cbranch_execz .LBB135_13
; %bb.23:                               ;   in Loop: Header=BB135_15 Depth=1
	global_load_ushort v36, v[8:9], off offset:4
	global_load_ushort v39, v[8:9], off offset:8
	s_waitcnt vmcnt(0)
	v_perm_b32 v8, v36, v39, s21
	v_and_b32_e32 v36, 0x3f3f3f3f, v8
	s_branch .LBB135_13
.LBB135_24:
	s_or_b64 exec, exec, s[14:15]
.LBB135_25:
	s_or_b64 exec, exec, s[18:19]
	s_load_dword s7, s[4:5], 0x30
	v_cmp_eq_u32_e64 s[10:11], 0, v1
	v_cmp_ne_u32_e32 vcc, 0, v1
	s_and_saveexec_b64 s[12:13], vcc
	s_cbranch_execz .LBB135_29
; %bb.26:
	s_and_b64 vcc, exec, s[16:17]
	s_cbranch_vccz .LBB135_28
; %bb.27:
	v_lshl_add_u32 v2, v1, 8, v10
	ds_write_b32 v2, v13
.LBB135_28:
	v_lshlrev_b32_e32 v1, 8, v1
	s_waitcnt lgkmcnt(0)
	s_movk_i32 s9, 0xff00
	v_add3_u32 v1, v1, v10, s9
	ds_write_b32 v1, v14
.LBB135_29:
	s_or_b64 exec, exec, s[12:13]
	s_waitcnt vmcnt(0) lgkmcnt(0)
	s_barrier
	s_and_saveexec_b64 s[12:13], s[10:11]
	s_cbranch_execz .LBB135_58
; %bb.30:
	ds_read_b32 v2, v10
	v_cndmask_b32_e64 v1, 0, 1, s[16:17]
	v_cmp_ne_u32_e64 s[10:11], 1, v1
	s_andn2_b64 vcc, exec, s[16:17]
	s_cbranch_vccnz .LBB135_32
; %bb.31:
	ds_read_b32 v1, v10 offset:256
	s_waitcnt lgkmcnt(0)
	v_add_f32_e32 v13, v13, v1
.LBB135_32:
	v_mbcnt_lo_u32_b32 v1, -1, 0
	v_mbcnt_hi_u32_b32 v3, -1, v1
	v_and_b32_e32 v1, 64, v3
	v_add_u32_e32 v4, 64, v1
	v_xor_b32_e32 v1, 32, v3
	v_cmp_lt_i32_e32 vcc, v1, v4
	v_cndmask_b32_e32 v1, v3, v1, vcc
	v_lshlrev_b32_e32 v1, 2, v1
	s_waitcnt lgkmcnt(0)
	v_add_f32_e32 v5, v14, v2
	ds_bpermute_b32 v6, v1, v5
	v_xor_b32_e32 v2, 16, v3
	v_cmp_lt_i32_e32 vcc, v2, v4
	v_cndmask_b32_e32 v2, v3, v2, vcc
	v_lshlrev_b32_e32 v2, 2, v2
	s_waitcnt lgkmcnt(0)
	v_add_f32_e32 v6, v5, v6
	ds_bpermute_b32 v7, v2, v6
	;; [unrolled: 7-line block ×6, first 2 shown]
	s_and_b64 vcc, exec, s[10:11]
	s_cbranch_vccnz .LBB135_34
; %bb.33:
	ds_bpermute_b32 v1, v1, v13
	s_waitcnt lgkmcnt(0)
	v_add_f32_e32 v1, v13, v1
	ds_bpermute_b32 v2, v2, v1
	s_waitcnt lgkmcnt(0)
	v_add_f32_e32 v1, v1, v2
	;; [unrolled: 3-line block ×6, first 2 shown]
.LBB135_34:
	v_cmp_eq_u32_e32 vcc, 0, v0
	s_and_b64 exec, exec, vcc
	s_cbranch_execz .LBB135_58
; %bb.35:
	s_waitcnt lgkmcnt(0)
	v_add_f32_e32 v0, v3, v4
	v_add_f32_e32 v1, v12, v0
	s_and_b64 vcc, exec, s[10:11]
	v_cndmask_b32_e64 v0, v0, v1, s[0:1]
	s_cbranch_vccnz .LBB135_57
; %bb.36:
	v_add_f32_e32 v1, v11, v13
	v_cndmask_b32_e64 v1, v13, v1, s[2:3]
	s_cmp_lt_i32 s7, 2
	s_mov_b64 s[0:1], 0
	s_cbranch_scc1 .LBB135_40
; %bb.37:
	s_cmp_gt_i32 s7, 2
	s_cbranch_scc0 .LBB135_41
; %bb.38:
	s_cmp_eq_u32 s7, 3
	s_cbranch_scc0 .LBB135_42
; %bb.39:
	v_max_f32_e32 v2, v1, v1
	v_min_f32_e32 v2, 0x40e00000, v2
	v_mul_f32_e32 v3, 0xbfd9db23, v2
	s_mov_b32 s2, 0x3fb8aa3b
	v_mul_f32_e32 v4, 0x3fb8aa3b, v3
	v_fma_f32 v5, v3, s2, -v4
	v_rndne_f32_e32 v6, v4
	v_fmac_f32_e32 v5, 0x32a5705f, v3
	v_sub_f32_e32 v4, v4, v6
	v_add_f32_e32 v4, v4, v5
	v_exp_f32_e32 v4, v4
	v_cvt_i32_f32_e32 v5, v6
	s_mov_b32 s2, 0xc2ce8ed0
	v_cmp_ngt_f32_e32 vcc, s2, v3
	s_mov_b32 s2, 0x42b17218
	v_ldexp_f32 v4, v4, v5
	v_cndmask_b32_e32 v4, 0, v4, vcc
	v_mov_b32_e32 v5, 0x7f800000
	v_cmp_nlt_f32_e32 vcc, s2, v3
	v_cndmask_b32_e32 v3, v5, v4, vcc
	v_add_f32_e32 v3, 1.0, v3
	v_div_scale_f32 v4, s[2:3], v3, v3, v2
	v_div_scale_f32 v5, vcc, v2, v3, v2
	s_mov_b64 s[2:3], 0
	v_rcp_f32_e32 v6, v4
	v_fma_f32 v7, -v4, v6, 1.0
	v_fmac_f32_e32 v6, v7, v6
	v_mul_f32_e32 v7, v5, v6
	v_fma_f32 v8, -v4, v7, v5
	v_fmac_f32_e32 v7, v8, v6
	v_fma_f32 v4, -v4, v7, v5
	v_div_fmas_f32 v4, v4, v6, v7
	v_max_f32_e32 v5, v0, v0
	v_min_f32_e32 v5, 0x40e00000, v5
	v_max_f32_e32 v5, 0xc0e00000, v5
	v_add_f32_e32 v5, 1.0, v5
	v_div_fixup_f32 v2, v4, v3, v2
	v_mul_f32_e32 v2, v5, v2
	s_branch .LBB135_43
.LBB135_40:
                                        ; implicit-def: $vgpr2
	s_mov_b64 s[2:3], 0
	s_cbranch_execnz .LBB135_47
	s_branch .LBB135_48
.LBB135_41:
	s_mov_b64 s[10:11], -1
	s_mov_b64 s[2:3], 0
                                        ; implicit-def: $vgpr2
	s_branch .LBB135_44
.LBB135_42:
	s_mov_b64 s[2:3], -1
                                        ; implicit-def: $vgpr2
.LBB135_43:
	s_mov_b64 s[10:11], 0
.LBB135_44:
	s_and_b64 vcc, exec, s[10:11]
	s_cbranch_vccz .LBB135_46
; %bb.45:
	v_mul_f32_e32 v2, 0xbfb8aa3b, v1
	s_mov_b32 s9, 0xbfb8aa3b
	v_rndne_f32_e32 v3, v2
	v_sub_f32_e32 v4, v2, v3
	v_fma_f32 v2, v1, s9, -v2
	v_fmac_f32_e32 v2, 0xb2a5705f, v1
	v_add_f32_e32 v2, v4, v2
	v_exp_f32_e32 v2, v2
	v_cvt_i32_f32_e32 v3, v3
	s_mov_b32 s9, 0x42ce8ed0
	v_cmp_nlt_f32_e32 vcc, s9, v1
	s_mov_b32 s9, 0xc2b17218
	v_ldexp_f32 v2, v2, v3
	v_cndmask_b32_e32 v2, 0, v2, vcc
	v_mov_b32_e32 v3, 0x7f800000
	v_cmp_ngt_f32_e32 vcc, s9, v1
	v_cndmask_b32_e32 v2, v3, v2, vcc
	v_add_f32_e32 v2, 1.0, v2
	v_div_scale_f32 v3, s[10:11], v2, v2, v1
	v_div_scale_f32 v4, vcc, v1, v2, v1
	v_rcp_f32_e32 v5, v3
	v_fma_f32 v6, -v3, v5, 1.0
	v_fmac_f32_e32 v5, v6, v5
	v_mul_f32_e32 v6, v4, v5
	v_fma_f32 v7, -v3, v6, v4
	v_fmac_f32_e32 v6, v7, v5
	v_fma_f32 v3, -v3, v6, v4
	v_div_fmas_f32 v3, v3, v5, v6
	v_div_fixup_f32 v2, v3, v2, v1
	v_mul_f32_e32 v2, v0, v2
.LBB135_46:
	s_branch .LBB135_48
.LBB135_47:
	s_cmp_lg_u32 s7, 1
	s_mov_b64 s[0:1], -1
	s_cselect_b64 s[2:3], -1, 0
.LBB135_48:
	s_andn2_b64 vcc, exec, s[2:3]
	s_cbranch_vccz .LBB135_50
; %bb.49:
	s_andn2_b64 vcc, exec, s[0:1]
	s_cbranch_vccz .LBB135_51
	s_branch .LBB135_56
.LBB135_50:
	v_mul_f32_e32 v2, v1, v0
	s_cbranch_execnz .LBB135_56
.LBB135_51:
	v_mul_f32_e32 v3, 0x3d372713, v1
	v_mul_f32_e32 v2, 0x3f4c422a, v1
	v_fma_f32 v3, v1, v3, 1.0
	v_mul_f32_e32 v2, v2, v3
	s_mov_b32 s0, 0x3f200000
	v_cmp_nlt_f32_e64 s[0:1], |v2|, s0
                                        ; implicit-def: $vgpr3
	s_and_saveexec_b64 s[2:3], s[0:1]
	s_xor_b64 s[0:1], exec, s[2:3]
	s_cbranch_execz .LBB135_53
; %bb.52:
	v_add_f32_e64 v3, |v2|, |v2|
	v_mul_f32_e32 v4, 0x3fb8aa3b, v3
	s_mov_b32 s2, 0x3fb8aa3b
	v_rndne_f32_e32 v5, v4
	v_sub_f32_e32 v6, v4, v5
	v_fma_f32 v4, v3, s2, -v4
	v_fmac_f32_e32 v4, 0x32a5705f, v3
	v_add_f32_e32 v4, v6, v4
	v_exp_f32_e32 v4, v4
	v_cvt_i32_f32_e32 v5, v5
	s_mov_b32 s2, 0xc2ce8ed0
	v_cmp_ngt_f32_e32 vcc, s2, v3
	s_mov_b32 s2, 0x42b17218
	v_ldexp_f32 v4, v4, v5
	v_cndmask_b32_e32 v4, 0, v4, vcc
	v_mov_b32_e32 v5, 0x7f800000
	v_cmp_nlt_f32_e32 vcc, s2, v3
	v_cndmask_b32_e32 v3, v5, v4, vcc
	v_add_f32_e32 v3, 1.0, v3
	v_rcp_f32_e32 v3, v3
	v_fma_f32 v3, v3, -2.0, 1.0
.LBB135_53:
	s_andn2_saveexec_b64 s[0:1], s[0:1]
	s_cbranch_execz .LBB135_55
; %bb.54:
	v_mul_f32_e32 v3, v2, v2
	v_mov_b32_e32 v4, 0x3ca908c9
	v_fmac_f32_e32 v4, 0xbbbac73d, v3
	v_mov_b32_e32 v5, 0xbd5c1c4e
	v_fmac_f32_e32 v5, v3, v4
	;; [unrolled: 2-line block ×4, first 2 shown]
	v_mul_f32_e64 v4, |v2|, v5
	v_fma_f32 v3, v3, v4, |v2|
.LBB135_55:
	s_or_b64 exec, exec, s[0:1]
	s_brev_b32 s0, -2
	v_bfi_b32 v2, s0, v3, v2
	v_mul_f32_e32 v1, 0.5, v1
	v_add_f32_e32 v2, 1.0, v2
	v_mul_f32_e32 v1, v1, v2
	v_mul_f32_e32 v2, v0, v1
.LBB135_56:
	v_mov_b32_e32 v0, v2
.LBB135_57:
	s_load_dwordx2 s[0:1], s[4:5], 0x38
	s_mul_i32 s3, s22, s34
	s_mul_i32 s2, s26, s8
	s_add_i32 s3, s3, s6
	s_add_i32 s2, s3, s2
	s_mov_b32 s3, 0
	s_lshl_b64 s[2:3], s[2:3], 2
	s_waitcnt lgkmcnt(0)
	s_add_u32 s0, s0, s2
	s_addc_u32 s1, s1, s3
	global_store_dword v10, v0, s[0:1]
.LBB135_58:
	s_endpgm
	.section	.rodata,"a",@progbits
	.p2align	6, 0x0
	.amdhsa_kernel _ZL13mul_mat_vec_qIL9ggml_type13ELi1ELb1ELb0EEvPKvS2_PKi31ggml_cuda_mm_fusion_args_devicePfj15HIP_vector_typeIjLj3EEjjjS8_jjjS8_jjjj
		.amdhsa_group_segment_fixed_size 512
		.amdhsa_private_segment_fixed_size 0
		.amdhsa_kernarg_size 144
		.amdhsa_user_sgpr_count 6
		.amdhsa_user_sgpr_private_segment_buffer 1
		.amdhsa_user_sgpr_dispatch_ptr 0
		.amdhsa_user_sgpr_queue_ptr 0
		.amdhsa_user_sgpr_kernarg_segment_ptr 1
		.amdhsa_user_sgpr_dispatch_id 0
		.amdhsa_user_sgpr_flat_scratch_init 0
		.amdhsa_user_sgpr_private_segment_size 0
		.amdhsa_uses_dynamic_stack 0
		.amdhsa_system_sgpr_private_segment_wavefront_offset 0
		.amdhsa_system_sgpr_workgroup_id_x 1
		.amdhsa_system_sgpr_workgroup_id_y 1
		.amdhsa_system_sgpr_workgroup_id_z 1
		.amdhsa_system_sgpr_workgroup_info 0
		.amdhsa_system_vgpr_workitem_id 1
		.amdhsa_next_free_vgpr 41
		.amdhsa_next_free_sgpr 42
		.amdhsa_reserve_vcc 1
		.amdhsa_reserve_flat_scratch 0
		.amdhsa_float_round_mode_32 0
		.amdhsa_float_round_mode_16_64 0
		.amdhsa_float_denorm_mode_32 3
		.amdhsa_float_denorm_mode_16_64 3
		.amdhsa_dx10_clamp 1
		.amdhsa_ieee_mode 1
		.amdhsa_fp16_overflow 0
		.amdhsa_exception_fp_ieee_invalid_op 0
		.amdhsa_exception_fp_denorm_src 0
		.amdhsa_exception_fp_ieee_div_zero 0
		.amdhsa_exception_fp_ieee_overflow 0
		.amdhsa_exception_fp_ieee_underflow 0
		.amdhsa_exception_fp_ieee_inexact 0
		.amdhsa_exception_int_div_zero 0
	.end_amdhsa_kernel
	.section	.text._ZL13mul_mat_vec_qIL9ggml_type13ELi1ELb1ELb0EEvPKvS2_PKi31ggml_cuda_mm_fusion_args_devicePfj15HIP_vector_typeIjLj3EEjjjS8_jjjS8_jjjj,"axG",@progbits,_ZL13mul_mat_vec_qIL9ggml_type13ELi1ELb1ELb0EEvPKvS2_PKi31ggml_cuda_mm_fusion_args_devicePfj15HIP_vector_typeIjLj3EEjjjS8_jjjS8_jjjj,comdat
.Lfunc_end135:
	.size	_ZL13mul_mat_vec_qIL9ggml_type13ELi1ELb1ELb0EEvPKvS2_PKi31ggml_cuda_mm_fusion_args_devicePfj15HIP_vector_typeIjLj3EEjjjS8_jjjS8_jjjj, .Lfunc_end135-_ZL13mul_mat_vec_qIL9ggml_type13ELi1ELb1ELb0EEvPKvS2_PKi31ggml_cuda_mm_fusion_args_devicePfj15HIP_vector_typeIjLj3EEjjjS8_jjjS8_jjjj
                                        ; -- End function
	.set _ZL13mul_mat_vec_qIL9ggml_type13ELi1ELb1ELb0EEvPKvS2_PKi31ggml_cuda_mm_fusion_args_devicePfj15HIP_vector_typeIjLj3EEjjjS8_jjjS8_jjjj.num_vgpr, 41
	.set _ZL13mul_mat_vec_qIL9ggml_type13ELi1ELb1ELb0EEvPKvS2_PKi31ggml_cuda_mm_fusion_args_devicePfj15HIP_vector_typeIjLj3EEjjjS8_jjjS8_jjjj.num_agpr, 0
	.set _ZL13mul_mat_vec_qIL9ggml_type13ELi1ELb1ELb0EEvPKvS2_PKi31ggml_cuda_mm_fusion_args_devicePfj15HIP_vector_typeIjLj3EEjjjS8_jjjS8_jjjj.numbered_sgpr, 42
	.set _ZL13mul_mat_vec_qIL9ggml_type13ELi1ELb1ELb0EEvPKvS2_PKi31ggml_cuda_mm_fusion_args_devicePfj15HIP_vector_typeIjLj3EEjjjS8_jjjS8_jjjj.num_named_barrier, 0
	.set _ZL13mul_mat_vec_qIL9ggml_type13ELi1ELb1ELb0EEvPKvS2_PKi31ggml_cuda_mm_fusion_args_devicePfj15HIP_vector_typeIjLj3EEjjjS8_jjjS8_jjjj.private_seg_size, 0
	.set _ZL13mul_mat_vec_qIL9ggml_type13ELi1ELb1ELb0EEvPKvS2_PKi31ggml_cuda_mm_fusion_args_devicePfj15HIP_vector_typeIjLj3EEjjjS8_jjjS8_jjjj.uses_vcc, 1
	.set _ZL13mul_mat_vec_qIL9ggml_type13ELi1ELb1ELb0EEvPKvS2_PKi31ggml_cuda_mm_fusion_args_devicePfj15HIP_vector_typeIjLj3EEjjjS8_jjjS8_jjjj.uses_flat_scratch, 0
	.set _ZL13mul_mat_vec_qIL9ggml_type13ELi1ELb1ELb0EEvPKvS2_PKi31ggml_cuda_mm_fusion_args_devicePfj15HIP_vector_typeIjLj3EEjjjS8_jjjS8_jjjj.has_dyn_sized_stack, 0
	.set _ZL13mul_mat_vec_qIL9ggml_type13ELi1ELb1ELb0EEvPKvS2_PKi31ggml_cuda_mm_fusion_args_devicePfj15HIP_vector_typeIjLj3EEjjjS8_jjjS8_jjjj.has_recursion, 0
	.set _ZL13mul_mat_vec_qIL9ggml_type13ELi1ELb1ELb0EEvPKvS2_PKi31ggml_cuda_mm_fusion_args_devicePfj15HIP_vector_typeIjLj3EEjjjS8_jjjS8_jjjj.has_indirect_call, 0
	.section	.AMDGPU.csdata,"",@progbits
; Kernel info:
; codeLenInByte = 3228
; TotalNumSgprs: 46
; NumVgprs: 41
; ScratchSize: 0
; MemoryBound: 0
; FloatMode: 240
; IeeeMode: 1
; LDSByteSize: 512 bytes/workgroup (compile time only)
; SGPRBlocks: 5
; VGPRBlocks: 10
; NumSGPRsForWavesPerEU: 46
; NumVGPRsForWavesPerEU: 41
; Occupancy: 5
; WaveLimiterHint : 0
; COMPUTE_PGM_RSRC2:SCRATCH_EN: 0
; COMPUTE_PGM_RSRC2:USER_SGPR: 6
; COMPUTE_PGM_RSRC2:TRAP_HANDLER: 0
; COMPUTE_PGM_RSRC2:TGID_X_EN: 1
; COMPUTE_PGM_RSRC2:TGID_Y_EN: 1
; COMPUTE_PGM_RSRC2:TGID_Z_EN: 1
; COMPUTE_PGM_RSRC2:TIDIG_COMP_CNT: 1
	.section	.text._ZL13mul_mat_vec_qIL9ggml_type13ELi1ELb0ELb0EEvPKvS2_PKi31ggml_cuda_mm_fusion_args_devicePfj15HIP_vector_typeIjLj3EEjjjS8_jjjS8_jjjj,"axG",@progbits,_ZL13mul_mat_vec_qIL9ggml_type13ELi1ELb0ELb0EEvPKvS2_PKi31ggml_cuda_mm_fusion_args_devicePfj15HIP_vector_typeIjLj3EEjjjS8_jjjS8_jjjj,comdat
	.globl	_ZL13mul_mat_vec_qIL9ggml_type13ELi1ELb0ELb0EEvPKvS2_PKi31ggml_cuda_mm_fusion_args_devicePfj15HIP_vector_typeIjLj3EEjjjS8_jjjS8_jjjj ; -- Begin function _ZL13mul_mat_vec_qIL9ggml_type13ELi1ELb0ELb0EEvPKvS2_PKi31ggml_cuda_mm_fusion_args_devicePfj15HIP_vector_typeIjLj3EEjjjS8_jjjS8_jjjj
	.p2align	8
	.type	_ZL13mul_mat_vec_qIL9ggml_type13ELi1ELb0ELb0EEvPKvS2_PKi31ggml_cuda_mm_fusion_args_devicePfj15HIP_vector_typeIjLj3EEjjjS8_jjjS8_jjjj,@function
_ZL13mul_mat_vec_qIL9ggml_type13ELi1ELb0ELb0EEvPKvS2_PKi31ggml_cuda_mm_fusion_args_devicePfj15HIP_vector_typeIjLj3EEjjjS8_jjjS8_jjjj: ; @_ZL13mul_mat_vec_qIL9ggml_type13ELi1ELb0ELb0EEvPKvS2_PKi31ggml_cuda_mm_fusion_args_devicePfj15HIP_vector_typeIjLj3EEjjjS8_jjjS8_jjjj
; %bb.0:
	s_load_dwordx2 s[12:13], s[4:5], 0x10
	s_load_dwordx4 s[0:3], s[4:5], 0x40
	s_mov_b32 s10, s7
	s_mov_b64 s[18:19], 0
	s_waitcnt lgkmcnt(0)
	s_cmp_lg_u64 s[12:13], 0
	s_cselect_b64 s[16:17], -1, 0
	s_cmp_eq_u64 s[12:13], 0
	s_cbranch_scc1 .LBB136_5
; %bb.1:
	s_mov_b32 s11, 0
	s_lshl_b64 s[14:15], s[10:11], 2
	s_add_u32 s12, s12, s14
	s_addc_u32 s13, s13, s15
	s_load_dword s9, s[12:13], 0x0
	s_nop 0
	s_load_dwordx4 s[12:15], s[4:5], 0x68
	s_load_dword s11, s[4:5], 0x50
	s_andn2_b64 vcc, exec, s[18:19]
	s_cbranch_vccnz .LBB136_3
.LBB136_2:
	s_load_dwordx2 s[18:19], s[4:5], 0x5c
	s_waitcnt lgkmcnt(0)
	s_mul_hi_u32 s7, s18, s10
	s_add_i32 s7, s10, s7
	s_lshr_b32 s9, s7, s19
.LBB136_3:
	s_load_dword s26, s[4:5], 0x78
	s_andn2_b64 vcc, exec, s[16:17]
	s_cbranch_vccnz .LBB136_6
; %bb.4:
	s_mul_hi_u32 s1, s1, s10
	s_add_i32 s1, s10, s1
	s_lshr_b32 s1, s1, s2
	s_mul_i32 s1, s1, s3
	s_sub_i32 s1, s10, s1
	s_branch .LBB136_7
.LBB136_5:
                                        ; implicit-def: $sgpr9
	s_load_dwordx4 s[12:15], s[4:5], 0x68
	s_load_dword s11, s[4:5], 0x50
	s_branch .LBB136_2
.LBB136_6:
	s_mov_b32 s1, s10
.LBB136_7:
	s_load_dwordx4 s[16:19], s[4:5], 0x80
	v_lshl_add_u32 v2, v1, 6, v0
	s_lshr_b32 s7, s0, 8
	v_lshrrev_b32_e32 v9, 4, v2
	v_cmp_gt_u32_e32 vcc, s7, v9
	v_mov_b32_e32 v8, 0
	s_and_saveexec_b64 s[24:25], vcc
	s_cbranch_execz .LBB136_15
; %bb.8:
	s_waitcnt lgkmcnt(0)
	s_mul_hi_u32 s0, s15, s8
	s_add_i32 s0, s8, s0
	s_lshr_b32 s0, s0, s26
	s_mul_i32 s11, s11, s6
	s_mul_i32 s0, s0, s16
	v_lshlrev_b32_e32 v3, 1, v0
	s_load_dwordx4 s[20:23], s[4:5], 0x0
	s_mul_i32 s9, s9, s12
	v_and_b32_e32 v4, 30, v3
	s_add_i32 s0, s0, s11
	s_mul_i32 s13, s1, s13
	s_add_i32 s9, s9, s0
	v_bfe_u32 v5, v3, 3, 2
	v_and_b32_e32 v3, 3, v0
	v_cmp_lt_u32_e64 s[0:1], 15, v4
	v_lshrrev_b32_e32 v4, 4, v2
	v_bfe_u32 v2, v0, 2, 2
	v_lshlrev_b32_e32 v11, 2, v3
	v_mul_hi_u32_u24_e32 v3, 0x48, v2
	v_mul_u32_u24_e32 v2, 0x48, v2
	s_movk_i32 s2, 0x120
	s_mul_i32 s12, s17, s8
	v_mad_u64_u32 v[2:3], s[2:3], v4, s2, v[2:3]
	s_mul_hi_u32 s3, s12, 36
	s_mul_i32 s12, s12, 36
	s_waitcnt lgkmcnt(0)
	s_add_u32 s11, s22, s12
	s_mul_hi_u32 s2, s13, 36
	s_mul_i32 s13, s13, 36
	s_addc_u32 s3, s23, s3
	s_add_u32 s11, s11, s13
	s_addc_u32 s2, s3, s2
	v_mov_b32_e32 v4, s2
	v_add_co_u32_e32 v2, vcc, s11, v2
	v_addc_co_u32_e32 v3, vcc, v4, v3, vcc
	v_lshlrev_b32_e32 v10, 5, v5
	v_lshlrev_b32_e32 v12, 1, v5
	v_add_co_u32_e32 v2, vcc, 36, v2
	v_lshlrev_b32_e32 v13, 1, v5
	v_mov_b32_e32 v4, s20
	v_mov_b32_e32 v8, 0
	v_addc_co_u32_e32 v3, vcc, 0, v3, vcc
	s_mov_b64 s[12:13], 0
	s_movk_i32 s11, 0xb0
	s_mov_b32 s15, 0x5040100
	s_mov_b32 s16, 0x30303030
	;; [unrolled: 1-line block ×4, first 2 shown]
	v_mov_b32_e32 v5, s21
	s_branch .LBB136_10
.LBB136_9:                              ;   in Loop: Header=BB136_10 Depth=1
	s_or_b64 exec, exec, s[2:3]
	s_waitcnt vmcnt(1)
	v_ashrrev_i32_e32 v6, v12, v25
	v_ashrrev_i32_e32 v7, v12, v23
	v_and_b32_e32 v25, 0xf0f0f0f, v21
	v_lshlrev_b32_e32 v27, 4, v6
	v_and_b32_e32 v23, 0xf0f0f0f, v22
	v_lshlrev_b32_e32 v26, 4, v7
	v_and_or_b32 v25, v27, s17, v25
	v_and_or_b32 v23, v26, s17, v23
	v_dot4_i32_i8 v25, v25, v20, 0
	v_dot4_i32_i8 v20, s19, v20, 0
	v_lshrrev_b32_e32 v21, 4, v21
	v_dot4_i32_i8 v23, v23, v19, v25
	v_dot4_i32_i8 v19, s19, v19, v20
	v_lshrrev_b32_e32 v20, 4, v22
	v_and_b32_e32 v21, 0xf0f0f0f, v21
	v_lshlrev_b32_e32 v6, 3, v6
	v_and_b32_e32 v20, 0xf0f0f0f, v20
	v_lshlrev_b32_e32 v7, 3, v7
	v_and_or_b32 v6, v6, s17, v21
	v_and_or_b32 v7, v7, s17, v20
	v_dot4_i32_i8 v6, v6, v18, 0
	v_and_b32_e32 v20, 0xff00ff, v24
	v_dot4_i32_i8 v6, v7, v17, v6
	v_dot4_i32_i8 v7, s19, v18, 0
	v_pk_lshrrev_b16 v18, 8, v24 op_sel_hi:[0,1]
	v_lshrrev_b32_e32 v22, 16, v20
	v_and_b32_e32 v20, 0xff, v20
	v_dot4_i32_i8 v7, s19, v17, v7
	v_lshrrev_b32_e32 v21, 16, v18
	v_mul_lo_u32 v20, v23, v20
	v_mul_lo_u32 v19, v19, v22
	v_and_b32_e32 v18, 0xff, v18
	v_mul_lo_u32 v7, v7, v21
	v_mul_lo_u32 v6, v6, v18
	v_cvt_f32_i32_e32 v18, v20
	v_cvt_f32_i32_e32 v19, v19
	;; [unrolled: 1-line block ×3, first 2 shown]
	s_waitcnt vmcnt(0)
	v_cvt_f32_f16_sdwa v17, v16 dst_sel:DWORD dst_unused:UNUSED_PAD src0_sel:WORD_1
	v_cvt_f32_i32_e32 v6, v6
	v_fma_mix_f32 v18, v14, v18, 0 op_sel_hi:[1,0,0]
	v_fma_mix_f32 v14, v14, v19, 0 op_sel_hi:[1,0,0]
	;; [unrolled: 1-line block ×4, first 2 shown]
	v_mul_f32_e32 v7, v7, v17
	v_add_u32_e32 v9, 8, v9
	v_fma_mix_f32 v6, v6, v16, -v7 op_sel_hi:[0,1,0]
	v_add_co_u32_e32 v2, vcc, 0x900, v2
	v_cmp_le_u32_e64 s[2:3], s7, v9
	v_add_f32_e32 v8, v8, v6
	s_or_b64 s[12:13], s[2:3], s[12:13]
	v_addc_co_u32_e32 v3, vcc, 0, v3, vcc
	s_andn2_b64 exec, exec, s[12:13]
	s_cbranch_execz .LBB136_14
.LBB136_10:                             ; =>This Inner Loop Header: Depth=1
	v_add_u32_e32 v6, s9, v9
	v_mad_i64_i32 v[6:7], s[2:3], v6, s11, v[4:5]
                                        ; implicit-def: $vgpr24
	v_add_co_u32_e32 v14, vcc, v6, v10
	v_addc_co_u32_e32 v15, vcc, 0, v7, vcc
	v_add_co_u32_e32 v26, vcc, v14, v11
	v_addc_co_u32_e32 v27, vcc, 0, v15, vcc
	;; [unrolled: 2-line block ×4, first 2 shown]
	global_load_dword v14, v[2:3], off offset:-36
	global_load_dword v19, v[30:31], off offset:-32
	;; [unrolled: 1-line block ×3, first 2 shown]
	global_load_dword v15, v[2:3], off
	global_load_dword v17, v[30:31], off offset:4
	global_load_dword v18, v[30:31], off offset:20
	;; [unrolled: 1-line block ×6, first 2 shown]
	global_load_dword v16, v[6:7], off
	v_add_co_u32_e32 v6, vcc, v6, v13
	v_addc_co_u32_e32 v7, vcc, 0, v7, vcc
	s_and_saveexec_b64 s[2:3], s[0:1]
	s_xor_b64 s[2:3], exec, s[2:3]
	s_cbranch_execz .LBB136_12
; %bb.11:                               ;   in Loop: Header=BB136_10 Depth=1
	global_load_ushort v24, v[6:7], off
	global_load_ushort v26, v[6:7], off offset:8
	global_load_ushort v27, v[6:7], off offset:4
	s_waitcnt vmcnt(1)
	v_pk_lshrrev_b16 v6, 4, v26 op_sel:[1,0] op_sel_hi:[0,0]
	s_waitcnt vmcnt(0)
	v_perm_b32 v7, v27, v24, s15
	v_and_b32_e32 v6, 0xf0f0f0f, v6
	v_pk_lshrrev_b16 v7, 2, v7 op_sel_hi:[0,1]
	v_and_or_b32 v24, v7, s16, v6
                                        ; implicit-def: $vgpr6_vgpr7
.LBB136_12:                             ;   in Loop: Header=BB136_10 Depth=1
	s_andn2_saveexec_b64 s[2:3], s[2:3]
	s_cbranch_execz .LBB136_9
; %bb.13:                               ;   in Loop: Header=BB136_10 Depth=1
	global_load_ushort v24, v[6:7], off offset:4
	global_load_ushort v26, v[6:7], off offset:8
	s_waitcnt vmcnt(0)
	v_perm_b32 v6, v26, v24, s15
	v_and_b32_e32 v24, 0x3f3f3f3f, v6
	s_branch .LBB136_9
.LBB136_14:
	s_or_b64 exec, exec, s[12:13]
.LBB136_15:
	s_or_b64 exec, exec, s[24:25]
	v_cmp_eq_u32_e32 vcc, 0, v1
	v_cmp_ne_u32_e64 s[0:1], 0, v1
	v_lshlrev_b32_e32 v2, 2, v0
	s_and_saveexec_b64 s[2:3], s[0:1]
; %bb.16:
	v_lshlrev_b32_e32 v1, 8, v1
	s_movk_i32 s0, 0xff00
	v_add3_u32 v1, v1, v2, s0
	ds_write_b32 v1, v8
; %bb.17:
	s_or_b64 exec, exec, s[2:3]
	s_waitcnt lgkmcnt(0)
	s_barrier
	s_and_saveexec_b64 s[0:1], vcc
	s_cbranch_execz .LBB136_20
; %bb.18:
	ds_read_b32 v1, v2
	v_mbcnt_lo_u32_b32 v2, -1, 0
	v_mbcnt_hi_u32_b32 v2, -1, v2
	v_and_b32_e32 v3, 64, v2
	v_add_u32_e32 v3, 64, v3
	v_xor_b32_e32 v4, 32, v2
	v_cmp_lt_i32_e32 vcc, v4, v3
	v_cndmask_b32_e32 v4, v2, v4, vcc
	v_lshlrev_b32_e32 v4, 2, v4
	s_waitcnt lgkmcnt(0)
	v_add_f32_e32 v1, v8, v1
	ds_bpermute_b32 v4, v4, v1
	v_xor_b32_e32 v5, 16, v2
	v_cmp_lt_i32_e32 vcc, v5, v3
	v_cndmask_b32_e32 v5, v2, v5, vcc
	v_lshlrev_b32_e32 v5, 2, v5
	s_waitcnt lgkmcnt(0)
	v_add_f32_e32 v1, v1, v4
	ds_bpermute_b32 v4, v5, v1
	;; [unrolled: 7-line block ×6, first 2 shown]
	s_mov_b32 s1, 0
	v_cmp_eq_u32_e32 vcc, 0, v0
	s_and_b64 exec, exec, vcc
	s_cbranch_execz .LBB136_20
; %bb.19:
	s_load_dwordx2 s[2:3], s[4:5], 0x38
	s_mul_i32 s0, s14, s10
	s_add_i32 s0, s0, s6
	s_mul_i32 s4, s18, s8
	s_add_i32 s0, s0, s4
	s_lshl_b64 s[0:1], s[0:1], 2
	s_waitcnt lgkmcnt(0)
	s_add_u32 s0, s2, s0
	v_add_f32_e32 v0, v1, v2
	s_addc_u32 s1, s3, s1
	v_mov_b32_e32 v1, 0
	global_store_dword v1, v0, s[0:1]
.LBB136_20:
	s_endpgm
	.section	.rodata,"a",@progbits
	.p2align	6, 0x0
	.amdhsa_kernel _ZL13mul_mat_vec_qIL9ggml_type13ELi1ELb0ELb0EEvPKvS2_PKi31ggml_cuda_mm_fusion_args_devicePfj15HIP_vector_typeIjLj3EEjjjS8_jjjS8_jjjj
		.amdhsa_group_segment_fixed_size 256
		.amdhsa_private_segment_fixed_size 0
		.amdhsa_kernarg_size 144
		.amdhsa_user_sgpr_count 6
		.amdhsa_user_sgpr_private_segment_buffer 1
		.amdhsa_user_sgpr_dispatch_ptr 0
		.amdhsa_user_sgpr_queue_ptr 0
		.amdhsa_user_sgpr_kernarg_segment_ptr 1
		.amdhsa_user_sgpr_dispatch_id 0
		.amdhsa_user_sgpr_flat_scratch_init 0
		.amdhsa_user_sgpr_private_segment_size 0
		.amdhsa_uses_dynamic_stack 0
		.amdhsa_system_sgpr_private_segment_wavefront_offset 0
		.amdhsa_system_sgpr_workgroup_id_x 1
		.amdhsa_system_sgpr_workgroup_id_y 1
		.amdhsa_system_sgpr_workgroup_id_z 1
		.amdhsa_system_sgpr_workgroup_info 0
		.amdhsa_system_vgpr_workitem_id 1
		.amdhsa_next_free_vgpr 32
		.amdhsa_next_free_sgpr 27
		.amdhsa_reserve_vcc 1
		.amdhsa_reserve_flat_scratch 0
		.amdhsa_float_round_mode_32 0
		.amdhsa_float_round_mode_16_64 0
		.amdhsa_float_denorm_mode_32 3
		.amdhsa_float_denorm_mode_16_64 3
		.amdhsa_dx10_clamp 1
		.amdhsa_ieee_mode 1
		.amdhsa_fp16_overflow 0
		.amdhsa_exception_fp_ieee_invalid_op 0
		.amdhsa_exception_fp_denorm_src 0
		.amdhsa_exception_fp_ieee_div_zero 0
		.amdhsa_exception_fp_ieee_overflow 0
		.amdhsa_exception_fp_ieee_underflow 0
		.amdhsa_exception_fp_ieee_inexact 0
		.amdhsa_exception_int_div_zero 0
	.end_amdhsa_kernel
	.section	.text._ZL13mul_mat_vec_qIL9ggml_type13ELi1ELb0ELb0EEvPKvS2_PKi31ggml_cuda_mm_fusion_args_devicePfj15HIP_vector_typeIjLj3EEjjjS8_jjjS8_jjjj,"axG",@progbits,_ZL13mul_mat_vec_qIL9ggml_type13ELi1ELb0ELb0EEvPKvS2_PKi31ggml_cuda_mm_fusion_args_devicePfj15HIP_vector_typeIjLj3EEjjjS8_jjjS8_jjjj,comdat
.Lfunc_end136:
	.size	_ZL13mul_mat_vec_qIL9ggml_type13ELi1ELb0ELb0EEvPKvS2_PKi31ggml_cuda_mm_fusion_args_devicePfj15HIP_vector_typeIjLj3EEjjjS8_jjjS8_jjjj, .Lfunc_end136-_ZL13mul_mat_vec_qIL9ggml_type13ELi1ELb0ELb0EEvPKvS2_PKi31ggml_cuda_mm_fusion_args_devicePfj15HIP_vector_typeIjLj3EEjjjS8_jjjS8_jjjj
                                        ; -- End function
	.set _ZL13mul_mat_vec_qIL9ggml_type13ELi1ELb0ELb0EEvPKvS2_PKi31ggml_cuda_mm_fusion_args_devicePfj15HIP_vector_typeIjLj3EEjjjS8_jjjS8_jjjj.num_vgpr, 32
	.set _ZL13mul_mat_vec_qIL9ggml_type13ELi1ELb0ELb0EEvPKvS2_PKi31ggml_cuda_mm_fusion_args_devicePfj15HIP_vector_typeIjLj3EEjjjS8_jjjS8_jjjj.num_agpr, 0
	.set _ZL13mul_mat_vec_qIL9ggml_type13ELi1ELb0ELb0EEvPKvS2_PKi31ggml_cuda_mm_fusion_args_devicePfj15HIP_vector_typeIjLj3EEjjjS8_jjjS8_jjjj.numbered_sgpr, 27
	.set _ZL13mul_mat_vec_qIL9ggml_type13ELi1ELb0ELb0EEvPKvS2_PKi31ggml_cuda_mm_fusion_args_devicePfj15HIP_vector_typeIjLj3EEjjjS8_jjjS8_jjjj.num_named_barrier, 0
	.set _ZL13mul_mat_vec_qIL9ggml_type13ELi1ELb0ELb0EEvPKvS2_PKi31ggml_cuda_mm_fusion_args_devicePfj15HIP_vector_typeIjLj3EEjjjS8_jjjS8_jjjj.private_seg_size, 0
	.set _ZL13mul_mat_vec_qIL9ggml_type13ELi1ELb0ELb0EEvPKvS2_PKi31ggml_cuda_mm_fusion_args_devicePfj15HIP_vector_typeIjLj3EEjjjS8_jjjS8_jjjj.uses_vcc, 1
	.set _ZL13mul_mat_vec_qIL9ggml_type13ELi1ELb0ELb0EEvPKvS2_PKi31ggml_cuda_mm_fusion_args_devicePfj15HIP_vector_typeIjLj3EEjjjS8_jjjS8_jjjj.uses_flat_scratch, 0
	.set _ZL13mul_mat_vec_qIL9ggml_type13ELi1ELb0ELb0EEvPKvS2_PKi31ggml_cuda_mm_fusion_args_devicePfj15HIP_vector_typeIjLj3EEjjjS8_jjjS8_jjjj.has_dyn_sized_stack, 0
	.set _ZL13mul_mat_vec_qIL9ggml_type13ELi1ELb0ELb0EEvPKvS2_PKi31ggml_cuda_mm_fusion_args_devicePfj15HIP_vector_typeIjLj3EEjjjS8_jjjS8_jjjj.has_recursion, 0
	.set _ZL13mul_mat_vec_qIL9ggml_type13ELi1ELb0ELb0EEvPKvS2_PKi31ggml_cuda_mm_fusion_args_devicePfj15HIP_vector_typeIjLj3EEjjjS8_jjjS8_jjjj.has_indirect_call, 0
	.section	.AMDGPU.csdata,"",@progbits
; Kernel info:
; codeLenInByte = 1468
; TotalNumSgprs: 31
; NumVgprs: 32
; ScratchSize: 0
; MemoryBound: 0
; FloatMode: 240
; IeeeMode: 1
; LDSByteSize: 256 bytes/workgroup (compile time only)
; SGPRBlocks: 3
; VGPRBlocks: 7
; NumSGPRsForWavesPerEU: 31
; NumVGPRsForWavesPerEU: 32
; Occupancy: 8
; WaveLimiterHint : 0
; COMPUTE_PGM_RSRC2:SCRATCH_EN: 0
; COMPUTE_PGM_RSRC2:USER_SGPR: 6
; COMPUTE_PGM_RSRC2:TRAP_HANDLER: 0
; COMPUTE_PGM_RSRC2:TGID_X_EN: 1
; COMPUTE_PGM_RSRC2:TGID_Y_EN: 1
; COMPUTE_PGM_RSRC2:TGID_Z_EN: 1
; COMPUTE_PGM_RSRC2:TIDIG_COMP_CNT: 1
	.section	.text._ZL13mul_mat_vec_qIL9ggml_type13ELi2ELb0ELb0EEvPKvS2_PKi31ggml_cuda_mm_fusion_args_devicePfj15HIP_vector_typeIjLj3EEjjjS8_jjjS8_jjjj,"axG",@progbits,_ZL13mul_mat_vec_qIL9ggml_type13ELi2ELb0ELb0EEvPKvS2_PKi31ggml_cuda_mm_fusion_args_devicePfj15HIP_vector_typeIjLj3EEjjjS8_jjjS8_jjjj,comdat
	.globl	_ZL13mul_mat_vec_qIL9ggml_type13ELi2ELb0ELb0EEvPKvS2_PKi31ggml_cuda_mm_fusion_args_devicePfj15HIP_vector_typeIjLj3EEjjjS8_jjjS8_jjjj ; -- Begin function _ZL13mul_mat_vec_qIL9ggml_type13ELi2ELb0ELb0EEvPKvS2_PKi31ggml_cuda_mm_fusion_args_devicePfj15HIP_vector_typeIjLj3EEjjjS8_jjjS8_jjjj
	.p2align	8
	.type	_ZL13mul_mat_vec_qIL9ggml_type13ELi2ELb0ELb0EEvPKvS2_PKi31ggml_cuda_mm_fusion_args_devicePfj15HIP_vector_typeIjLj3EEjjjS8_jjjS8_jjjj,@function
_ZL13mul_mat_vec_qIL9ggml_type13ELi2ELb0ELb0EEvPKvS2_PKi31ggml_cuda_mm_fusion_args_devicePfj15HIP_vector_typeIjLj3EEjjjS8_jjjS8_jjjj: ; @_ZL13mul_mat_vec_qIL9ggml_type13ELi2ELb0ELb0EEvPKvS2_PKi31ggml_cuda_mm_fusion_args_devicePfj15HIP_vector_typeIjLj3EEjjjS8_jjjS8_jjjj
; %bb.0:
	s_load_dword s9, s[4:5], 0x40
	s_load_dwordx4 s[12:15], s[4:5], 0x50
	s_load_dword s25, s[4:5], 0x60
	s_load_dwordx4 s[0:3], s[4:5], 0x68
	s_load_dword s24, s[4:5], 0x78
	s_load_dwordx4 s[16:19], s[4:5], 0x80
	v_lshl_add_u32 v2, v1, 6, v0
	s_waitcnt lgkmcnt(0)
	s_lshr_b32 s9, s9, 8
	v_lshrrev_b32_e32 v18, 4, v2
	s_lshl_b32 s6, s6, 1
	v_cmp_gt_u32_e32 vcc, s9, v18
	v_mov_b32_e32 v16, 0
	v_mov_b32_e32 v17, 0
	;; [unrolled: 1-line block ×4, first 2 shown]
	s_and_saveexec_b64 s[10:11], vcc
	s_cbranch_execz .LBB137_20
; %bb.1:
	s_mul_hi_u32 s15, s15, s7
	s_add_i32 s15, s7, s15
	s_load_dwordx4 s[20:23], s[4:5], 0x0
	s_lshr_b32 s15, s15, s25
	s_mul_i32 s15, s15, s0
	s_mul_hi_u32 s0, s3, s8
	s_add_i32 s0, s8, s0
	s_lshr_b32 s0, s0, s24
	s_mul_i32 s3, s17, s8
	s_mul_i32 s0, s0, s16
	s_mul_hi_u32 s16, s3, 36
	s_mul_i32 s3, s3, 36
	s_waitcnt lgkmcnt(0)
	s_add_u32 s3, s22, s3
	s_mul_i32 s1, s1, s7
	s_addc_u32 s17, s23, s16
	s_mul_hi_u32 s19, s1, 36
	s_mul_i32 s1, s1, 36
	s_add_u32 s16, s3, s1
	s_addc_u32 s17, s17, s19
	s_add_i32 s19, s6, 1
	v_bfe_u32 v4, v0, 2, 2
	s_mul_i32 s3, s6, s12
	s_mul_i32 s12, s12, s19
	v_mul_hi_u32_u24_e32 v5, 0x48, v4
	v_mul_u32_u24_e32 v4, 0x48, v4
	s_movk_i32 s19, 0x120
	v_mad_u64_u32 v[4:5], s[22:23], v18, s19, v[4:5]
	v_lshlrev_b32_e32 v2, 1, v0
	v_bfe_u32 v8, v2, 3, 2
	v_and_b32_e32 v3, 30, v2
	v_lshlrev_b32_e32 v21, 1, v8
	s_add_i32 s15, s0, s15
	v_cmp_lt_u32_e64 s[0:1], 15, v3
	v_mad_u64_u32 v[2:3], s[22:23], v21, 36, s[16:17]
	v_mov_b32_e32 v7, s17
	v_add_co_u32_e32 v4, vcc, s16, v4
	v_and_b32_e32 v6, 3, v0
	v_addc_co_u32_e32 v5, vcc, v7, v5, vcc
	v_lshlrev_b32_e32 v20, 2, v6
	v_add_co_u32_e32 v4, vcc, 36, v4
	v_lshlrev_b32_e32 v23, 2, v6
	v_mov_b32_e32 v6, s20
	v_lshlrev_b32_e32 v19, 5, v8
	v_mov_b32_e32 v16, 0
	s_add_i32 s3, s15, s3
	s_add_i32 s15, s15, s12
	v_addc_co_u32_e32 v5, vcc, 0, v5, vcc
	v_lshl_add_u32 v22, v18, 3, s13
	s_mov_b64 s[12:13], 0
	s_movk_i32 s19, 0xb0
	s_mov_b32 s22, 0x5040100
	s_mov_b32 s23, 0x20004
	s_mov_b32 s24, 0x30300f0f
	s_mov_b32 s25, 0x1010101
	s_mov_b32 s26, 0x10101010
	s_mov_b32 s27, 0xffff
	v_mov_b32_e32 v7, s21
	v_lshlrev_b32_e32 v24, 1, v8
	v_mov_b32_e32 v14, 0
	v_mov_b32_e32 v15, 0
	;; [unrolled: 1-line block ×3, first 2 shown]
	s_branch .LBB137_3
.LBB137_2:                              ;   in Loop: Header=BB137_3 Depth=1
	s_or_b64 exec, exec, s[16:17]
	s_waitcnt vmcnt(12)
	v_ashrrev_i32_e32 v37, v21, v37
	v_ashrrev_i32_e32 v35, v21, v35
	v_and_b32_e32 v49, 0xf0f0f0f, v33
	v_lshlrev_b32_e32 v51, 4, v37
	v_and_b32_e32 v48, 0xf0f0f0f, v34
	v_lshlrev_b32_e32 v50, 4, v35
	v_and_or_b32 v49, v51, s26, v49
	v_lshrrev_b32_e32 v33, 4, v33
	s_waitcnt vmcnt(3)
	v_dot4_i32_i8 v10, s25, v45, 0
	v_and_or_b32 v48, v50, s26, v48
	v_lshrrev_b32_e32 v34, 4, v34
	v_and_b32_e32 v33, 0xf0f0f0f, v33
	v_lshlrev_b32_e32 v37, 3, v37
	v_dot4_i32_i8 v51, v49, v45, 0
	v_dot4_i32_i8 v10, s25, v44, v10
	s_waitcnt vmcnt(1)
	v_dot4_i32_i8 v11, s25, v43, 0
	v_and_b32_e32 v34, 0xf0f0f0f, v34
	v_lshlrev_b32_e32 v35, 3, v35
	v_and_or_b32 v33, v37, s26, v33
	v_lshrrev_b16_e32 v37, 8, v52
	v_lshrrev_b16_e32 v50, 8, v53
	v_dot4_i32_i8 v51, v48, v44, v51
	v_and_b32_sdwa v53, s27, v53 dst_sel:DWORD dst_unused:UNUSED_PAD src0_sel:DWORD src1_sel:BYTE_0
	v_and_b32_sdwa v52, s27, v52 dst_sel:DWORD dst_unused:UNUSED_PAD src0_sel:DWORD src1_sel:BYTE_0
	v_dot4_i32_i8 v11, s25, v41, v11
	v_and_or_b32 v34, v35, s26, v34
	v_mul_lo_u32 v51, v51, v53
	v_mul_lo_u32 v52, v10, v52
	v_dot4_i32_i8 v53, v33, v43, 0
	v_dot4_i32_i8 v53, v34, v41, v53
	v_mul_lo_u32 v37, v11, v37
	v_mul_lo_u32 v50, v53, v50
	v_cvt_f32_i32_e32 v52, v52
	v_cvt_f32_i32_e32 v51, v51
	;; [unrolled: 1-line block ×4, first 2 shown]
	v_cvt_f32_f16_sdwa v35, v32 dst_sel:DWORD dst_unused:UNUSED_PAD src0_sel:WORD_1
	v_fma_mix_f32 v52, v13, v52, 0 op_sel_hi:[1,0,0]
	v_ashrrev_i32_e32 v42, v21, v42
	v_fma_mix_f32 v51, v13, v51, 0 op_sel_hi:[1,0,0]
	s_waitcnt vmcnt(0)
	v_fma_mix_f32 v37, v39, v37, v52 op_sel_hi:[1,0,0]
	v_ashrrev_i32_e32 v40, v21, v40
	v_and_b32_e32 v52, 0xf0f0f0f, v36
	v_lshlrev_b32_e32 v54, 4, v42
	v_fma_mix_f32 v50, v39, v50, v51 op_sel_hi:[1,0,0]
	v_and_b32_e32 v51, 0xf0f0f0f, v38
	v_lshlrev_b32_e32 v53, 4, v40
	v_and_or_b32 v52, v54, s26, v52
	v_mul_f32_e32 v37, v37, v35
	v_and_or_b32 v51, v53, s26, v51
	v_dot4_i32_i8 v53, v52, v30, 0
	v_fma_mix_f32 v37, v50, v32, -v37 op_sel_hi:[0,1,0]
	v_dot4_i32_i8 v53, v51, v29, v53
	v_and_b32_sdwa v54, s27, v47 dst_sel:DWORD dst_unused:UNUSED_PAD src0_sel:DWORD src1_sel:BYTE_0
	v_lshrrev_b32_e32 v36, 4, v36
	v_add_f32_e32 v15, v15, v37
	v_dot4_i32_i8 v37, s25, v30, 0
	v_mul_lo_u32 v53, v53, v54
	v_lshrrev_b32_e32 v38, 4, v38
	v_and_b32_e32 v36, 0xf0f0f0f, v36
	v_lshlrev_b32_e32 v42, 3, v42
	v_dot4_i32_i8 v37, s25, v29, v37
	v_dot4_i32_i8 v50, s25, v28, 0
	v_lshrrev_b16_e32 v54, 8, v46
	v_and_b32_sdwa v46, s27, v46 dst_sel:DWORD dst_unused:UNUSED_PAD src0_sel:DWORD src1_sel:BYTE_0
	v_and_b32_e32 v38, 0xf0f0f0f, v38
	v_lshlrev_b32_e32 v40, 3, v40
	v_and_or_b32 v36, v42, s26, v36
	v_dot4_i32_i8 v50, s25, v27, v50
	v_mul_lo_u32 v46, v37, v46
	v_and_or_b32 v38, v40, s26, v38
	v_dot4_i32_i8 v40, v36, v28, 0
	v_lshrrev_b16_e32 v47, 8, v47
	v_dot4_i32_i8 v40, v38, v27, v40
	v_mul_lo_u32 v42, v50, v54
	v_cvt_f32_i32_e32 v53, v53
	v_mul_lo_u32 v40, v40, v47
	v_cvt_f32_i32_e32 v46, v46
	v_cvt_f32_i32_e32 v42, v42
	v_fma_mix_f32 v47, v25, v53, 0 op_sel_hi:[1,0,0]
	v_cvt_f32_i32_e32 v40, v40
	v_cvt_f32_f16_sdwa v53, v12 dst_sel:DWORD dst_unused:UNUSED_PAD src0_sel:WORD_1
	v_fma_mix_f32 v46, v25, v46, 0 op_sel_hi:[1,0,0]
	v_fma_mix_f32 v42, v26, v42, v46 op_sel_hi:[1,0,0]
	v_dot4_i32_i8 v30, v49, v30, 0
	v_fma_mix_f32 v40, v26, v40, v47 op_sel_hi:[1,0,0]
	v_mul_f32_e32 v42, v42, v53
	v_dot4_i32_i8 v29, v48, v29, v30
	v_bfe_u32 v30, v31, 16, 8
	v_fma_mix_f32 v40, v40, v12, -v42 op_sel_hi:[0,1,0]
	v_mul_lo_u32 v29, v29, v30
	v_and_b32_e32 v30, 0xff, v31
	v_add_f32_e32 v17, v17, v40
	v_lshrrev_b16_e32 v40, 8, v31
	v_mul_lo_u32 v30, v37, v30
	v_dot4_i32_i8 v28, v33, v28, 0
	v_lshrrev_b32_e32 v42, 24, v31
	v_dot4_i32_i8 v27, v34, v27, v28
	v_mul_lo_u32 v28, v50, v40
	v_mul_lo_u32 v27, v27, v42
	v_cvt_f32_i32_e32 v29, v29
	v_cvt_f32_i32_e32 v30, v30
	;; [unrolled: 1-line block ×4, first 2 shown]
	v_fma_mix_f32 v29, v25, v29, 0 op_sel_hi:[1,0,0]
	v_fma_mix_f32 v25, v25, v30, 0 op_sel_hi:[1,0,0]
	;; [unrolled: 1-line block ×4, first 2 shown]
	v_mul_f32_e32 v25, v25, v35
	v_fma_mix_f32 v25, v27, v32, -v25 op_sel_hi:[0,1,0]
	v_add_f32_e32 v16, v16, v25
	v_lshrrev_b16_e32 v25, 8, v9
	v_dot4_i32_i8 v26, v52, v45, 0
	v_and_b32_sdwa v9, s27, v9 dst_sel:DWORD dst_unused:UNUSED_PAD src0_sel:DWORD src1_sel:BYTE_0
	v_dot4_i32_i8 v26, v51, v44, v26
	v_mul_lo_u32 v9, v10, v9
	v_dot4_i32_i8 v10, v36, v43, 0
	v_lshrrev_b16_e32 v27, 8, v8
	v_and_b32_sdwa v8, s27, v8 dst_sel:DWORD dst_unused:UNUSED_PAD src0_sel:DWORD src1_sel:BYTE_0
	v_dot4_i32_i8 v10, v38, v41, v10
	v_mul_lo_u32 v8, v26, v8
	v_mul_lo_u32 v11, v11, v25
	;; [unrolled: 1-line block ×3, first 2 shown]
	v_cvt_f32_i32_e32 v9, v9
	v_cvt_f32_i32_e32 v8, v8
	;; [unrolled: 1-line block ×4, first 2 shown]
	v_fma_mix_f32 v9, v13, v9, 0 op_sel_hi:[1,0,0]
	v_fma_mix_f32 v8, v13, v8, 0 op_sel_hi:[1,0,0]
	;; [unrolled: 1-line block ×3, first 2 shown]
	v_add_co_u32_e32 v4, vcc, 0x900, v4
	v_fma_mix_f32 v8, v39, v10, v8 op_sel_hi:[1,0,0]
	v_mul_f32_e32 v9, v9, v53
	v_add_u32_e32 v18, 8, v18
	v_addc_co_u32_e32 v5, vcc, 0, v5, vcc
	v_fma_mix_f32 v8, v8, v12, -v9 op_sel_hi:[0,1,0]
	v_cmp_le_u32_e32 vcc, s9, v18
	v_add_f32_e32 v14, v14, v8
	s_or_b64 s[12:13], vcc, s[12:13]
	v_add_u32_e32 v22, 64, v22
	s_andn2_b64 exec, exec, s[12:13]
	s_cbranch_execz .LBB137_19
.LBB137_3:                              ; =>This Inner Loop Header: Depth=1
	v_add_u32_e32 v10, s3, v18
	v_mad_i64_i32 v[10:11], s[16:17], v10, s19, v[6:7]
	v_add_co_u32_e32 v8, vcc, v4, v20
	v_addc_co_u32_e32 v9, vcc, 0, v5, vcc
	global_load_dword v25, v[4:5], off offset:-36
	global_load_dword v26, v[4:5], off
	global_load_dword v29, v[8:9], off offset:-32
	global_load_dword v30, v[8:9], off offset:-16
	global_load_dword v27, v[8:9], off offset:4
	global_load_dword v28, v[8:9], off offset:20
	v_add_co_u32_e32 v8, vcc, v10, v19
	v_addc_co_u32_e32 v9, vcc, 0, v11, vcc
	v_add_co_u32_e32 v8, vcc, v8, v20
	v_addc_co_u32_e32 v9, vcc, 0, v9, vcc
	;; [unrolled: 2-line block ×3, first 2 shown]
	global_load_dword v34, v[8:9], off offset:48
	global_load_dword v33, v[8:9], off offset:64
	;; [unrolled: 1-line block ×4, first 2 shown]
	v_add_co_u32_e32 v8, vcc, v10, v24
	v_addc_co_u32_e32 v9, vcc, 0, v11, vcc
                                        ; implicit-def: $vgpr31
                                        ; implicit-def: $vgpr49
                                        ; implicit-def: $vgpr48
	s_and_saveexec_b64 s[16:17], s[0:1]
	s_xor_b64 s[16:17], exec, s[16:17]
	s_cbranch_execz .LBB137_5
; %bb.4:                                ;   in Loop: Header=BB137_3 Depth=1
	global_load_ushort v12, v[8:9], off
	global_load_ushort v49, v[8:9], off offset:8
	global_load_ushort v48, v[8:9], off offset:4
	s_waitcnt vmcnt(1)
	v_perm_b32 v12, v12, v49, s22
	s_waitcnt vmcnt(0)
	v_perm_b32 v13, v49, v48, s22
	v_pk_lshrrev_b16 v13, 2, v13
	v_pk_lshrrev_b16 v12, s23, v12
	v_and_b32_e32 v13, 0xf0f3030, v13
	v_and_or_b32 v31, v12, s24, v13
.LBB137_5:                              ;   in Loop: Header=BB137_3 Depth=1
	s_andn2_saveexec_b64 s[16:17], s[16:17]
	s_cbranch_execz .LBB137_7
; %bb.6:                                ;   in Loop: Header=BB137_3 Depth=1
	global_load_ushort v48, v[8:9], off offset:4
	global_load_ushort v49, v[8:9], off offset:8
	s_waitcnt vmcnt(0)
	v_perm_b32 v12, v48, v49, s22
	v_and_b32_e32 v31, 0x3f3f3f3f, v12
.LBB137_7:                              ;   in Loop: Header=BB137_3 Depth=1
	s_or_b64 exec, exec, s[16:17]
	v_mov_b32_e32 v12, s20
	v_add_u32_e32 v32, s15, v18
	v_mov_b32_e32 v13, s21
	v_mad_i64_i32 v[12:13], s[16:17], v32, s19, v[12:13]
                                        ; implicit-def: $vgpr47
                                        ; implicit-def: $vgpr50
                                        ; implicit-def: $vgpr51
	v_add_co_u32_e32 v32, vcc, v12, v19
	v_addc_co_u32_e32 v36, vcc, 0, v13, vcc
	v_add_co_u32_e32 v43, vcc, v32, v20
	v_addc_co_u32_e32 v44, vcc, 0, v36, vcc
	;; [unrolled: 2-line block ×3, first 2 shown]
	global_load_dword v32, v[10:11], off
	global_load_dword v38, v[43:44], off offset:48
	global_load_dword v36, v[43:44], off offset:64
	;; [unrolled: 1-line block ×4, first 2 shown]
	v_add_co_u32_e32 v10, vcc, v12, v24
	v_addc_co_u32_e32 v11, vcc, 0, v13, vcc
                                        ; implicit-def: $vgpr46
	s_and_saveexec_b64 s[16:17], s[0:1]
	s_xor_b64 s[16:17], exec, s[16:17]
	s_cbranch_execz .LBB137_9
; %bb.8:                                ;   in Loop: Header=BB137_3 Depth=1
	global_load_ushort v50, v[10:11], off offset:8
	global_load_ushort v39, v[10:11], off
	global_load_ushort v51, v[10:11], off offset:4
	s_waitcnt vmcnt(2)
	v_lshrrev_b16_e32 v43, 4, v50
	s_waitcnt vmcnt(1)
	v_lshrrev_b16_e32 v39, 2, v39
	;; [unrolled: 2-line block ×3, first 2 shown]
	v_and_b32_e32 v41, 0xf0f, v50
	v_and_b32_e32 v39, 0x3030, v39
	;; [unrolled: 1-line block ×4, first 2 shown]
	v_or_b32_e32 v47, v39, v41
	v_or_b32_e32 v46, v44, v43
.LBB137_9:                              ;   in Loop: Header=BB137_3 Depth=1
	s_andn2_saveexec_b64 s[16:17], s[16:17]
	s_cbranch_execz .LBB137_11
; %bb.10:                               ;   in Loop: Header=BB137_3 Depth=1
	global_load_ushort v51, v[10:11], off offset:4
	global_load_ushort v50, v[10:11], off offset:8
	s_waitcnt vmcnt(1)
	v_and_b32_e32 v47, 0x3f3f, v51
	s_waitcnt vmcnt(0)
	v_and_b32_e32 v46, 0x3f3f, v50
.LBB137_11:                             ;   in Loop: Header=BB137_3 Depth=1
	s_or_b64 exec, exec, s[16:17]
	v_mad_u64_u32 v[52:53], s[16:17], v22, 36, v[2:3]
	global_load_dword v12, v[12:13], off
	v_add_co_u32_e32 v54, vcc, v52, v23
	v_addc_co_u32_e32 v55, vcc, 0, v53, vcc
	global_load_dword v13, v[52:53], off
	global_load_dword v44, v[54:55], off offset:4
	global_load_dword v45, v[54:55], off offset:20
	;; [unrolled: 1-line block ×5, first 2 shown]
                                        ; implicit-def: $vgpr53
                                        ; implicit-def: $vgpr52
	s_and_saveexec_b64 s[16:17], s[0:1]
	s_xor_b64 s[16:17], exec, s[16:17]
	s_cbranch_execz .LBB137_13
; %bb.12:                               ;   in Loop: Header=BB137_3 Depth=1
	global_load_ushort v8, v[8:9], off
	v_and_b32_e32 v9, 0xf0f, v49
	v_lshrrev_b16_e32 v49, 4, v49
	v_lshrrev_b16_e32 v48, 2, v48
	v_and_b32_e32 v49, 0xf0f, v49
	v_and_b32_e32 v48, 0x3030, v48
	v_or_b32_e32 v52, v48, v49
                                        ; implicit-def: $vgpr48
                                        ; implicit-def: $vgpr49
	s_waitcnt vmcnt(0)
	v_lshrrev_b16_e32 v8, 2, v8
	v_and_b32_e32 v8, 0x3030, v8
	v_or_b32_e32 v53, v8, v9
	s_andn2_saveexec_b64 s[16:17], s[16:17]
	s_branch .LBB137_14
.LBB137_13:                             ;   in Loop: Header=BB137_3 Depth=1
	s_andn2_saveexec_b64 s[16:17], s[16:17]
.LBB137_14:                             ;   in Loop: Header=BB137_3 Depth=1
	v_and_b32_e32 v53, 0x3f3f, v48
	v_and_b32_e32 v52, 0x3f3f, v49
; %bb.15:                               ;   in Loop: Header=BB137_3 Depth=1
	s_or_b64 exec, exec, s[16:17]
                                        ; implicit-def: $vgpr8
                                        ; implicit-def: $vgpr9
	s_and_saveexec_b64 s[16:17], s[0:1]
	s_xor_b64 s[16:17], exec, s[16:17]
	s_cbranch_execz .LBB137_17
; %bb.16:                               ;   in Loop: Header=BB137_3 Depth=1
	global_load_ushort v8, v[10:11], off
	v_lshrrev_b16_e32 v10, 4, v50
	v_lshrrev_b16_e32 v11, 2, v51
	v_and_b32_e32 v9, 0xf0f, v50
	v_and_b32_e32 v10, 0xf0f, v10
	;; [unrolled: 1-line block ×3, first 2 shown]
                                        ; implicit-def: $vgpr51
                                        ; implicit-def: $vgpr50
	s_waitcnt vmcnt(0)
	v_lshrrev_b16_e32 v8, 2, v8
	v_and_b32_e32 v8, 0x3030, v8
	v_or_b32_e32 v8, v8, v9
	v_or_b32_e32 v9, v11, v10
	s_andn2_saveexec_b64 s[16:17], s[16:17]
	s_cbranch_execz .LBB137_2
	s_branch .LBB137_18
.LBB137_17:                             ;   in Loop: Header=BB137_3 Depth=1
	s_andn2_saveexec_b64 s[16:17], s[16:17]
	s_cbranch_execz .LBB137_2
.LBB137_18:                             ;   in Loop: Header=BB137_3 Depth=1
	v_and_b32_e32 v8, 0x3f3f, v51
	v_and_b32_e32 v9, 0x3f3f, v50
	s_branch .LBB137_2
.LBB137_19:
	s_or_b64 exec, exec, s[12:13]
.LBB137_20:
	s_or_b64 exec, exec, s[10:11]
	v_cmp_eq_u32_e32 vcc, 0, v1
	v_cmp_ne_u32_e64 s[0:1], 0, v1
	v_lshlrev_b32_e32 v2, 2, v0
	s_and_saveexec_b64 s[10:11], s[0:1]
	s_cbranch_execz .LBB137_22
; %bb.21:
	v_lshl_or_b32 v1, v1, 10, v2
	v_add_u32_e32 v1, 0xfffffc00, v1
	ds_write2st64_b32 v1, v16, v17 offset1:1
	ds_write2st64_b32 v1, v15, v14 offset0:2 offset1:3
.LBB137_22:
	s_or_b64 exec, exec, s[10:11]
	s_waitcnt lgkmcnt(0)
	s_barrier
	s_and_saveexec_b64 s[0:1], vcc
	s_cbranch_execz .LBB137_27
; %bb.23:
	v_mbcnt_lo_u32_b32 v1, -1, 0
	v_mbcnt_hi_u32_b32 v7, -1, v1
	ds_read2st64_b32 v[5:6], v2 offset1:1
	v_and_b32_e32 v1, 64, v7
	v_add_u32_e32 v8, 64, v1
	v_xor_b32_e32 v1, 32, v7
	v_cmp_lt_i32_e32 vcc, v1, v8
	v_cndmask_b32_e32 v1, v7, v1, vcc
	v_lshlrev_b32_e32 v1, 2, v1
	s_waitcnt lgkmcnt(0)
	v_add_f32_e32 v10, v5, v16
	v_add_f32_e32 v6, v6, v17
	ds_bpermute_b32 v11, v1, v10
	ds_bpermute_b32 v12, v1, v6
	v_xor_b32_e32 v3, 16, v7
	v_cmp_lt_i32_e32 vcc, v3, v8
	v_cndmask_b32_e32 v3, v7, v3, vcc
	v_lshlrev_b32_e32 v3, 2, v3
	s_waitcnt lgkmcnt(1)
	v_add_f32_e32 v10, v10, v11
	s_waitcnt lgkmcnt(0)
	v_add_f32_e32 v6, v6, v12
	ds_bpermute_b32 v11, v3, v10
	ds_bpermute_b32 v12, v3, v6
	v_xor_b32_e32 v4, 8, v7
	v_cmp_lt_i32_e32 vcc, v4, v8
	v_cndmask_b32_e32 v4, v7, v4, vcc
	v_lshlrev_b32_e32 v4, 2, v4
	s_waitcnt lgkmcnt(1)
	v_add_f32_e32 v10, v10, v11
	s_waitcnt lgkmcnt(0)
	;; [unrolled: 10-line block ×3, first 2 shown]
	v_add_f32_e32 v12, v12, v13
	ds_bpermute_b32 v11, v5, v10
	ds_bpermute_b32 v13, v5, v12
	v_xor_b32_e32 v9, 2, v7
	v_cmp_lt_i32_e32 vcc, v9, v8
	v_cndmask_b32_e32 v9, v7, v9, vcc
	v_lshlrev_b32_e32 v6, 2, v9
	v_xor_b32_e32 v9, 1, v7
	v_cmp_lt_i32_e32 vcc, v9, v8
	s_waitcnt lgkmcnt(1)
	v_add_f32_e32 v8, v10, v11
	s_waitcnt lgkmcnt(0)
	v_add_f32_e32 v11, v12, v13
	ds_bpermute_b32 v10, v6, v8
	ds_bpermute_b32 v12, v6, v11
	s_load_dwordx2 s[0:1], s[4:5], 0x38
	v_cndmask_b32_e32 v7, v7, v9, vcc
	s_mul_i32 s2, s2, s7
	v_lshlrev_b32_e32 v9, 2, v7
	s_waitcnt lgkmcnt(0)
	v_add_f32_e32 v7, v8, v10
	v_add_f32_e32 v10, v11, v12
	s_mul_i32 s3, s18, s8
	s_add_i32 s2, s2, s6
	ds_bpermute_b32 v8, v9, v7
	ds_bpermute_b32 v11, v9, v10
	s_add_i32 s2, s2, s3
	s_mov_b32 s3, 0
	s_lshl_b64 s[2:3], s[2:3], 2
	s_add_u32 s2, s0, s2
	v_add_u32_e32 v12, s6, v0
	s_addc_u32 s3, s1, s3
	v_cmp_gt_u32_e32 vcc, 2, v0
	v_cmp_gt_u32_e64 s[0:1], s14, v12
	s_and_b64 s[0:1], vcc, s[0:1]
	s_waitcnt lgkmcnt(1)
	v_add_f32_e32 v7, v7, v8
	s_waitcnt lgkmcnt(0)
	v_add_f32_e32 v8, v10, v11
	s_and_saveexec_b64 s[4:5], s[0:1]
	s_cbranch_execz .LBB137_25
; %bb.24:
	v_cmp_eq_u32_e32 vcc, 1, v0
	v_cndmask_b32_e32 v10, v7, v8, vcc
	v_cmp_eq_u32_e32 vcc, 2, v0
	v_cndmask_b32_e32 v10, v10, v15, vcc
	v_cmp_eq_u32_e32 vcc, 3, v0
	v_cndmask_b32_e32 v10, v10, v14, vcc
	global_store_dword v2, v10, s[2:3]
.LBB137_25:
	s_or_b64 exec, exec, s[4:5]
	ds_read2st64_b32 v[10:11], v2 offset0:2 offset1:3
	s_waitcnt lgkmcnt(0)
	v_add_f32_e32 v2, v10, v15
	v_add_f32_e32 v10, v11, v14
	ds_bpermute_b32 v11, v1, v2
	ds_bpermute_b32 v1, v1, v10
	s_waitcnt lgkmcnt(1)
	v_add_f32_e32 v2, v2, v11
	s_waitcnt lgkmcnt(0)
	v_add_f32_e32 v1, v10, v1
	ds_bpermute_b32 v10, v3, v2
	ds_bpermute_b32 v3, v3, v1
	s_waitcnt lgkmcnt(1)
	v_add_f32_e32 v2, v2, v10
	s_waitcnt lgkmcnt(0)
	;; [unrolled: 6-line block ×5, first 2 shown]
	v_add_f32_e32 v2, v3, v4
	ds_bpermute_b32 v3, v9, v1
	ds_bpermute_b32 v4, v9, v2
	s_and_b64 exec, exec, s[0:1]
	s_cbranch_execz .LBB137_27
; %bb.26:
	s_waitcnt lgkmcnt(1)
	v_add_f32_e32 v1, v1, v3
	v_add_u32_e32 v3, 2, v0
	v_cmp_eq_u32_e32 vcc, 1, v3
	s_waitcnt lgkmcnt(0)
	v_add_f32_e32 v2, v2, v4
	v_cndmask_b32_e32 v4, v7, v8, vcc
	v_cmp_eq_u32_e32 vcc, 2, v3
	v_cndmask_b32_e32 v1, v4, v1, vcc
	v_cmp_eq_u32_e32 vcc, 3, v3
	v_cndmask_b32_e32 v2, v1, v2, vcc
	v_add_u32_e32 v0, s14, v0
	v_mov_b32_e32 v1, 0
	v_lshlrev_b64 v[0:1], 2, v[0:1]
	v_mov_b32_e32 v3, s3
	v_add_co_u32_e32 v0, vcc, s2, v0
	v_addc_co_u32_e32 v1, vcc, v3, v1, vcc
	global_store_dword v[0:1], v2, off
.LBB137_27:
	s_endpgm
	.section	.rodata,"a",@progbits
	.p2align	6, 0x0
	.amdhsa_kernel _ZL13mul_mat_vec_qIL9ggml_type13ELi2ELb0ELb0EEvPKvS2_PKi31ggml_cuda_mm_fusion_args_devicePfj15HIP_vector_typeIjLj3EEjjjS8_jjjS8_jjjj
		.amdhsa_group_segment_fixed_size 1024
		.amdhsa_private_segment_fixed_size 0
		.amdhsa_kernarg_size 144
		.amdhsa_user_sgpr_count 6
		.amdhsa_user_sgpr_private_segment_buffer 1
		.amdhsa_user_sgpr_dispatch_ptr 0
		.amdhsa_user_sgpr_queue_ptr 0
		.amdhsa_user_sgpr_kernarg_segment_ptr 1
		.amdhsa_user_sgpr_dispatch_id 0
		.amdhsa_user_sgpr_flat_scratch_init 0
		.amdhsa_user_sgpr_private_segment_size 0
		.amdhsa_uses_dynamic_stack 0
		.amdhsa_system_sgpr_private_segment_wavefront_offset 0
		.amdhsa_system_sgpr_workgroup_id_x 1
		.amdhsa_system_sgpr_workgroup_id_y 1
		.amdhsa_system_sgpr_workgroup_id_z 1
		.amdhsa_system_sgpr_workgroup_info 0
		.amdhsa_system_vgpr_workitem_id 1
		.amdhsa_next_free_vgpr 56
		.amdhsa_next_free_sgpr 28
		.amdhsa_reserve_vcc 1
		.amdhsa_reserve_flat_scratch 0
		.amdhsa_float_round_mode_32 0
		.amdhsa_float_round_mode_16_64 0
		.amdhsa_float_denorm_mode_32 3
		.amdhsa_float_denorm_mode_16_64 3
		.amdhsa_dx10_clamp 1
		.amdhsa_ieee_mode 1
		.amdhsa_fp16_overflow 0
		.amdhsa_exception_fp_ieee_invalid_op 0
		.amdhsa_exception_fp_denorm_src 0
		.amdhsa_exception_fp_ieee_div_zero 0
		.amdhsa_exception_fp_ieee_overflow 0
		.amdhsa_exception_fp_ieee_underflow 0
		.amdhsa_exception_fp_ieee_inexact 0
		.amdhsa_exception_int_div_zero 0
	.end_amdhsa_kernel
	.section	.text._ZL13mul_mat_vec_qIL9ggml_type13ELi2ELb0ELb0EEvPKvS2_PKi31ggml_cuda_mm_fusion_args_devicePfj15HIP_vector_typeIjLj3EEjjjS8_jjjS8_jjjj,"axG",@progbits,_ZL13mul_mat_vec_qIL9ggml_type13ELi2ELb0ELb0EEvPKvS2_PKi31ggml_cuda_mm_fusion_args_devicePfj15HIP_vector_typeIjLj3EEjjjS8_jjjS8_jjjj,comdat
.Lfunc_end137:
	.size	_ZL13mul_mat_vec_qIL9ggml_type13ELi2ELb0ELb0EEvPKvS2_PKi31ggml_cuda_mm_fusion_args_devicePfj15HIP_vector_typeIjLj3EEjjjS8_jjjS8_jjjj, .Lfunc_end137-_ZL13mul_mat_vec_qIL9ggml_type13ELi2ELb0ELb0EEvPKvS2_PKi31ggml_cuda_mm_fusion_args_devicePfj15HIP_vector_typeIjLj3EEjjjS8_jjjS8_jjjj
                                        ; -- End function
	.set _ZL13mul_mat_vec_qIL9ggml_type13ELi2ELb0ELb0EEvPKvS2_PKi31ggml_cuda_mm_fusion_args_devicePfj15HIP_vector_typeIjLj3EEjjjS8_jjjS8_jjjj.num_vgpr, 56
	.set _ZL13mul_mat_vec_qIL9ggml_type13ELi2ELb0ELb0EEvPKvS2_PKi31ggml_cuda_mm_fusion_args_devicePfj15HIP_vector_typeIjLj3EEjjjS8_jjjS8_jjjj.num_agpr, 0
	.set _ZL13mul_mat_vec_qIL9ggml_type13ELi2ELb0ELb0EEvPKvS2_PKi31ggml_cuda_mm_fusion_args_devicePfj15HIP_vector_typeIjLj3EEjjjS8_jjjS8_jjjj.numbered_sgpr, 28
	.set _ZL13mul_mat_vec_qIL9ggml_type13ELi2ELb0ELb0EEvPKvS2_PKi31ggml_cuda_mm_fusion_args_devicePfj15HIP_vector_typeIjLj3EEjjjS8_jjjS8_jjjj.num_named_barrier, 0
	.set _ZL13mul_mat_vec_qIL9ggml_type13ELi2ELb0ELb0EEvPKvS2_PKi31ggml_cuda_mm_fusion_args_devicePfj15HIP_vector_typeIjLj3EEjjjS8_jjjS8_jjjj.private_seg_size, 0
	.set _ZL13mul_mat_vec_qIL9ggml_type13ELi2ELb0ELb0EEvPKvS2_PKi31ggml_cuda_mm_fusion_args_devicePfj15HIP_vector_typeIjLj3EEjjjS8_jjjS8_jjjj.uses_vcc, 1
	.set _ZL13mul_mat_vec_qIL9ggml_type13ELi2ELb0ELb0EEvPKvS2_PKi31ggml_cuda_mm_fusion_args_devicePfj15HIP_vector_typeIjLj3EEjjjS8_jjjS8_jjjj.uses_flat_scratch, 0
	.set _ZL13mul_mat_vec_qIL9ggml_type13ELi2ELb0ELb0EEvPKvS2_PKi31ggml_cuda_mm_fusion_args_devicePfj15HIP_vector_typeIjLj3EEjjjS8_jjjS8_jjjj.has_dyn_sized_stack, 0
	.set _ZL13mul_mat_vec_qIL9ggml_type13ELi2ELb0ELb0EEvPKvS2_PKi31ggml_cuda_mm_fusion_args_devicePfj15HIP_vector_typeIjLj3EEjjjS8_jjjS8_jjjj.has_recursion, 0
	.set _ZL13mul_mat_vec_qIL9ggml_type13ELi2ELb0ELb0EEvPKvS2_PKi31ggml_cuda_mm_fusion_args_devicePfj15HIP_vector_typeIjLj3EEjjjS8_jjjS8_jjjj.has_indirect_call, 0
	.section	.AMDGPU.csdata,"",@progbits
; Kernel info:
; codeLenInByte = 2964
; TotalNumSgprs: 32
; NumVgprs: 56
; ScratchSize: 0
; MemoryBound: 0
; FloatMode: 240
; IeeeMode: 1
; LDSByteSize: 1024 bytes/workgroup (compile time only)
; SGPRBlocks: 3
; VGPRBlocks: 13
; NumSGPRsForWavesPerEU: 32
; NumVGPRsForWavesPerEU: 56
; Occupancy: 4
; WaveLimiterHint : 0
; COMPUTE_PGM_RSRC2:SCRATCH_EN: 0
; COMPUTE_PGM_RSRC2:USER_SGPR: 6
; COMPUTE_PGM_RSRC2:TRAP_HANDLER: 0
; COMPUTE_PGM_RSRC2:TGID_X_EN: 1
; COMPUTE_PGM_RSRC2:TGID_Y_EN: 1
; COMPUTE_PGM_RSRC2:TGID_Z_EN: 1
; COMPUTE_PGM_RSRC2:TIDIG_COMP_CNT: 1
	.section	.text._ZL13mul_mat_vec_qIL9ggml_type13ELi3ELb0ELb0EEvPKvS2_PKi31ggml_cuda_mm_fusion_args_devicePfj15HIP_vector_typeIjLj3EEjjjS8_jjjS8_jjjj,"axG",@progbits,_ZL13mul_mat_vec_qIL9ggml_type13ELi3ELb0ELb0EEvPKvS2_PKi31ggml_cuda_mm_fusion_args_devicePfj15HIP_vector_typeIjLj3EEjjjS8_jjjS8_jjjj,comdat
	.globl	_ZL13mul_mat_vec_qIL9ggml_type13ELi3ELb0ELb0EEvPKvS2_PKi31ggml_cuda_mm_fusion_args_devicePfj15HIP_vector_typeIjLj3EEjjjS8_jjjS8_jjjj ; -- Begin function _ZL13mul_mat_vec_qIL9ggml_type13ELi3ELb0ELb0EEvPKvS2_PKi31ggml_cuda_mm_fusion_args_devicePfj15HIP_vector_typeIjLj3EEjjjS8_jjjS8_jjjj
	.p2align	8
	.type	_ZL13mul_mat_vec_qIL9ggml_type13ELi3ELb0ELb0EEvPKvS2_PKi31ggml_cuda_mm_fusion_args_devicePfj15HIP_vector_typeIjLj3EEjjjS8_jjjS8_jjjj,@function
_ZL13mul_mat_vec_qIL9ggml_type13ELi3ELb0ELb0EEvPKvS2_PKi31ggml_cuda_mm_fusion_args_devicePfj15HIP_vector_typeIjLj3EEjjjS8_jjjS8_jjjj: ; @_ZL13mul_mat_vec_qIL9ggml_type13ELi3ELb0ELb0EEvPKvS2_PKi31ggml_cuda_mm_fusion_args_devicePfj15HIP_vector_typeIjLj3EEjjjS8_jjjS8_jjjj
; %bb.0:
	s_load_dword s9, s[4:5], 0x40
	s_load_dwordx4 s[12:15], s[4:5], 0x50
	s_load_dword s25, s[4:5], 0x60
	s_load_dwordx4 s[0:3], s[4:5], 0x68
	;; [unrolled: 2-line block ×3, first 2 shown]
	v_lshl_add_u32 v2, v1, 6, v0
	s_waitcnt lgkmcnt(0)
	s_lshr_b32 s9, s9, 8
	v_lshrrev_b32_e32 v20, 4, v2
	v_mov_b32_e32 v19, 0
	s_lshl_b32 s6, s6, 1
	v_cmp_gt_u32_e32 vcc, s9, v20
	v_mov_b32_e32 v18, 0
	v_mov_b32_e32 v16, 0
	v_mov_b32_e32 v17, v19
	v_mov_b32_e32 v15, v19
	v_mov_b32_e32 v14, v19
	s_and_saveexec_b64 s[10:11], vcc
	s_cbranch_execz .LBB138_24
; %bb.1:
	s_mul_hi_u32 s15, s15, s7
	s_add_i32 s15, s7, s15
	s_load_dwordx4 s[20:23], s[4:5], 0x0
	s_lshr_b32 s15, s15, s25
	s_mul_i32 s15, s15, s0
	s_mul_hi_u32 s0, s3, s8
	s_add_i32 s0, s8, s0
	s_lshr_b32 s0, s0, s24
	s_mul_i32 s3, s17, s8
	s_mul_i32 s0, s0, s16
	s_mul_hi_u32 s16, s3, 36
	s_mul_i32 s3, s3, 36
	s_waitcnt lgkmcnt(0)
	s_add_u32 s3, s22, s3
	s_mul_i32 s1, s1, s7
	s_addc_u32 s17, s23, s16
	s_mul_hi_u32 s19, s1, 36
	s_mul_i32 s1, s1, 36
	s_add_u32 s16, s3, s1
	s_addc_u32 s17, s17, s19
	s_add_i32 s19, s6, 1
	v_bfe_u32 v4, v0, 2, 2
	s_mul_i32 s3, s6, s12
	s_mul_i32 s12, s12, s19
	v_mul_hi_u32_u24_e32 v5, 0x48, v4
	v_mul_u32_u24_e32 v4, 0x48, v4
	s_movk_i32 s19, 0x120
	v_mad_u64_u32 v[4:5], s[22:23], v20, s19, v[4:5]
	v_lshlrev_b32_e32 v2, 1, v0
	v_bfe_u32 v21, v2, 3, 2
	v_and_b32_e32 v3, 30, v2
	v_lshlrev_b32_e32 v25, 1, v21
	s_add_i32 s15, s0, s15
	v_cmp_lt_u32_e64 s[0:1], 15, v3
	v_mad_u64_u32 v[2:3], s[22:23], v25, 36, s[16:17]
	v_mov_b32_e32 v6, s17
	v_add_co_u32_e32 v4, vcc, s16, v4
	v_addc_co_u32_e32 v5, vcc, v6, v5, vcc
	v_lshlrev_b32_e32 v6, 3, v20
	v_mov_b32_e32 v16, 0
	v_and_b32_e32 v23, 3, v0
	v_add_co_u32_e32 v4, vcc, 36, v4
	v_lshl_add_u32 v26, s13, 1, v6
	v_add_u32_e32 v27, s13, v6
	v_mov_b32_e32 v6, s20
	v_lshlrev_b32_e32 v22, 5, v21
	v_lshlrev_b32_e32 v24, 2, v23
	s_add_i32 s3, s15, s3
	s_add_i32 s15, s15, s12
	v_addc_co_u32_e32 v5, vcc, 0, v5, vcc
	s_mov_b64 s[12:13], 0
	s_movk_i32 s19, 0xb0
	s_mov_b32 s22, 0x5040100
	s_mov_b32 s23, 0x20004
	;; [unrolled: 1-line block ×6, first 2 shown]
	v_mov_b32_e32 v7, s21
	v_mov_b32_e32 v18, 0
	;; [unrolled: 1-line block ×6, first 2 shown]
	s_branch .LBB138_3
.LBB138_2:                              ;   in Loop: Header=BB138_3 Depth=1
	s_andn2_saveexec_b64 s[16:17], s[16:17]
	s_or_b64 exec, exec, s[16:17]
	s_waitcnt vmcnt(18)
	v_ashrrev_i32_e32 v10, v25, v41
	v_ashrrev_i32_e32 v11, v25, v40
	v_and_b32_e32 v41, 0xf0f0f0f, v38
	v_lshlrev_b32_e32 v66, 4, v10
	v_and_b32_e32 v40, 0xf0f0f0f, v39
	v_lshlrev_b32_e32 v65, 4, v11
	v_and_or_b32 v41, v66, s26, v41
	v_lshrrev_b32_e32 v39, 4, v39
	v_lshrrev_b32_e32 v38, 4, v38
	s_waitcnt vmcnt(3)
	v_dot4_i32_i8 v8, s25, v58, 0
	v_and_or_b32 v40, v65, s26, v40
	v_and_b32_e32 v39, 0xf0f0f0f, v39
	v_and_b32_e32 v38, 0xf0f0f0f, v38
	v_lshlrev_b32_e32 v11, 3, v11
	v_lshlrev_b32_e32 v10, 3, v10
	v_dot4_i32_i8 v66, v41, v58, 0
	v_dot4_i32_i8 v8, s25, v57, v8
	s_waitcnt vmcnt(1)
	v_dot4_i32_i8 v9, s25, v56, 0
	v_and_or_b32 v11, v11, s26, v39
	v_and_or_b32 v10, v10, s26, v38
	v_lshrrev_b16_e32 v39, 8, v64
	v_lshrrev_b16_e32 v65, 8, v63
	v_dot4_i32_i8 v66, v40, v57, v66
	v_and_b32_sdwa v63, s27, v63 dst_sel:DWORD dst_unused:UNUSED_PAD src0_sel:DWORD src1_sel:BYTE_0
	v_and_b32_sdwa v64, s27, v64 dst_sel:DWORD dst_unused:UNUSED_PAD src0_sel:DWORD src1_sel:BYTE_0
	v_dot4_i32_i8 v9, s25, v55, v9
	v_mul_lo_u32 v63, v66, v63
	v_mul_lo_u32 v64, v8, v64
	v_dot4_i32_i8 v66, v10, v56, 0
	v_dot4_i32_i8 v66, v11, v55, v66
	v_mul_lo_u32 v39, v9, v39
	v_mul_lo_u32 v65, v66, v65
	v_cvt_f32_i32_e32 v64, v64
	v_cvt_f32_i32_e32 v63, v63
	v_cvt_f32_i32_e32 v39, v39
	v_cvt_f32_f16_sdwa v38, v35 dst_sel:DWORD dst_unused:UNUSED_PAD src0_sel:WORD_1
	v_cvt_f32_i32_e32 v65, v65
	v_fma_mix_f32 v64, v48, v64, 0 op_sel_hi:[1,0,0]
	v_fma_mix_f32 v63, v48, v63, 0 op_sel_hi:[1,0,0]
	s_waitcnt vmcnt(0)
	v_fma_mix_f32 v39, v50, v39, v64 op_sel_hi:[1,0,0]
	v_ashrrev_i32_e32 v45, v25, v45
	v_fma_mix_f32 v63, v50, v65, v63 op_sel_hi:[1,0,0]
	v_mul_f32_e32 v39, v39, v38
	v_ashrrev_i32_e32 v44, v25, v44
	v_and_b32_e32 v65, 0xf0f0f0f, v42
	v_lshlrev_b32_e32 v67, 4, v45
	v_fma_mix_f32 v39, v63, v35, -v39 op_sel_hi:[0,1,0]
	v_and_b32_e32 v64, 0xf0f0f0f, v43
	v_lshlrev_b32_e32 v66, 4, v44
	v_and_or_b32 v65, v67, s26, v65
	v_lshrrev_b32_e32 v42, 4, v42
	v_add_f32_e32 v15, v15, v39
	v_dot4_i32_i8 v39, s25, v54, 0
	v_and_or_b32 v64, v66, s26, v64
	v_lshrrev_b32_e32 v43, 4, v43
	v_and_b32_e32 v42, 0xf0f0f0f, v42
	v_lshlrev_b32_e32 v45, 3, v45
	v_dot4_i32_i8 v67, v65, v54, 0
	v_dot4_i32_i8 v39, s25, v53, v39
	;; [unrolled: 1-line block ×3, first 2 shown]
	v_and_b32_e32 v43, 0xf0f0f0f, v43
	v_lshlrev_b32_e32 v44, 3, v44
	v_and_or_b32 v42, v45, s26, v42
	v_lshrrev_b16_e32 v45, 8, v61
	v_lshrrev_b16_e32 v66, 8, v62
	v_dot4_i32_i8 v67, v64, v53, v67
	v_and_b32_sdwa v62, s27, v62 dst_sel:DWORD dst_unused:UNUSED_PAD src0_sel:DWORD src1_sel:BYTE_0
	v_and_b32_sdwa v61, s27, v61 dst_sel:DWORD dst_unused:UNUSED_PAD src0_sel:DWORD src1_sel:BYTE_0
	v_dot4_i32_i8 v63, s25, v49, v63
	v_and_or_b32 v43, v44, s26, v43
	v_mul_lo_u32 v62, v67, v62
	v_mul_lo_u32 v61, v39, v61
	v_dot4_i32_i8 v67, v42, v51, 0
	v_dot4_i32_i8 v67, v43, v49, v67
	v_mul_lo_u32 v45, v63, v45
	v_mul_lo_u32 v66, v67, v66
	v_cvt_f32_i32_e32 v61, v61
	v_cvt_f32_i32_e32 v62, v62
	v_cvt_f32_i32_e32 v45, v45
	v_cvt_f32_f16_sdwa v44, v12 dst_sel:DWORD dst_unused:UNUSED_PAD src0_sel:WORD_1
	v_cvt_f32_i32_e32 v66, v66
	v_fma_mix_f32 v61, v13, v61, 0 op_sel_hi:[1,0,0]
	v_fma_mix_f32 v62, v13, v62, 0 op_sel_hi:[1,0,0]
	;; [unrolled: 1-line block ×3, first 2 shown]
	v_dot4_i32_i8 v54, v41, v54, 0
	v_fma_mix_f32 v62, v47, v66, v62 op_sel_hi:[1,0,0]
	v_mul_f32_e32 v45, v45, v44
	v_dot4_i32_i8 v53, v40, v53, v54
	v_and_b32_sdwa v54, s27, v60 dst_sel:DWORD dst_unused:UNUSED_PAD src0_sel:DWORD src1_sel:BYTE_0
	v_fma_mix_f32 v45, v62, v12, -v45 op_sel_hi:[0,1,0]
	v_mul_lo_u32 v53, v53, v54
	v_and_b32_sdwa v54, s27, v59 dst_sel:DWORD dst_unused:UNUSED_PAD src0_sel:DWORD src1_sel:BYTE_0
	v_add_f32_e32 v17, v17, v45
	v_lshrrev_b16_e32 v45, 8, v59
	v_mul_lo_u32 v39, v39, v54
	v_dot4_i32_i8 v51, v10, v51, 0
	v_lshrrev_b16_e32 v61, 8, v60
	v_dot4_i32_i8 v49, v11, v49, v51
	v_mul_lo_u32 v45, v63, v45
	v_mul_lo_u32 v49, v49, v61
	v_cvt_f32_i32_e32 v51, v53
	v_cvt_f32_i32_e32 v39, v39
	;; [unrolled: 1-line block ×4, first 2 shown]
	v_fma_mix_f32 v51, v13, v51, 0 op_sel_hi:[1,0,0]
	v_fma_mix_f32 v13, v13, v39, 0 op_sel_hi:[1,0,0]
	;; [unrolled: 1-line block ×4, first 2 shown]
	v_mul_f32_e32 v13, v13, v38
	v_fma_mix_f32 v13, v39, v35, -v13 op_sel_hi:[0,1,0]
	v_add_f32_e32 v16, v16, v13
	v_dot4_i32_i8 v13, s25, v33, 0
	v_dot4_i32_i8 v49, v65, v33, 0
	;; [unrolled: 1-line block ×4, first 2 shown]
	v_lshrrev_b16_e32 v45, 8, v36
	v_lshrrev_b16_e32 v47, 8, v37
	v_dot4_i32_i8 v49, v64, v32, v49
	v_and_b32_sdwa v37, s27, v37 dst_sel:DWORD dst_unused:UNUSED_PAD src0_sel:DWORD src1_sel:BYTE_0
	v_and_b32_sdwa v36, s27, v36 dst_sel:DWORD dst_unused:UNUSED_PAD src0_sel:DWORD src1_sel:BYTE_0
	v_dot4_i32_i8 v39, s25, v30, v39
	v_mul_lo_u32 v37, v49, v37
	v_mul_lo_u32 v36, v13, v36
	v_dot4_i32_i8 v49, v42, v31, 0
	v_dot4_i32_i8 v49, v43, v30, v49
	v_mul_lo_u32 v45, v39, v45
	v_mul_lo_u32 v47, v49, v47
	v_cvt_f32_i32_e32 v36, v36
	v_cvt_f32_i32_e32 v37, v37
	;; [unrolled: 1-line block ×4, first 2 shown]
	v_fma_mix_f32 v36, v28, v36, 0 op_sel_hi:[1,0,0]
	v_fma_mix_f32 v37, v28, v37, 0 op_sel_hi:[1,0,0]
	v_fma_mix_f32 v36, v29, v45, v36 op_sel_hi:[1,0,0]
	v_dot4_i32_i8 v33, v41, v33, 0
	v_fma_mix_f32 v37, v29, v47, v37 op_sel_hi:[1,0,0]
	v_mul_f32_e32 v36, v36, v44
	v_dot4_i32_i8 v32, v40, v32, v33
	v_bfe_u32 v33, v34, 16, 8
	v_fma_mix_f32 v36, v37, v12, -v36 op_sel_hi:[0,1,0]
	v_mul_lo_u32 v32, v32, v33
	v_and_b32_e32 v33, 0xff, v34
	v_add_f32_e32 v18, v18, v36
	v_lshrrev_b16_e32 v36, 8, v34
	v_mul_lo_u32 v13, v13, v33
	v_dot4_i32_i8 v10, v10, v31, 0
	v_lshrrev_b32_e32 v37, 24, v34
	v_dot4_i32_i8 v10, v11, v30, v10
	v_mul_lo_u32 v11, v39, v36
	v_mul_lo_u32 v10, v10, v37
	v_cvt_f32_i32_e32 v13, v13
	v_cvt_f32_i32_e32 v30, v32
	;; [unrolled: 1-line block ×4, first 2 shown]
	v_fma_mix_f32 v13, v28, v13, 0 op_sel_hi:[1,0,0]
	v_fma_mix_f32 v30, v28, v30, 0 op_sel_hi:[1,0,0]
	;; [unrolled: 1-line block ×4, first 2 shown]
	v_mul_f32_e32 v11, v11, v38
	v_fma_mix_f32 v10, v10, v35, -v11 op_sel_hi:[0,1,0]
	v_dot4_i32_i8 v11, v65, v58, 0
	v_and_b32_sdwa v13, s27, v52 dst_sel:DWORD dst_unused:UNUSED_PAD src0_sel:DWORD src1_sel:BYTE_0
	v_add_f32_e32 v19, v19, v10
	v_lshrrev_b16_e32 v10, 8, v52
	v_dot4_i32_i8 v11, v64, v57, v11
	v_mul_lo_u32 v8, v8, v13
	v_dot4_i32_i8 v13, v42, v56, 0
	v_and_b32_sdwa v29, s27, v46 dst_sel:DWORD dst_unused:UNUSED_PAD src0_sel:DWORD src1_sel:BYTE_0
	v_dot4_i32_i8 v13, v43, v55, v13
	v_lshrrev_b16_e32 v28, 8, v46
	v_mul_lo_u32 v11, v11, v29
	v_mul_lo_u32 v9, v9, v10
	;; [unrolled: 1-line block ×3, first 2 shown]
	v_cvt_f32_i32_e32 v8, v8
	v_cvt_f32_i32_e32 v10, v11
	;; [unrolled: 1-line block ×4, first 2 shown]
	v_fma_mix_f32 v8, v48, v8, 0 op_sel_hi:[1,0,0]
	v_fma_mix_f32 v10, v48, v10, 0 op_sel_hi:[1,0,0]
	;; [unrolled: 1-line block ×3, first 2 shown]
	v_add_co_u32_e32 v4, vcc, 0x900, v4
	v_fma_mix_f32 v10, v50, v11, v10 op_sel_hi:[1,0,0]
	v_mul_f32_e32 v8, v8, v44
	v_add_u32_e32 v20, 8, v20
	v_addc_co_u32_e32 v5, vcc, 0, v5, vcc
	v_fma_mix_f32 v8, v10, v12, -v8 op_sel_hi:[0,1,0]
	v_cmp_le_u32_e32 vcc, s9, v20
	v_add_f32_e32 v14, v14, v8
	v_add_u32_e32 v26, 64, v26
	s_or_b64 s[12:13], vcc, s[12:13]
	v_add_u32_e32 v27, 64, v27
	s_andn2_b64 exec, exec, s[12:13]
	s_cbranch_execz .LBB138_23
.LBB138_3:                              ; =>This Inner Loop Header: Depth=1
	v_add_u32_e32 v10, s3, v20
	v_mad_i64_i32 v[10:11], s[16:17], v10, s19, v[6:7]
	v_add_co_u32_e32 v8, vcc, v4, v24
	v_addc_co_u32_e32 v9, vcc, 0, v5, vcc
	global_load_dword v28, v[4:5], off offset:-36
	global_load_dword v29, v[4:5], off
	global_load_dword v32, v[8:9], off offset:-32
	global_load_dword v33, v[8:9], off offset:-16
	global_load_dword v30, v[8:9], off offset:4
	global_load_dword v31, v[8:9], off offset:20
	v_add_co_u32_e32 v8, vcc, v10, v22
	v_addc_co_u32_e32 v9, vcc, 0, v11, vcc
	v_add_co_u32_e32 v8, vcc, v8, v24
	v_addc_co_u32_e32 v9, vcc, 0, v9, vcc
	;; [unrolled: 2-line block ×3, first 2 shown]
	global_load_dword v39, v[8:9], off offset:48
	global_load_dword v38, v[8:9], off offset:64
	;; [unrolled: 1-line block ×4, first 2 shown]
	v_lshlrev_b32_e32 v36, 1, v21
	v_add_co_u32_e32 v8, vcc, v10, v36
	v_addc_co_u32_e32 v9, vcc, 0, v11, vcc
                                        ; implicit-def: $vgpr34
                                        ; implicit-def: $vgpr46
                                        ; implicit-def: $vgpr48
	s_and_saveexec_b64 s[16:17], s[0:1]
	s_xor_b64 s[16:17], exec, s[16:17]
	s_cbranch_execz .LBB138_5
; %bb.4:                                ;   in Loop: Header=BB138_3 Depth=1
	global_load_ushort v12, v[8:9], off
	global_load_ushort v46, v[8:9], off offset:8
	global_load_ushort v48, v[8:9], off offset:4
	s_waitcnt vmcnt(1)
	v_perm_b32 v12, v12, v46, s22
	s_waitcnt vmcnt(0)
	v_perm_b32 v13, v46, v48, s22
	v_pk_lshrrev_b16 v13, 2, v13
	v_pk_lshrrev_b16 v12, s23, v12
	v_and_b32_e32 v13, 0xf0f3030, v13
	v_and_or_b32 v34, v12, s24, v13
.LBB138_5:                              ;   in Loop: Header=BB138_3 Depth=1
	s_andn2_saveexec_b64 s[16:17], s[16:17]
	s_cbranch_execz .LBB138_7
; %bb.6:                                ;   in Loop: Header=BB138_3 Depth=1
	global_load_ushort v48, v[8:9], off offset:4
	global_load_ushort v46, v[8:9], off offset:8
	s_waitcnt vmcnt(0)
	v_perm_b32 v12, v48, v46, s22
	v_and_b32_e32 v34, 0x3f3f3f3f, v12
.LBB138_7:                              ;   in Loop: Header=BB138_3 Depth=1
	s_or_b64 exec, exec, s[16:17]
	v_mov_b32_e32 v12, s20
	v_add_u32_e32 v35, s15, v20
	v_mov_b32_e32 v13, s21
	v_mad_i64_i32 v[12:13], s[16:17], v35, s19, v[12:13]
                                        ; implicit-def: $vgpr55
	v_add_co_u32_e32 v35, vcc, v12, v22
	v_addc_co_u32_e32 v37, vcc, 0, v13, vcc
	v_add_co_u32_e32 v49, vcc, v35, v24
	v_addc_co_u32_e32 v50, vcc, 0, v37, vcc
	;; [unrolled: 2-line block ×3, first 2 shown]
	global_load_dword v35, v[10:11], off
	global_load_dword v43, v[49:50], off offset:48
	global_load_dword v42, v[49:50], off offset:64
	;; [unrolled: 1-line block ×4, first 2 shown]
	v_add_co_u32_e32 v10, vcc, v12, v36
	v_addc_co_u32_e32 v11, vcc, 0, v13, vcc
                                        ; implicit-def: $vgpr37
                                        ; implicit-def: $vgpr36
                                        ; implicit-def: $vgpr50
	s_and_saveexec_b64 s[16:17], s[0:1]
	s_xor_b64 s[16:17], exec, s[16:17]
	s_cbranch_execz .LBB138_9
; %bb.8:                                ;   in Loop: Header=BB138_3 Depth=1
	global_load_ushort v50, v[10:11], off offset:8
	global_load_ushort v36, v[10:11], off
	global_load_ushort v55, v[10:11], off offset:4
	s_waitcnt vmcnt(2)
	v_lshrrev_b16_e32 v47, 4, v50
	s_waitcnt vmcnt(1)
	v_lshrrev_b16_e32 v36, 2, v36
	s_waitcnt vmcnt(0)
	v_lshrrev_b16_e32 v49, 2, v55
	v_and_b32_e32 v37, 0xf0f, v50
	v_and_b32_e32 v36, 0x3030, v36
	;; [unrolled: 1-line block ×4, first 2 shown]
	v_or_b32_e32 v37, v36, v37
	v_or_b32_e32 v36, v49, v47
.LBB138_9:                              ;   in Loop: Header=BB138_3 Depth=1
	s_andn2_saveexec_b64 s[16:17], s[16:17]
	s_cbranch_execz .LBB138_11
; %bb.10:                               ;   in Loop: Header=BB138_3 Depth=1
	global_load_ushort v55, v[10:11], off offset:4
	global_load_ushort v50, v[10:11], off offset:8
	s_waitcnt vmcnt(1)
	v_and_b32_e32 v37, 0x3f3f, v55
	s_waitcnt vmcnt(0)
	v_and_b32_e32 v36, 0x3f3f, v50
.LBB138_11:                             ;   in Loop: Header=BB138_3 Depth=1
	s_or_b64 exec, exec, s[16:17]
	v_mad_u64_u32 v[57:58], s[16:17], v27, 36, v[2:3]
	v_lshlrev_b32_e32 v56, 2, v23
	global_load_dword v12, v[12:13], off
	v_add_co_u32_e32 v59, vcc, v57, v56
	v_addc_co_u32_e32 v60, vcc, 0, v58, vcc
	global_load_dword v13, v[57:58], off
	global_load_dword v53, v[59:60], off offset:4
	global_load_dword v54, v[59:60], off offset:20
	global_load_dword v49, v[59:60], off offset:40
	global_load_dword v51, v[59:60], off offset:56
	global_load_dword v47, v[57:58], off offset:36
	v_lshrrev_b16_e32 v52, 4, v46
	v_lshrrev_b16_e32 v57, 2, v48
	v_and_b32_e32 v65, 0xf0f, v46
	v_and_b32_e32 v66, 0xf0f, v52
	;; [unrolled: 1-line block ×3, first 2 shown]
                                        ; implicit-def: $vgpr60
                                        ; implicit-def: $vgpr59
	s_and_saveexec_b64 s[16:17], s[0:1]
	s_xor_b64 s[16:17], exec, s[16:17]
	s_cbranch_execz .LBB138_13
; %bb.12:                               ;   in Loop: Header=BB138_3 Depth=1
	global_load_ushort v52, v[8:9], off
	v_or_b32_e32 v59, v67, v66
	s_waitcnt vmcnt(0)
	v_lshrrev_b16_e32 v52, 2, v52
	v_and_b32_e32 v52, 0x3030, v52
	v_or_b32_e32 v60, v52, v65
.LBB138_13:                             ;   in Loop: Header=BB138_3 Depth=1
	s_or_saveexec_b64 s[16:17], s[16:17]
	v_and_b32_e32 v63, 0x3f3f, v48
	v_and_b32_e32 v64, 0x3f3f, v46
	s_xor_b64 exec, exec, s[16:17]
; %bb.14:                               ;   in Loop: Header=BB138_3 Depth=1
	v_and_b32_e32 v60, 0x3f3f, v48
	v_and_b32_e32 v59, 0x3f3f, v46
; %bb.15:                               ;   in Loop: Header=BB138_3 Depth=1
	s_or_b64 exec, exec, s[16:17]
	v_lshrrev_b16_e32 v46, 4, v50
	v_lshrrev_b16_e32 v48, 2, v55
	v_and_b32_e32 v68, 0xf0f, v50
	v_and_b32_e32 v69, 0xf0f, v46
	;; [unrolled: 1-line block ×3, first 2 shown]
                                        ; implicit-def: $vgpr62
                                        ; implicit-def: $vgpr61
	s_and_saveexec_b64 s[16:17], s[0:1]
	s_xor_b64 s[16:17], exec, s[16:17]
	s_cbranch_execz .LBB138_17
; %bb.16:                               ;   in Loop: Header=BB138_3 Depth=1
	global_load_ushort v46, v[10:11], off
	v_or_b32_e32 v61, v70, v69
	s_waitcnt vmcnt(0)
	v_lshrrev_b16_e32 v46, 2, v46
	v_and_b32_e32 v46, 0x3030, v46
	v_or_b32_e32 v62, v46, v68
.LBB138_17:                             ;   in Loop: Header=BB138_3 Depth=1
	s_or_saveexec_b64 s[16:17], s[16:17]
	v_and_b32_e32 v46, 0x3f3f, v55
	v_and_b32_e32 v52, 0x3f3f, v50
	s_xor_b64 exec, exec, s[16:17]
; %bb.18:                               ;   in Loop: Header=BB138_3 Depth=1
	v_and_b32_e32 v62, 0x3f3f, v55
	v_and_b32_e32 v61, 0x3f3f, v50
; %bb.19:                               ;   in Loop: Header=BB138_3 Depth=1
	s_or_b64 exec, exec, s[16:17]
	v_mad_u64_u32 v[71:72], s[16:17], v26, 36, v[2:3]
	v_add_co_u32_e32 v73, vcc, v71, v56
	v_addc_co_u32_e32 v74, vcc, 0, v72, vcc
	global_load_dword v48, v[71:72], off
	global_load_dword v57, v[73:74], off offset:4
	global_load_dword v58, v[73:74], off offset:20
	;; [unrolled: 1-line block ×5, first 2 shown]
	s_and_saveexec_b64 s[16:17], s[0:1]
	s_xor_b64 s[16:17], exec, s[16:17]
	s_cbranch_execz .LBB138_21
; %bb.20:                               ;   in Loop: Header=BB138_3 Depth=1
	global_load_ushort v8, v[8:9], off
	v_or_b32_e32 v64, v67, v66
	s_waitcnt vmcnt(0)
	v_lshrrev_b16_e32 v8, 2, v8
	v_and_b32_e32 v8, 0x3030, v8
	v_or_b32_e32 v63, v8, v65
.LBB138_21:                             ;   in Loop: Header=BB138_3 Depth=1
	s_andn2_saveexec_b64 s[16:17], s[16:17]
	s_or_b64 exec, exec, s[16:17]
	s_and_saveexec_b64 s[16:17], s[0:1]
	s_xor_b64 s[16:17], exec, s[16:17]
	s_cbranch_execz .LBB138_2
; %bb.22:                               ;   in Loop: Header=BB138_3 Depth=1
	global_load_ushort v8, v[10:11], off
	v_or_b32_e32 v52, v70, v69
	s_waitcnt vmcnt(0)
	v_lshrrev_b16_e32 v8, 2, v8
	v_and_b32_e32 v8, 0x3030, v8
	v_or_b32_e32 v46, v8, v68
	s_branch .LBB138_2
.LBB138_23:
	s_or_b64 exec, exec, s[12:13]
.LBB138_24:
	s_or_b64 exec, exec, s[10:11]
	v_cmp_eq_u32_e32 vcc, 0, v1
	v_cmp_ne_u32_e64 s[0:1], 0, v1
	s_and_saveexec_b64 s[10:11], s[0:1]
	s_cbranch_execz .LBB138_26
; %bb.25:
	v_mul_u32_u24_e32 v1, 0x600, v1
	v_lshl_or_b32 v1, v0, 2, v1
	v_add_u32_e32 v1, 0xfffffa00, v1
	ds_write2st64_b32 v1, v19, v18 offset1:1
	ds_write2st64_b32 v1, v16, v17 offset0:2 offset1:3
	ds_write2st64_b32 v1, v15, v14 offset0:4 offset1:5
.LBB138_26:
	s_or_b64 exec, exec, s[10:11]
	s_waitcnt lgkmcnt(0)
	s_barrier
	s_and_saveexec_b64 s[0:1], vcc
	s_cbranch_execz .LBB138_33
; %bb.27:
	v_lshlrev_b32_e32 v3, 2, v0
	v_mbcnt_lo_u32_b32 v1, -1, 0
	v_mbcnt_hi_u32_b32 v7, -1, v1
	ds_read2st64_b32 v[5:6], v3 offset1:1
	v_and_b32_e32 v1, 64, v7
	v_add_u32_e32 v8, 64, v1
	v_xor_b32_e32 v1, 32, v7
	v_cmp_lt_i32_e32 vcc, v1, v8
	v_cndmask_b32_e32 v1, v7, v1, vcc
	v_lshlrev_b32_e32 v1, 2, v1
	s_waitcnt lgkmcnt(0)
	v_add_f32_e32 v10, v5, v19
	v_add_f32_e32 v6, v6, v18
	ds_bpermute_b32 v11, v1, v10
	ds_bpermute_b32 v12, v1, v6
	v_xor_b32_e32 v2, 16, v7
	v_cmp_lt_i32_e32 vcc, v2, v8
	v_cndmask_b32_e32 v2, v7, v2, vcc
	v_lshlrev_b32_e32 v2, 2, v2
	s_waitcnt lgkmcnt(1)
	v_add_f32_e32 v10, v10, v11
	s_waitcnt lgkmcnt(0)
	v_add_f32_e32 v6, v6, v12
	ds_bpermute_b32 v11, v2, v10
	ds_bpermute_b32 v12, v2, v6
	v_xor_b32_e32 v4, 8, v7
	v_cmp_lt_i32_e32 vcc, v4, v8
	v_cndmask_b32_e32 v4, v7, v4, vcc
	v_lshlrev_b32_e32 v4, 2, v4
	s_waitcnt lgkmcnt(1)
	v_add_f32_e32 v10, v10, v11
	s_waitcnt lgkmcnt(0)
	;; [unrolled: 10-line block ×3, first 2 shown]
	v_add_f32_e32 v12, v12, v13
	ds_bpermute_b32 v11, v5, v10
	ds_bpermute_b32 v13, v5, v12
	v_xor_b32_e32 v9, 2, v7
	v_cmp_lt_i32_e32 vcc, v9, v8
	v_cndmask_b32_e32 v9, v7, v9, vcc
	v_lshlrev_b32_e32 v6, 2, v9
	v_xor_b32_e32 v9, 1, v7
	v_cmp_lt_i32_e32 vcc, v9, v8
	s_waitcnt lgkmcnt(1)
	v_add_f32_e32 v8, v10, v11
	s_waitcnt lgkmcnt(0)
	v_add_f32_e32 v11, v12, v13
	ds_bpermute_b32 v10, v6, v8
	ds_bpermute_b32 v12, v6, v11
	s_load_dwordx2 s[0:1], s[4:5], 0x38
	v_cndmask_b32_e32 v7, v7, v9, vcc
	s_mul_i32 s2, s2, s7
	v_lshlrev_b32_e32 v9, 2, v7
	s_waitcnt lgkmcnt(0)
	v_add_f32_e32 v7, v8, v10
	v_add_f32_e32 v10, v11, v12
	s_mul_i32 s3, s18, s8
	s_add_i32 s2, s2, s6
	ds_bpermute_b32 v8, v9, v7
	ds_bpermute_b32 v11, v9, v10
	s_add_i32 s2, s2, s3
	s_mov_b32 s3, 0
	s_lshl_b64 s[2:3], s[2:3], 2
	s_add_u32 s2, s0, s2
	v_add_u32_e32 v12, s6, v0
	s_addc_u32 s3, s1, s3
	v_cmp_gt_u32_e32 vcc, 2, v0
	v_cmp_gt_u32_e64 s[0:1], s14, v12
	s_and_b64 s[0:1], vcc, s[0:1]
	s_waitcnt lgkmcnt(1)
	v_add_f32_e32 v7, v7, v8
	s_waitcnt lgkmcnt(0)
	v_add_f32_e32 v8, v10, v11
	s_and_saveexec_b64 s[4:5], s[0:1]
	s_cbranch_execz .LBB138_29
; %bb.28:
	v_cmp_eq_u32_e32 vcc, 1, v0
	v_cndmask_b32_e32 v10, v7, v8, vcc
	v_cmp_eq_u32_e32 vcc, 2, v0
	v_cndmask_b32_e32 v10, v10, v16, vcc
	;; [unrolled: 2-line block ×5, first 2 shown]
	global_store_dword v3, v10, s[2:3]
.LBB138_29:
	s_or_b64 exec, exec, s[4:5]
	ds_read2st64_b32 v[10:11], v3 offset0:2 offset1:3
	s_waitcnt lgkmcnt(0)
	v_add_f32_e32 v10, v10, v16
	v_add_f32_e32 v11, v11, v17
	ds_bpermute_b32 v12, v1, v10
	ds_bpermute_b32 v13, v1, v11
	s_waitcnt lgkmcnt(1)
	v_add_f32_e32 v10, v10, v12
	s_waitcnt lgkmcnt(0)
	v_add_f32_e32 v11, v11, v13
	ds_bpermute_b32 v12, v2, v10
	ds_bpermute_b32 v13, v2, v11
	s_waitcnt lgkmcnt(1)
	v_add_f32_e32 v10, v10, v12
	s_waitcnt lgkmcnt(0)
	;; [unrolled: 6-line block ×6, first 2 shown]
	v_add_f32_e32 v10, v12, v13
	s_and_saveexec_b64 s[4:5], s[0:1]
	s_cbranch_execz .LBB138_31
; %bb.30:
	v_add_u32_e32 v12, 2, v0
	v_cmp_eq_u32_e32 vcc, 1, v12
	v_cndmask_b32_e32 v13, v7, v8, vcc
	v_cmp_eq_u32_e32 vcc, 2, v12
	v_cndmask_b32_e32 v13, v13, v11, vcc
	;; [unrolled: 2-line block ×5, first 2 shown]
	v_add_u32_e32 v12, s14, v0
	v_mov_b32_e32 v13, 0
	v_lshlrev_b64 v[12:13], 2, v[12:13]
	v_mov_b32_e32 v17, s3
	v_add_co_u32_e32 v12, vcc, s2, v12
	v_addc_co_u32_e32 v13, vcc, v17, v13, vcc
	global_store_dword v[12:13], v16, off
.LBB138_31:
	s_or_b64 exec, exec, s[4:5]
	ds_read2st64_b32 v[12:13], v3 offset0:4 offset1:5
	s_waitcnt lgkmcnt(0)
	v_add_f32_e32 v3, v12, v15
	v_add_f32_e32 v12, v13, v14
	ds_bpermute_b32 v13, v1, v3
	ds_bpermute_b32 v1, v1, v12
	s_waitcnt lgkmcnt(1)
	v_add_f32_e32 v3, v3, v13
	s_waitcnt lgkmcnt(0)
	v_add_f32_e32 v1, v12, v1
	ds_bpermute_b32 v12, v2, v3
	ds_bpermute_b32 v2, v2, v1
	s_waitcnt lgkmcnt(1)
	v_add_f32_e32 v3, v3, v12
	s_waitcnt lgkmcnt(0)
	;; [unrolled: 6-line block ×5, first 2 shown]
	v_add_f32_e32 v2, v3, v4
	ds_bpermute_b32 v3, v9, v1
	ds_bpermute_b32 v4, v9, v2
	s_and_b64 exec, exec, s[0:1]
	s_cbranch_execz .LBB138_33
; %bb.32:
	s_waitcnt lgkmcnt(1)
	v_add_f32_e32 v1, v1, v3
	v_add_u32_e32 v3, 4, v0
	v_cmp_eq_u32_e32 vcc, 1, v3
	s_waitcnt lgkmcnt(0)
	v_add_f32_e32 v2, v2, v4
	v_cndmask_b32_e32 v4, v7, v8, vcc
	v_cmp_eq_u32_e32 vcc, 2, v3
	v_cndmask_b32_e32 v4, v4, v11, vcc
	v_cmp_eq_u32_e32 vcc, 3, v3
	;; [unrolled: 2-line block ×4, first 2 shown]
	v_cndmask_b32_e32 v2, v1, v2, vcc
	v_lshl_or_b32 v0, s14, 1, v0
	v_mov_b32_e32 v1, 0
	v_lshlrev_b64 v[0:1], 2, v[0:1]
	v_mov_b32_e32 v3, s3
	v_add_co_u32_e32 v0, vcc, s2, v0
	v_addc_co_u32_e32 v1, vcc, v3, v1, vcc
	global_store_dword v[0:1], v2, off
.LBB138_33:
	s_endpgm
	.section	.rodata,"a",@progbits
	.p2align	6, 0x0
	.amdhsa_kernel _ZL13mul_mat_vec_qIL9ggml_type13ELi3ELb0ELb0EEvPKvS2_PKi31ggml_cuda_mm_fusion_args_devicePfj15HIP_vector_typeIjLj3EEjjjS8_jjjS8_jjjj
		.amdhsa_group_segment_fixed_size 1536
		.amdhsa_private_segment_fixed_size 0
		.amdhsa_kernarg_size 144
		.amdhsa_user_sgpr_count 6
		.amdhsa_user_sgpr_private_segment_buffer 1
		.amdhsa_user_sgpr_dispatch_ptr 0
		.amdhsa_user_sgpr_queue_ptr 0
		.amdhsa_user_sgpr_kernarg_segment_ptr 1
		.amdhsa_user_sgpr_dispatch_id 0
		.amdhsa_user_sgpr_flat_scratch_init 0
		.amdhsa_user_sgpr_private_segment_size 0
		.amdhsa_uses_dynamic_stack 0
		.amdhsa_system_sgpr_private_segment_wavefront_offset 0
		.amdhsa_system_sgpr_workgroup_id_x 1
		.amdhsa_system_sgpr_workgroup_id_y 1
		.amdhsa_system_sgpr_workgroup_id_z 1
		.amdhsa_system_sgpr_workgroup_info 0
		.amdhsa_system_vgpr_workitem_id 1
		.amdhsa_next_free_vgpr 75
		.amdhsa_next_free_sgpr 28
		.amdhsa_reserve_vcc 1
		.amdhsa_reserve_flat_scratch 0
		.amdhsa_float_round_mode_32 0
		.amdhsa_float_round_mode_16_64 0
		.amdhsa_float_denorm_mode_32 3
		.amdhsa_float_denorm_mode_16_64 3
		.amdhsa_dx10_clamp 1
		.amdhsa_ieee_mode 1
		.amdhsa_fp16_overflow 0
		.amdhsa_exception_fp_ieee_invalid_op 0
		.amdhsa_exception_fp_denorm_src 0
		.amdhsa_exception_fp_ieee_div_zero 0
		.amdhsa_exception_fp_ieee_overflow 0
		.amdhsa_exception_fp_ieee_underflow 0
		.amdhsa_exception_fp_ieee_inexact 0
		.amdhsa_exception_int_div_zero 0
	.end_amdhsa_kernel
	.section	.text._ZL13mul_mat_vec_qIL9ggml_type13ELi3ELb0ELb0EEvPKvS2_PKi31ggml_cuda_mm_fusion_args_devicePfj15HIP_vector_typeIjLj3EEjjjS8_jjjS8_jjjj,"axG",@progbits,_ZL13mul_mat_vec_qIL9ggml_type13ELi3ELb0ELb0EEvPKvS2_PKi31ggml_cuda_mm_fusion_args_devicePfj15HIP_vector_typeIjLj3EEjjjS8_jjjS8_jjjj,comdat
.Lfunc_end138:
	.size	_ZL13mul_mat_vec_qIL9ggml_type13ELi3ELb0ELb0EEvPKvS2_PKi31ggml_cuda_mm_fusion_args_devicePfj15HIP_vector_typeIjLj3EEjjjS8_jjjS8_jjjj, .Lfunc_end138-_ZL13mul_mat_vec_qIL9ggml_type13ELi3ELb0ELb0EEvPKvS2_PKi31ggml_cuda_mm_fusion_args_devicePfj15HIP_vector_typeIjLj3EEjjjS8_jjjS8_jjjj
                                        ; -- End function
	.set _ZL13mul_mat_vec_qIL9ggml_type13ELi3ELb0ELb0EEvPKvS2_PKi31ggml_cuda_mm_fusion_args_devicePfj15HIP_vector_typeIjLj3EEjjjS8_jjjS8_jjjj.num_vgpr, 75
	.set _ZL13mul_mat_vec_qIL9ggml_type13ELi3ELb0ELb0EEvPKvS2_PKi31ggml_cuda_mm_fusion_args_devicePfj15HIP_vector_typeIjLj3EEjjjS8_jjjS8_jjjj.num_agpr, 0
	.set _ZL13mul_mat_vec_qIL9ggml_type13ELi3ELb0ELb0EEvPKvS2_PKi31ggml_cuda_mm_fusion_args_devicePfj15HIP_vector_typeIjLj3EEjjjS8_jjjS8_jjjj.numbered_sgpr, 28
	.set _ZL13mul_mat_vec_qIL9ggml_type13ELi3ELb0ELb0EEvPKvS2_PKi31ggml_cuda_mm_fusion_args_devicePfj15HIP_vector_typeIjLj3EEjjjS8_jjjS8_jjjj.num_named_barrier, 0
	.set _ZL13mul_mat_vec_qIL9ggml_type13ELi3ELb0ELb0EEvPKvS2_PKi31ggml_cuda_mm_fusion_args_devicePfj15HIP_vector_typeIjLj3EEjjjS8_jjjS8_jjjj.private_seg_size, 0
	.set _ZL13mul_mat_vec_qIL9ggml_type13ELi3ELb0ELb0EEvPKvS2_PKi31ggml_cuda_mm_fusion_args_devicePfj15HIP_vector_typeIjLj3EEjjjS8_jjjS8_jjjj.uses_vcc, 1
	.set _ZL13mul_mat_vec_qIL9ggml_type13ELi3ELb0ELb0EEvPKvS2_PKi31ggml_cuda_mm_fusion_args_devicePfj15HIP_vector_typeIjLj3EEjjjS8_jjjS8_jjjj.uses_flat_scratch, 0
	.set _ZL13mul_mat_vec_qIL9ggml_type13ELi3ELb0ELb0EEvPKvS2_PKi31ggml_cuda_mm_fusion_args_devicePfj15HIP_vector_typeIjLj3EEjjjS8_jjjS8_jjjj.has_dyn_sized_stack, 0
	.set _ZL13mul_mat_vec_qIL9ggml_type13ELi3ELb0ELb0EEvPKvS2_PKi31ggml_cuda_mm_fusion_args_devicePfj15HIP_vector_typeIjLj3EEjjjS8_jjjS8_jjjj.has_recursion, 0
	.set _ZL13mul_mat_vec_qIL9ggml_type13ELi3ELb0ELb0EEvPKvS2_PKi31ggml_cuda_mm_fusion_args_devicePfj15HIP_vector_typeIjLj3EEjjjS8_jjjS8_jjjj.has_indirect_call, 0
	.section	.AMDGPU.csdata,"",@progbits
; Kernel info:
; codeLenInByte = 3868
; TotalNumSgprs: 32
; NumVgprs: 75
; ScratchSize: 0
; MemoryBound: 0
; FloatMode: 240
; IeeeMode: 1
; LDSByteSize: 1536 bytes/workgroup (compile time only)
; SGPRBlocks: 3
; VGPRBlocks: 18
; NumSGPRsForWavesPerEU: 32
; NumVGPRsForWavesPerEU: 75
; Occupancy: 3
; WaveLimiterHint : 0
; COMPUTE_PGM_RSRC2:SCRATCH_EN: 0
; COMPUTE_PGM_RSRC2:USER_SGPR: 6
; COMPUTE_PGM_RSRC2:TRAP_HANDLER: 0
; COMPUTE_PGM_RSRC2:TGID_X_EN: 1
; COMPUTE_PGM_RSRC2:TGID_Y_EN: 1
; COMPUTE_PGM_RSRC2:TGID_Z_EN: 1
; COMPUTE_PGM_RSRC2:TIDIG_COMP_CNT: 1
	.section	.text._ZL13mul_mat_vec_qIL9ggml_type13ELi4ELb0ELb0EEvPKvS2_PKi31ggml_cuda_mm_fusion_args_devicePfj15HIP_vector_typeIjLj3EEjjjS8_jjjS8_jjjj,"axG",@progbits,_ZL13mul_mat_vec_qIL9ggml_type13ELi4ELb0ELb0EEvPKvS2_PKi31ggml_cuda_mm_fusion_args_devicePfj15HIP_vector_typeIjLj3EEjjjS8_jjjS8_jjjj,comdat
	.globl	_ZL13mul_mat_vec_qIL9ggml_type13ELi4ELb0ELb0EEvPKvS2_PKi31ggml_cuda_mm_fusion_args_devicePfj15HIP_vector_typeIjLj3EEjjjS8_jjjS8_jjjj ; -- Begin function _ZL13mul_mat_vec_qIL9ggml_type13ELi4ELb0ELb0EEvPKvS2_PKi31ggml_cuda_mm_fusion_args_devicePfj15HIP_vector_typeIjLj3EEjjjS8_jjjS8_jjjj
	.p2align	8
	.type	_ZL13mul_mat_vec_qIL9ggml_type13ELi4ELb0ELb0EEvPKvS2_PKi31ggml_cuda_mm_fusion_args_devicePfj15HIP_vector_typeIjLj3EEjjjS8_jjjS8_jjjj,@function
_ZL13mul_mat_vec_qIL9ggml_type13ELi4ELb0ELb0EEvPKvS2_PKi31ggml_cuda_mm_fusion_args_devicePfj15HIP_vector_typeIjLj3EEjjjS8_jjjS8_jjjj: ; @_ZL13mul_mat_vec_qIL9ggml_type13ELi4ELb0ELb0EEvPKvS2_PKi31ggml_cuda_mm_fusion_args_devicePfj15HIP_vector_typeIjLj3EEjjjS8_jjjS8_jjjj
; %bb.0:
	s_load_dword s9, s[4:5], 0x40
	s_load_dwordx4 s[12:15], s[4:5], 0x50
	s_load_dword s25, s[4:5], 0x60
	s_load_dwordx4 s[0:3], s[4:5], 0x68
	;; [unrolled: 2-line block ×3, first 2 shown]
	v_lshl_add_u32 v2, v1, 6, v0
	s_waitcnt lgkmcnt(0)
	s_lshr_b32 s9, s9, 8
	v_lshrrev_b32_e32 v21, 4, v2
	v_mov_b32_e32 v20, 0
	s_lshl_b32 s6, s6, 1
	v_cmp_gt_u32_e32 vcc, s9, v21
	v_mov_b32_e32 v19, 0
	v_mov_b32_e32 v18, 0
	;; [unrolled: 1-line block ×7, first 2 shown]
	s_and_saveexec_b64 s[10:11], vcc
	s_cbranch_execz .LBB139_32
; %bb.1:
	s_mul_hi_u32 s15, s15, s7
	s_add_i32 s15, s7, s15
	s_load_dwordx4 s[20:23], s[4:5], 0x0
	s_lshr_b32 s15, s15, s25
	s_mul_i32 s15, s15, s0
	s_mul_hi_u32 s0, s3, s8
	s_add_i32 s0, s8, s0
	s_lshr_b32 s0, s0, s24
	s_mul_i32 s3, s17, s8
	s_mul_i32 s0, s0, s16
	s_mul_hi_u32 s16, s3, 36
	s_mul_i32 s3, s3, 36
	s_waitcnt lgkmcnt(0)
	s_add_u32 s3, s22, s3
	s_mul_i32 s1, s1, s7
	s_addc_u32 s17, s23, s16
	s_mul_hi_u32 s19, s1, 36
	s_mul_i32 s1, s1, 36
	s_add_u32 s16, s3, s1
	s_addc_u32 s17, s17, s19
	s_add_i32 s19, s6, 1
	v_bfe_u32 v4, v0, 2, 2
	s_mul_i32 s3, s6, s12
	s_mul_i32 s12, s12, s19
	v_mul_hi_u32_u24_e32 v5, 0x48, v4
	v_mul_u32_u24_e32 v4, 0x48, v4
	s_movk_i32 s19, 0x120
	v_mad_u64_u32 v[4:5], s[22:23], v21, s19, v[4:5]
	v_lshlrev_b32_e32 v2, 1, v0
	v_bfe_u32 v22, v2, 3, 2
	v_and_b32_e32 v3, 30, v2
	v_lshlrev_b32_e32 v26, 1, v22
	v_mov_b32_e32 v6, s17
	v_add_co_u32_e32 v4, vcc, s16, v4
	v_lshlrev_b32_e32 v8, 3, v21
	s_add_i32 s15, s0, s15
	v_cmp_lt_u32_e64 s[0:1], 15, v3
	v_mad_u64_u32 v[2:3], s[22:23], v26, 36, s[16:17]
	v_addc_co_u32_e32 v5, vcc, v6, v5, vcc
	v_mad_u64_u32 v[6:7], s[16:17], s13, 3, v[8:9]
	v_mov_b32_e32 v15, 0
	v_and_b32_e32 v24, 3, v0
	v_add_co_u32_e32 v4, vcc, 36, v4
	v_lshlrev_b32_e32 v23, 5, v22
	v_lshlrev_b32_e32 v25, 2, v24
	s_add_i32 s3, s15, s3
	s_add_i32 s15, s15, s12
	v_addc_co_u32_e32 v5, vcc, 0, v5, vcc
	v_lshl_add_u32 v27, s13, 1, v8
	v_add_u32_e32 v28, s13, v8
	s_mov_b64 s[12:13], 0
	s_movk_i32 s19, 0xb0
	s_mov_b32 s22, 0x5040100
	s_mov_b32 s23, 0x20004
	;; [unrolled: 1-line block ×6, first 2 shown]
	v_mov_b32_e32 v17, v15
	v_mov_b32_e32 v18, v15
	;; [unrolled: 1-line block ×7, first 2 shown]
	s_branch .LBB139_3
.LBB139_2:                              ;   in Loop: Header=BB139_3 Depth=1
	s_andn2_saveexec_b64 s[16:17], s[16:17]
	s_or_b64 exec, exec, s[16:17]
	s_waitcnt vmcnt(24)
	v_ashrrev_i32_e32 v9, v26, v49
	v_ashrrev_i32_e32 v10, v26, v47
	v_and_b32_e32 v49, 0xf0f0f0f, v41
	v_lshlrev_b32_e32 v75, 4, v9
	v_and_b32_e32 v47, 0xf0f0f0f, v42
	v_lshlrev_b32_e32 v74, 4, v10
	v_and_or_b32 v49, v75, s26, v49
	v_lshrrev_b32_e32 v41, 4, v41
	v_and_or_b32 v47, v74, s26, v47
	v_lshrrev_b32_e32 v42, 4, v42
	v_and_b32_e32 v41, 0xf0f0f0f, v41
	v_lshlrev_b32_e32 v9, 3, v9
	s_waitcnt vmcnt(3)
	v_dot4_i32_i8 v75, v49, v63, 0
	v_dot4_i32_i8 v7, s25, v63, 0
	v_and_b32_e32 v42, 0xf0f0f0f, v42
	v_lshlrev_b32_e32 v10, 3, v10
	v_and_or_b32 v9, v9, s26, v41
	v_lshrrev_b16_e32 v74, 8, v72
	v_dot4_i32_i8 v75, v47, v61, v75
	v_and_b32_sdwa v72, s27, v72 dst_sel:DWORD dst_unused:UNUSED_PAD src0_sel:DWORD src1_sel:BYTE_0
	v_dot4_i32_i8 v7, s25, v61, v7
	s_waitcnt vmcnt(0)
	v_dot4_i32_i8 v8, s25, v62, 0
	v_and_or_b32 v10, v10, s26, v42
	v_lshrrev_b16_e32 v42, 8, v73
	v_mul_lo_u32 v72, v75, v72
	v_and_b32_sdwa v73, s27, v73 dst_sel:DWORD dst_unused:UNUSED_PAD src0_sel:DWORD src1_sel:BYTE_0
	v_dot4_i32_i8 v75, v9, v62, 0
	v_dot4_i32_i8 v8, s25, v60, v8
	v_mul_lo_u32 v73, v7, v73
	v_dot4_i32_i8 v75, v10, v60, v75
	v_mul_lo_u32 v74, v75, v74
	v_mul_lo_u32 v42, v8, v42
	v_cvt_f32_i32_e32 v72, v72
	v_cvt_f32_i32_e32 v73, v73
	;; [unrolled: 1-line block ×4, first 2 shown]
	v_cvt_f32_f16_sdwa v41, v36 dst_sel:DWORD dst_unused:UNUSED_PAD src0_sel:WORD_1
	v_fma_mix_f32 v72, v56, v72, 0 op_sel_hi:[1,0,0]
	v_fma_mix_f32 v73, v56, v73, 0 op_sel_hi:[1,0,0]
	v_ashrrev_i32_e32 v55, v26, v55
	v_fma_mix_f32 v72, v57, v74, v72 op_sel_hi:[1,0,0]
	v_fma_mix_f32 v42, v57, v42, v73 op_sel_hi:[1,0,0]
	v_ashrrev_i32_e32 v54, v26, v54
	v_and_b32_e32 v74, 0xf0f0f0f, v52
	v_lshlrev_b32_e32 v76, 4, v55
	v_mul_f32_e32 v42, v42, v41
	v_and_b32_e32 v73, 0xf0f0f0f, v53
	v_lshlrev_b32_e32 v75, 4, v54
	v_and_or_b32 v74, v76, s26, v74
	v_fma_mix_f32 v42, v72, v36, -v42 op_sel_hi:[0,1,0]
	v_and_or_b32 v73, v75, s26, v73
	v_lshrrev_b32_e32 v52, 4, v52
	v_dot4_i32_i8 v76, v74, v69, 0
	v_add_f32_e32 v14, v14, v42
	v_dot4_i32_i8 v42, s25, v69, 0
	v_lshrrev_b32_e32 v53, 4, v53
	v_and_b32_e32 v52, 0xf0f0f0f, v52
	v_lshlrev_b32_e32 v55, 3, v55
	v_dot4_i32_i8 v76, v73, v68, v76
	v_and_b32_sdwa v77, s27, v81 dst_sel:DWORD dst_unused:UNUSED_PAD src0_sel:DWORD src1_sel:BYTE_0
	v_dot4_i32_i8 v42, s25, v68, v42
	v_dot4_i32_i8 v72, s25, v67, 0
	v_and_b32_e32 v53, 0xf0f0f0f, v53
	v_lshlrev_b32_e32 v54, 3, v54
	v_and_or_b32 v52, v55, s26, v52
	v_mul_lo_u32 v76, v76, v77
	v_and_b32_sdwa v77, s27, v80 dst_sel:DWORD dst_unused:UNUSED_PAD src0_sel:DWORD src1_sel:BYTE_0
	v_dot4_i32_i8 v72, s25, v66, v72
	v_and_or_b32 v53, v54, s26, v53
	v_lshrrev_b16_e32 v55, 8, v80
	v_mul_lo_u32 v77, v42, v77
	v_dot4_i32_i8 v78, v52, v67, 0
	v_lshrrev_b16_e32 v75, 8, v81
	v_dot4_i32_i8 v78, v53, v66, v78
	v_mul_lo_u32 v55, v72, v55
	v_mul_lo_u32 v75, v78, v75
	v_cvt_f32_i32_e32 v77, v77
	v_cvt_f32_i32_e32 v76, v76
	;; [unrolled: 1-line block ×3, first 2 shown]
	v_cvt_f32_f16_sdwa v54, v11 dst_sel:DWORD dst_unused:UNUSED_PAD src0_sel:WORD_1
	v_cvt_f32_i32_e32 v75, v75
	v_fma_mix_f32 v77, v64, v77, 0 op_sel_hi:[1,0,0]
	v_fma_mix_f32 v76, v64, v76, 0 op_sel_hi:[1,0,0]
	;; [unrolled: 1-line block ×3, first 2 shown]
	v_dot4_i32_i8 v69, v49, v69, 0
	v_fma_mix_f32 v75, v65, v75, v76 op_sel_hi:[1,0,0]
	v_mul_f32_e32 v55, v55, v54
	v_dot4_i32_i8 v68, v47, v68, v69
	v_and_b32_sdwa v69, s27, v71 dst_sel:DWORD dst_unused:UNUSED_PAD src0_sel:DWORD src1_sel:BYTE_0
	v_fma_mix_f32 v55, v75, v11, -v55 op_sel_hi:[0,1,0]
	v_mul_lo_u32 v68, v68, v69
	v_and_b32_sdwa v69, s27, v70 dst_sel:DWORD dst_unused:UNUSED_PAD src0_sel:DWORD src1_sel:BYTE_0
	v_add_f32_e32 v16, v16, v55
	v_lshrrev_b16_e32 v55, 8, v70
	v_mul_lo_u32 v42, v42, v69
	v_dot4_i32_i8 v67, v9, v67, 0
	v_lshrrev_b16_e32 v75, 8, v71
	v_dot4_i32_i8 v66, v10, v66, v67
	v_mul_lo_u32 v55, v72, v55
	v_mul_lo_u32 v66, v66, v75
	v_cvt_f32_i32_e32 v42, v42
	v_cvt_f32_i32_e32 v67, v68
	;; [unrolled: 1-line block ×4, first 2 shown]
	v_fma_mix_f32 v42, v64, v42, 0 op_sel_hi:[1,0,0]
	v_fma_mix_f32 v67, v64, v67, 0 op_sel_hi:[1,0,0]
	;; [unrolled: 1-line block ×4, first 2 shown]
	v_mul_f32_e32 v42, v42, v41
	v_fma_mix_f32 v42, v64, v36, -v42 op_sel_hi:[0,1,0]
	v_add_f32_e32 v15, v15, v42
	v_dot4_i32_i8 v42, s25, v48, 0
	v_dot4_i32_i8 v66, v74, v48, 0
	;; [unrolled: 1-line block ×4, first 2 shown]
	v_lshrrev_b16_e32 v64, 8, v58
	v_lshrrev_b16_e32 v65, 8, v59
	v_dot4_i32_i8 v66, v73, v46, v66
	v_and_b32_sdwa v59, s27, v59 dst_sel:DWORD dst_unused:UNUSED_PAD src0_sel:DWORD src1_sel:BYTE_0
	v_and_b32_sdwa v58, s27, v58 dst_sel:DWORD dst_unused:UNUSED_PAD src0_sel:DWORD src1_sel:BYTE_0
	v_dot4_i32_i8 v55, s25, v43, v55
	v_mul_lo_u32 v59, v66, v59
	v_mul_lo_u32 v58, v42, v58
	v_dot4_i32_i8 v66, v52, v44, 0
	v_dot4_i32_i8 v66, v53, v43, v66
	v_mul_lo_u32 v64, v55, v64
	v_mul_lo_u32 v65, v66, v65
	v_cvt_f32_i32_e32 v58, v58
	v_cvt_f32_i32_e32 v59, v59
	;; [unrolled: 1-line block ×4, first 2 shown]
	v_fma_mix_f32 v58, v12, v58, 0 op_sel_hi:[1,0,0]
	v_fma_mix_f32 v59, v12, v59, 0 op_sel_hi:[1,0,0]
	;; [unrolled: 1-line block ×3, first 2 shown]
	v_dot4_i32_i8 v48, v49, v48, 0
	v_fma_mix_f32 v59, v40, v65, v59 op_sel_hi:[1,0,0]
	v_mul_f32_e32 v58, v58, v54
	v_dot4_i32_i8 v46, v47, v46, v48
	v_and_b32_sdwa v48, s27, v51 dst_sel:DWORD dst_unused:UNUSED_PAD src0_sel:DWORD src1_sel:BYTE_0
	v_fma_mix_f32 v58, v59, v11, -v58 op_sel_hi:[0,1,0]
	v_mul_lo_u32 v46, v46, v48
	v_and_b32_sdwa v48, s27, v50 dst_sel:DWORD dst_unused:UNUSED_PAD src0_sel:DWORD src1_sel:BYTE_0
	v_add_f32_e32 v17, v17, v58
	v_lshrrev_b16_e32 v58, 8, v50
	v_mul_lo_u32 v42, v42, v48
	v_dot4_i32_i8 v44, v9, v44, 0
	v_lshrrev_b16_e32 v59, 8, v51
	v_dot4_i32_i8 v43, v10, v43, v44
	v_mul_lo_u32 v44, v55, v58
	v_mul_lo_u32 v43, v43, v59
	v_cvt_f32_i32_e32 v46, v46
	v_cvt_f32_i32_e32 v42, v42
	;; [unrolled: 1-line block ×4, first 2 shown]
	v_fma_mix_f32 v46, v12, v46, 0 op_sel_hi:[1,0,0]
	v_fma_mix_f32 v12, v12, v42, 0 op_sel_hi:[1,0,0]
	;; [unrolled: 1-line block ×4, first 2 shown]
	v_mul_f32_e32 v12, v12, v41
	v_fma_mix_f32 v12, v42, v36, -v12 op_sel_hi:[0,1,0]
	v_add_f32_e32 v18, v18, v12
	v_dot4_i32_i8 v12, s25, v34, 0
	v_dot4_i32_i8 v44, v74, v34, 0
	;; [unrolled: 1-line block ×4, first 2 shown]
	v_lshrrev_b16_e32 v42, 8, v37
	v_lshrrev_b16_e32 v43, 8, v38
	v_dot4_i32_i8 v44, v73, v33, v44
	v_and_b32_sdwa v38, s27, v38 dst_sel:DWORD dst_unused:UNUSED_PAD src0_sel:DWORD src1_sel:BYTE_0
	v_and_b32_sdwa v37, s27, v37 dst_sel:DWORD dst_unused:UNUSED_PAD src0_sel:DWORD src1_sel:BYTE_0
	v_dot4_i32_i8 v40, s25, v31, v40
	v_mul_lo_u32 v38, v44, v38
	v_mul_lo_u32 v37, v12, v37
	v_dot4_i32_i8 v44, v52, v32, 0
	v_dot4_i32_i8 v44, v53, v31, v44
	v_mul_lo_u32 v42, v40, v42
	v_mul_lo_u32 v43, v44, v43
	v_cvt_f32_i32_e32 v37, v37
	v_cvt_f32_i32_e32 v38, v38
	;; [unrolled: 1-line block ×4, first 2 shown]
	v_fma_mix_f32 v37, v29, v37, 0 op_sel_hi:[1,0,0]
	v_fma_mix_f32 v38, v29, v38, 0 op_sel_hi:[1,0,0]
	;; [unrolled: 1-line block ×3, first 2 shown]
	v_dot4_i32_i8 v34, v49, v34, 0
	v_fma_mix_f32 v38, v30, v43, v38 op_sel_hi:[1,0,0]
	v_mul_f32_e32 v37, v37, v54
	v_dot4_i32_i8 v33, v47, v33, v34
	v_bfe_u32 v34, v35, 16, 8
	v_fma_mix_f32 v37, v38, v11, -v37 op_sel_hi:[0,1,0]
	v_mul_lo_u32 v33, v33, v34
	v_and_b32_e32 v34, 0xff, v35
	v_add_f32_e32 v19, v19, v37
	v_lshrrev_b16_e32 v37, 8, v35
	v_mul_lo_u32 v12, v12, v34
	v_dot4_i32_i8 v9, v9, v32, 0
	v_lshrrev_b32_e32 v38, 24, v35
	v_dot4_i32_i8 v9, v10, v31, v9
	v_mul_lo_u32 v10, v40, v37
	v_mul_lo_u32 v9, v9, v38
	v_cvt_f32_i32_e32 v12, v12
	v_cvt_f32_i32_e32 v31, v33
	;; [unrolled: 1-line block ×4, first 2 shown]
	v_fma_mix_f32 v12, v29, v12, 0 op_sel_hi:[1,0,0]
	v_fma_mix_f32 v31, v29, v31, 0 op_sel_hi:[1,0,0]
	;; [unrolled: 1-line block ×4, first 2 shown]
	v_mul_f32_e32 v10, v10, v41
	v_fma_mix_f32 v9, v9, v36, -v10 op_sel_hi:[0,1,0]
	v_dot4_i32_i8 v10, v74, v63, 0
	v_and_b32_sdwa v12, s27, v45 dst_sel:DWORD dst_unused:UNUSED_PAD src0_sel:DWORD src1_sel:BYTE_0
	v_add_f32_e32 v20, v20, v9
	v_lshrrev_b16_e32 v9, 8, v45
	v_dot4_i32_i8 v10, v73, v61, v10
	v_mul_lo_u32 v7, v7, v12
	v_dot4_i32_i8 v12, v52, v62, 0
	v_and_b32_sdwa v30, s27, v39 dst_sel:DWORD dst_unused:UNUSED_PAD src0_sel:DWORD src1_sel:BYTE_0
	v_dot4_i32_i8 v12, v53, v60, v12
	v_lshrrev_b16_e32 v29, 8, v39
	v_mul_lo_u32 v10, v10, v30
	v_mul_lo_u32 v8, v8, v9
	;; [unrolled: 1-line block ×3, first 2 shown]
	v_cvt_f32_i32_e32 v7, v7
	v_cvt_f32_i32_e32 v9, v10
	;; [unrolled: 1-line block ×4, first 2 shown]
	v_fma_mix_f32 v7, v56, v7, 0 op_sel_hi:[1,0,0]
	v_fma_mix_f32 v9, v56, v9, 0 op_sel_hi:[1,0,0]
	;; [unrolled: 1-line block ×3, first 2 shown]
	v_add_co_u32_e32 v4, vcc, 0x900, v4
	v_fma_mix_f32 v9, v57, v10, v9 op_sel_hi:[1,0,0]
	v_mul_f32_e32 v7, v7, v54
	v_add_u32_e32 v21, 8, v21
	v_addc_co_u32_e32 v5, vcc, 0, v5, vcc
	v_fma_mix_f32 v7, v9, v11, -v7 op_sel_hi:[0,1,0]
	v_cmp_le_u32_e32 vcc, s9, v21
	v_add_f32_e32 v13, v13, v7
	v_add_u32_e32 v27, 64, v27
	v_add_u32_e32 v6, 64, v6
	s_or_b64 s[12:13], vcc, s[12:13]
	v_add_u32_e32 v28, 64, v28
	s_andn2_b64 exec, exec, s[12:13]
	s_cbranch_execz .LBB139_31
.LBB139_3:                              ; =>This Inner Loop Header: Depth=1
	v_mov_b32_e32 v9, s20
	v_add_u32_e32 v11, s3, v21
	v_mov_b32_e32 v10, s21
	v_mad_i64_i32 v[9:10], s[16:17], v11, s19, v[9:10]
	v_add_co_u32_e32 v7, vcc, v4, v25
	v_addc_co_u32_e32 v8, vcc, 0, v5, vcc
	global_load_dword v29, v[4:5], off offset:-36
	global_load_dword v30, v[4:5], off
	global_load_dword v33, v[7:8], off offset:-32
	global_load_dword v34, v[7:8], off offset:-16
	global_load_dword v31, v[7:8], off offset:4
	global_load_dword v32, v[7:8], off offset:20
	v_add_co_u32_e32 v7, vcc, v9, v23
	v_addc_co_u32_e32 v8, vcc, 0, v10, vcc
	v_add_co_u32_e32 v7, vcc, v7, v25
	v_addc_co_u32_e32 v8, vcc, 0, v8, vcc
	;; [unrolled: 2-line block ×3, first 2 shown]
	global_load_dword v42, v[7:8], off offset:48
	global_load_dword v41, v[7:8], off offset:64
	;; [unrolled: 1-line block ×4, first 2 shown]
	v_lshlrev_b32_e32 v37, 1, v22
	v_add_co_u32_e32 v7, vcc, v9, v37
	v_addc_co_u32_e32 v8, vcc, 0, v10, vcc
                                        ; implicit-def: $vgpr35
                                        ; implicit-def: $vgpr56
                                        ; implicit-def: $vgpr57
	s_and_saveexec_b64 s[16:17], s[0:1]
	s_xor_b64 s[16:17], exec, s[16:17]
	s_cbranch_execz .LBB139_5
; %bb.4:                                ;   in Loop: Header=BB139_3 Depth=1
	global_load_ushort v11, v[7:8], off
	global_load_ushort v56, v[7:8], off offset:8
	global_load_ushort v57, v[7:8], off offset:4
	s_waitcnt vmcnt(1)
	v_perm_b32 v11, v11, v56, s22
	s_waitcnt vmcnt(0)
	v_perm_b32 v12, v56, v57, s22
	v_pk_lshrrev_b16 v12, 2, v12
	v_pk_lshrrev_b16 v11, s23, v11
	v_and_b32_e32 v12, 0xf0f3030, v12
	v_and_or_b32 v35, v11, s24, v12
.LBB139_5:                              ;   in Loop: Header=BB139_3 Depth=1
	s_andn2_saveexec_b64 s[16:17], s[16:17]
	s_cbranch_execz .LBB139_7
; %bb.6:                                ;   in Loop: Header=BB139_3 Depth=1
	global_load_ushort v57, v[7:8], off offset:4
	global_load_ushort v56, v[7:8], off offset:8
	s_waitcnt vmcnt(0)
	v_perm_b32 v11, v57, v56, s22
	v_and_b32_e32 v35, 0x3f3f3f3f, v11
.LBB139_7:                              ;   in Loop: Header=BB139_3 Depth=1
	s_or_b64 exec, exec, s[16:17]
	v_mov_b32_e32 v11, s20
	v_add_u32_e32 v36, s15, v21
	v_mov_b32_e32 v12, s21
	v_mad_i64_i32 v[11:12], s[16:17], v36, s19, v[11:12]
                                        ; implicit-def: $vgpr60
                                        ; implicit-def: $vgpr61
	v_add_co_u32_e32 v36, vcc, v11, v23
	v_addc_co_u32_e32 v39, vcc, 0, v12, vcc
	v_add_co_u32_e32 v38, vcc, v36, v25
	v_addc_co_u32_e32 v39, vcc, 0, v39, vcc
	;; [unrolled: 2-line block ×3, first 2 shown]
	global_load_dword v36, v[9:10], off
	global_load_dword v53, v[38:39], off offset:48
	global_load_dword v52, v[38:39], off offset:64
	;; [unrolled: 1-line block ×4, first 2 shown]
	v_add_co_u32_e32 v9, vcc, v11, v37
	v_addc_co_u32_e32 v10, vcc, 0, v12, vcc
                                        ; implicit-def: $vgpr38
                                        ; implicit-def: $vgpr37
	s_and_saveexec_b64 s[16:17], s[0:1]
	s_xor_b64 s[16:17], exec, s[16:17]
	s_cbranch_execz .LBB139_9
; %bb.8:                                ;   in Loop: Header=BB139_3 Depth=1
	global_load_ushort v60, v[9:10], off offset:8
	global_load_ushort v37, v[9:10], off
	global_load_ushort v61, v[9:10], off offset:4
	s_waitcnt vmcnt(2)
	v_lshrrev_b16_e32 v39, 4, v60
	s_waitcnt vmcnt(1)
	v_lshrrev_b16_e32 v37, 2, v37
	;; [unrolled: 2-line block ×3, first 2 shown]
	v_and_b32_e32 v38, 0xf0f, v60
	v_and_b32_e32 v37, 0x3030, v37
	;; [unrolled: 1-line block ×4, first 2 shown]
	v_or_b32_e32 v38, v37, v38
	v_or_b32_e32 v37, v40, v39
.LBB139_9:                              ;   in Loop: Header=BB139_3 Depth=1
	s_andn2_saveexec_b64 s[16:17], s[16:17]
	s_cbranch_execz .LBB139_11
; %bb.10:                               ;   in Loop: Header=BB139_3 Depth=1
	global_load_ushort v61, v[9:10], off offset:4
	global_load_ushort v60, v[9:10], off offset:8
	s_waitcnt vmcnt(1)
	v_and_b32_e32 v38, 0x3f3f, v61
	s_waitcnt vmcnt(0)
	v_and_b32_e32 v37, 0x3f3f, v60
.LBB139_11:                             ;   in Loop: Header=BB139_3 Depth=1
	s_or_b64 exec, exec, s[16:17]
	v_mad_u64_u32 v[50:51], s[16:17], v28, 36, v[2:3]
	v_lshlrev_b32_e32 v62, 2, v24
	global_load_dword v11, v[11:12], off
	v_add_co_u32_e32 v58, vcc, v50, v62
	v_addc_co_u32_e32 v59, vcc, 0, v51, vcc
	global_load_dword v12, v[50:51], off
	global_load_dword v46, v[58:59], off offset:4
	global_load_dword v48, v[58:59], off offset:20
	;; [unrolled: 1-line block ×5, first 2 shown]
	v_lshrrev_b16_e32 v39, 4, v56
	v_lshrrev_b16_e32 v45, 2, v57
	v_and_b32_e32 v74, 0xf0f, v56
	v_and_b32_e32 v75, 0xf0f, v39
	;; [unrolled: 1-line block ×3, first 2 shown]
                                        ; implicit-def: $vgpr51
                                        ; implicit-def: $vgpr50
	s_and_saveexec_b64 s[16:17], s[0:1]
	s_xor_b64 s[16:17], exec, s[16:17]
	s_cbranch_execz .LBB139_13
; %bb.12:                               ;   in Loop: Header=BB139_3 Depth=1
	global_load_ushort v39, v[7:8], off
	v_or_b32_e32 v50, v76, v75
	s_waitcnt vmcnt(0)
	v_lshrrev_b16_e32 v39, 2, v39
	v_and_b32_e32 v39, 0x3030, v39
	v_or_b32_e32 v51, v39, v74
.LBB139_13:                             ;   in Loop: Header=BB139_3 Depth=1
	s_or_saveexec_b64 s[16:17], s[16:17]
	v_and_b32_e32 v72, 0x3f3f, v57
	v_and_b32_e32 v73, 0x3f3f, v56
	s_xor_b64 exec, exec, s[16:17]
; %bb.14:                               ;   in Loop: Header=BB139_3 Depth=1
	v_and_b32_e32 v51, 0x3f3f, v57
	v_and_b32_e32 v50, 0x3f3f, v56
; %bb.15:                               ;   in Loop: Header=BB139_3 Depth=1
	s_or_b64 exec, exec, s[16:17]
	v_lshrrev_b16_e32 v39, 4, v60
	v_lshrrev_b16_e32 v45, 2, v61
	v_and_b32_e32 v77, 0xf0f, v60
	v_and_b32_e32 v78, 0xf0f, v39
	v_and_b32_e32 v79, 0x3030, v45
                                        ; implicit-def: $vgpr59
                                        ; implicit-def: $vgpr58
	s_and_saveexec_b64 s[16:17], s[0:1]
	s_xor_b64 s[16:17], exec, s[16:17]
	s_cbranch_execz .LBB139_17
; %bb.16:                               ;   in Loop: Header=BB139_3 Depth=1
	global_load_ushort v39, v[9:10], off
	v_or_b32_e32 v58, v79, v78
	s_waitcnt vmcnt(0)
	v_lshrrev_b16_e32 v39, 2, v39
	v_and_b32_e32 v39, 0x3030, v39
	v_or_b32_e32 v59, v39, v77
.LBB139_17:                             ;   in Loop: Header=BB139_3 Depth=1
	s_or_saveexec_b64 s[16:17], s[16:17]
	v_and_b32_e32 v39, 0x3f3f, v61
	v_and_b32_e32 v45, 0x3f3f, v60
	s_xor_b64 exec, exec, s[16:17]
; %bb.18:                               ;   in Loop: Header=BB139_3 Depth=1
	v_and_b32_e32 v59, 0x3f3f, v61
	v_and_b32_e32 v58, 0x3f3f, v60
; %bb.19:                               ;   in Loop: Header=BB139_3 Depth=1
	s_or_b64 exec, exec, s[16:17]
	v_mad_u64_u32 v[70:71], s[16:17], v27, 36, v[2:3]
	v_add_co_u32_e32 v80, vcc, v70, v62
	v_addc_co_u32_e32 v81, vcc, 0, v71, vcc
	global_load_dword v64, v[70:71], off
	global_load_dword v68, v[80:81], off offset:4
	global_load_dword v69, v[80:81], off offset:20
	;; [unrolled: 1-line block ×5, first 2 shown]
                                        ; implicit-def: $vgpr71
                                        ; implicit-def: $vgpr70
	s_and_saveexec_b64 s[16:17], s[0:1]
	s_xor_b64 s[16:17], exec, s[16:17]
	s_cbranch_execz .LBB139_21
; %bb.20:                               ;   in Loop: Header=BB139_3 Depth=1
	global_load_ushort v56, v[7:8], off
	v_or_b32_e32 v70, v76, v75
                                        ; implicit-def: $vgpr57
	s_waitcnt vmcnt(0)
	v_lshrrev_b16_e32 v56, 2, v56
	v_and_b32_e32 v56, 0x3030, v56
	v_or_b32_e32 v71, v56, v74
                                        ; implicit-def: $vgpr56
	s_andn2_saveexec_b64 s[16:17], s[16:17]
	s_branch .LBB139_22
.LBB139_21:                             ;   in Loop: Header=BB139_3 Depth=1
	s_andn2_saveexec_b64 s[16:17], s[16:17]
.LBB139_22:                             ;   in Loop: Header=BB139_3 Depth=1
	v_and_b32_e32 v71, 0x3f3f, v57
	v_and_b32_e32 v70, 0x3f3f, v56
; %bb.23:                               ;   in Loop: Header=BB139_3 Depth=1
	s_or_b64 exec, exec, s[16:17]
                                        ; implicit-def: $vgpr81
                                        ; implicit-def: $vgpr80
	s_and_saveexec_b64 s[16:17], s[0:1]
	s_xor_b64 s[16:17], exec, s[16:17]
	s_cbranch_execz .LBB139_25
; %bb.24:                               ;   in Loop: Header=BB139_3 Depth=1
	global_load_ushort v56, v[9:10], off
	v_or_b32_e32 v80, v79, v78
                                        ; implicit-def: $vgpr61
                                        ; implicit-def: $vgpr60
	s_waitcnt vmcnt(0)
	v_lshrrev_b16_e32 v56, 2, v56
	v_and_b32_e32 v56, 0x3030, v56
	v_or_b32_e32 v81, v56, v77
	s_andn2_saveexec_b64 s[16:17], s[16:17]
	s_cbranch_execnz .LBB139_26
	s_branch .LBB139_27
.LBB139_25:                             ;   in Loop: Header=BB139_3 Depth=1
	s_andn2_saveexec_b64 s[16:17], s[16:17]
.LBB139_26:                             ;   in Loop: Header=BB139_3 Depth=1
	v_and_b32_e32 v81, 0x3f3f, v61
	v_and_b32_e32 v80, 0x3f3f, v60
.LBB139_27:                             ;   in Loop: Header=BB139_3 Depth=1
	s_or_b64 exec, exec, s[16:17]
	v_mad_u64_u32 v[82:83], s[16:17], v6, 36, v[2:3]
	v_add_co_u32_e32 v84, vcc, v82, v62
	v_addc_co_u32_e32 v85, vcc, 0, v83, vcc
	global_load_dword v56, v[82:83], off
	global_load_dword v61, v[84:85], off offset:4
	global_load_dword v63, v[84:85], off offset:20
	;; [unrolled: 1-line block ×3, first 2 shown]
                                        ; kill: killed $vgpr82 killed $vgpr83
	global_load_dword v60, v[84:85], off offset:40
	global_load_dword v62, v[84:85], off offset:56
	s_and_saveexec_b64 s[16:17], s[0:1]
	s_xor_b64 s[16:17], exec, s[16:17]
	s_cbranch_execz .LBB139_29
; %bb.28:                               ;   in Loop: Header=BB139_3 Depth=1
	global_load_ushort v7, v[7:8], off
	v_or_b32_e32 v73, v76, v75
	s_waitcnt vmcnt(0)
	v_lshrrev_b16_e32 v7, 2, v7
	v_and_b32_e32 v7, 0x3030, v7
	v_or_b32_e32 v72, v7, v74
.LBB139_29:                             ;   in Loop: Header=BB139_3 Depth=1
	s_andn2_saveexec_b64 s[16:17], s[16:17]
	s_or_b64 exec, exec, s[16:17]
	s_and_saveexec_b64 s[16:17], s[0:1]
	s_xor_b64 s[16:17], exec, s[16:17]
	s_cbranch_execz .LBB139_2
; %bb.30:                               ;   in Loop: Header=BB139_3 Depth=1
	global_load_ushort v7, v[9:10], off
	v_or_b32_e32 v45, v79, v78
	s_waitcnt vmcnt(0)
	v_lshrrev_b16_e32 v7, 2, v7
	v_and_b32_e32 v7, 0x3030, v7
	v_or_b32_e32 v39, v7, v77
	s_branch .LBB139_2
.LBB139_31:
	s_or_b64 exec, exec, s[12:13]
.LBB139_32:
	s_or_b64 exec, exec, s[10:11]
	v_cmp_eq_u32_e32 vcc, 0, v1
	v_cmp_ne_u32_e64 s[0:1], 0, v1
	v_lshlrev_b32_e32 v2, 2, v0
	s_and_saveexec_b64 s[10:11], s[0:1]
	s_cbranch_execz .LBB139_34
; %bb.33:
	v_lshl_or_b32 v1, v1, 11, v2
	v_add_u32_e32 v1, 0xfffff800, v1
	ds_write2st64_b32 v1, v20, v19 offset1:1
	ds_write2st64_b32 v1, v18, v17 offset0:2 offset1:3
	ds_write2st64_b32 v1, v15, v16 offset0:4 offset1:5
	;; [unrolled: 1-line block ×3, first 2 shown]
.LBB139_34:
	s_or_b64 exec, exec, s[10:11]
	s_waitcnt lgkmcnt(0)
	s_barrier
	s_and_saveexec_b64 s[0:1], vcc
	s_cbranch_execz .LBB139_43
; %bb.35:
	v_mbcnt_lo_u32_b32 v1, -1, 0
	v_mbcnt_hi_u32_b32 v7, -1, v1
	ds_read2st64_b32 v[5:6], v2 offset1:1
	v_and_b32_e32 v1, 64, v7
	v_add_u32_e32 v8, 64, v1
	v_xor_b32_e32 v1, 32, v7
	v_cmp_lt_i32_e32 vcc, v1, v8
	v_cndmask_b32_e32 v1, v7, v1, vcc
	v_lshlrev_b32_e32 v1, 2, v1
	s_waitcnt lgkmcnt(0)
	v_add_f32_e32 v10, v5, v20
	v_add_f32_e32 v6, v6, v19
	ds_bpermute_b32 v11, v1, v10
	ds_bpermute_b32 v12, v1, v6
	v_xor_b32_e32 v3, 16, v7
	v_cmp_lt_i32_e32 vcc, v3, v8
	v_cndmask_b32_e32 v3, v7, v3, vcc
	v_lshlrev_b32_e32 v3, 2, v3
	s_waitcnt lgkmcnt(1)
	v_add_f32_e32 v10, v10, v11
	s_waitcnt lgkmcnt(0)
	v_add_f32_e32 v6, v6, v12
	ds_bpermute_b32 v11, v3, v10
	ds_bpermute_b32 v12, v3, v6
	v_xor_b32_e32 v4, 8, v7
	v_cmp_lt_i32_e32 vcc, v4, v8
	v_cndmask_b32_e32 v4, v7, v4, vcc
	v_lshlrev_b32_e32 v4, 2, v4
	s_waitcnt lgkmcnt(1)
	v_add_f32_e32 v10, v10, v11
	s_waitcnt lgkmcnt(0)
	v_add_f32_e32 v12, v6, v12
	ds_bpermute_b32 v11, v4, v10
	ds_bpermute_b32 v19, v4, v12
	v_xor_b32_e32 v9, 4, v7
	v_cmp_lt_i32_e32 vcc, v9, v8
	v_cndmask_b32_e32 v9, v7, v9, vcc
	v_lshlrev_b32_e32 v5, 2, v9
	s_waitcnt lgkmcnt(1)
	v_add_f32_e32 v10, v10, v11
	s_waitcnt lgkmcnt(0)
	v_add_f32_e32 v12, v12, v19
	ds_bpermute_b32 v11, v5, v10
	ds_bpermute_b32 v19, v5, v12
	v_xor_b32_e32 v9, 2, v7
	v_cmp_lt_i32_e32 vcc, v9, v8
	v_cndmask_b32_e32 v9, v7, v9, vcc
	v_lshlrev_b32_e32 v6, 2, v9
	v_xor_b32_e32 v9, 1, v7
	v_cmp_lt_i32_e32 vcc, v9, v8
	s_waitcnt lgkmcnt(1)
	v_add_f32_e32 v8, v10, v11
	s_waitcnt lgkmcnt(0)
	v_add_f32_e32 v11, v12, v19
	ds_bpermute_b32 v10, v6, v8
	ds_bpermute_b32 v12, v6, v11
	s_load_dwordx2 s[0:1], s[4:5], 0x38
	v_cndmask_b32_e32 v7, v7, v9, vcc
	s_mul_i32 s2, s2, s7
	v_lshlrev_b32_e32 v9, 2, v7
	s_waitcnt lgkmcnt(0)
	v_add_f32_e32 v7, v8, v10
	v_add_f32_e32 v10, v11, v12
	s_mul_i32 s3, s18, s8
	s_add_i32 s2, s2, s6
	ds_bpermute_b32 v8, v9, v7
	ds_bpermute_b32 v11, v9, v10
	s_add_i32 s2, s2, s3
	s_mov_b32 s3, 0
	s_lshl_b64 s[2:3], s[2:3], 2
	s_add_u32 s2, s0, s2
	v_add_u32_e32 v12, s6, v0
	s_addc_u32 s3, s1, s3
	v_cmp_gt_u32_e32 vcc, 2, v0
	v_cmp_gt_u32_e64 s[0:1], s14, v12
	s_and_b64 s[0:1], vcc, s[0:1]
	s_waitcnt lgkmcnt(1)
	v_add_f32_e32 v7, v7, v8
	s_waitcnt lgkmcnt(0)
	v_add_f32_e32 v8, v10, v11
	s_and_saveexec_b64 s[4:5], s[0:1]
	s_cbranch_execz .LBB139_37
; %bb.36:
	v_cmp_eq_u32_e32 vcc, 1, v0
	v_cndmask_b32_e32 v10, v7, v8, vcc
	v_cmp_eq_u32_e32 vcc, 2, v0
	v_cndmask_b32_e32 v10, v10, v18, vcc
	;; [unrolled: 2-line block ×7, first 2 shown]
	global_store_dword v2, v10, s[2:3]
.LBB139_37:
	s_or_b64 exec, exec, s[4:5]
	ds_read2st64_b32 v[10:11], v2 offset0:2 offset1:3
	s_waitcnt lgkmcnt(0)
	v_add_f32_e32 v10, v10, v18
	v_add_f32_e32 v11, v11, v17
	ds_bpermute_b32 v12, v1, v10
	ds_bpermute_b32 v17, v1, v11
	s_waitcnt lgkmcnt(1)
	v_add_f32_e32 v10, v10, v12
	s_waitcnt lgkmcnt(0)
	v_add_f32_e32 v11, v11, v17
	ds_bpermute_b32 v12, v3, v10
	ds_bpermute_b32 v17, v3, v11
	s_waitcnt lgkmcnt(1)
	v_add_f32_e32 v10, v10, v12
	s_waitcnt lgkmcnt(0)
	;; [unrolled: 6-line block ×6, first 2 shown]
	v_add_f32_e32 v10, v12, v17
	s_and_saveexec_b64 s[4:5], s[0:1]
	s_cbranch_execz .LBB139_39
; %bb.38:
	v_add_u32_e32 v12, 2, v0
	v_cmp_eq_u32_e32 vcc, 1, v12
	v_cndmask_b32_e32 v17, v7, v8, vcc
	v_cmp_eq_u32_e32 vcc, 2, v12
	v_cndmask_b32_e32 v17, v17, v11, vcc
	;; [unrolled: 2-line block ×7, first 2 shown]
	v_add_u32_e32 v17, s14, v0
	v_mov_b32_e32 v18, 0
	v_lshlrev_b64 v[17:18], 2, v[17:18]
	v_mov_b32_e32 v19, s3
	v_add_co_u32_e32 v17, vcc, s2, v17
	v_addc_co_u32_e32 v18, vcc, v19, v18, vcc
	global_store_dword v[17:18], v12, off
.LBB139_39:
	s_or_b64 exec, exec, s[4:5]
	ds_read2st64_b32 v[17:18], v2 offset0:4 offset1:5
	s_waitcnt lgkmcnt(0)
	v_add_f32_e32 v12, v17, v15
	v_add_f32_e32 v15, v18, v16
	ds_bpermute_b32 v16, v1, v12
	ds_bpermute_b32 v17, v1, v15
	s_waitcnt lgkmcnt(1)
	v_add_f32_e32 v12, v12, v16
	s_waitcnt lgkmcnt(0)
	v_add_f32_e32 v15, v15, v17
	ds_bpermute_b32 v16, v3, v12
	ds_bpermute_b32 v17, v3, v15
	s_waitcnt lgkmcnt(1)
	v_add_f32_e32 v12, v12, v16
	s_waitcnt lgkmcnt(0)
	;; [unrolled: 6-line block ×6, first 2 shown]
	v_add_f32_e32 v12, v16, v17
	s_and_saveexec_b64 s[4:5], s[0:1]
	s_cbranch_execz .LBB139_41
; %bb.40:
	v_add_u32_e32 v16, 4, v0
	v_cmp_eq_u32_e32 vcc, 1, v16
	v_cndmask_b32_e32 v17, v7, v8, vcc
	v_cmp_eq_u32_e32 vcc, 2, v16
	v_cndmask_b32_e32 v17, v17, v11, vcc
	;; [unrolled: 2-line block ×7, first 2 shown]
	v_lshl_or_b32 v16, s14, 1, v0
	v_mov_b32_e32 v17, 0
	v_lshlrev_b64 v[16:17], 2, v[16:17]
	v_mov_b32_e32 v19, s3
	v_add_co_u32_e32 v16, vcc, s2, v16
	v_addc_co_u32_e32 v17, vcc, v19, v17, vcc
	global_store_dword v[16:17], v18, off
.LBB139_41:
	s_or_b64 exec, exec, s[4:5]
	ds_read2st64_b32 v[16:17], v2 offset0:6 offset1:7
	s_waitcnt lgkmcnt(0)
	v_add_f32_e32 v2, v16, v14
	v_add_f32_e32 v13, v17, v13
	ds_bpermute_b32 v14, v1, v2
	ds_bpermute_b32 v1, v1, v13
	s_waitcnt lgkmcnt(1)
	v_add_f32_e32 v2, v2, v14
	s_waitcnt lgkmcnt(0)
	v_add_f32_e32 v1, v13, v1
	ds_bpermute_b32 v13, v3, v2
	ds_bpermute_b32 v3, v3, v1
	s_waitcnt lgkmcnt(1)
	v_add_f32_e32 v2, v2, v13
	s_waitcnt lgkmcnt(0)
	;; [unrolled: 6-line block ×5, first 2 shown]
	v_add_f32_e32 v2, v3, v4
	ds_bpermute_b32 v3, v9, v1
	ds_bpermute_b32 v4, v9, v2
	s_and_b64 exec, exec, s[0:1]
	s_cbranch_execz .LBB139_43
; %bb.42:
	s_waitcnt lgkmcnt(1)
	v_add_f32_e32 v1, v1, v3
	v_add_u32_e32 v3, 6, v0
	v_cmp_eq_u32_e32 vcc, 1, v3
	s_waitcnt lgkmcnt(0)
	v_add_f32_e32 v2, v2, v4
	v_cndmask_b32_e32 v4, v7, v8, vcc
	v_cmp_eq_u32_e32 vcc, 2, v3
	v_cndmask_b32_e32 v4, v4, v11, vcc
	v_cmp_eq_u32_e32 vcc, 3, v3
	;; [unrolled: 2-line block ×5, first 2 shown]
	v_cndmask_b32_e32 v4, v4, v1, vcc
	v_mad_u64_u32 v[0:1], s[0:1], s14, 3, v[0:1]
	v_mov_b32_e32 v1, 0
	v_cmp_eq_u32_e32 vcc, 7, v3
	v_lshlrev_b64 v[0:1], 2, v[0:1]
	v_cndmask_b32_e32 v2, v4, v2, vcc
	v_mov_b32_e32 v3, s3
	v_add_co_u32_e32 v0, vcc, s2, v0
	v_addc_co_u32_e32 v1, vcc, v3, v1, vcc
	global_store_dword v[0:1], v2, off
.LBB139_43:
	s_endpgm
	.section	.rodata,"a",@progbits
	.p2align	6, 0x0
	.amdhsa_kernel _ZL13mul_mat_vec_qIL9ggml_type13ELi4ELb0ELb0EEvPKvS2_PKi31ggml_cuda_mm_fusion_args_devicePfj15HIP_vector_typeIjLj3EEjjjS8_jjjS8_jjjj
		.amdhsa_group_segment_fixed_size 2048
		.amdhsa_private_segment_fixed_size 0
		.amdhsa_kernarg_size 144
		.amdhsa_user_sgpr_count 6
		.amdhsa_user_sgpr_private_segment_buffer 1
		.amdhsa_user_sgpr_dispatch_ptr 0
		.amdhsa_user_sgpr_queue_ptr 0
		.amdhsa_user_sgpr_kernarg_segment_ptr 1
		.amdhsa_user_sgpr_dispatch_id 0
		.amdhsa_user_sgpr_flat_scratch_init 0
		.amdhsa_user_sgpr_private_segment_size 0
		.amdhsa_uses_dynamic_stack 0
		.amdhsa_system_sgpr_private_segment_wavefront_offset 0
		.amdhsa_system_sgpr_workgroup_id_x 1
		.amdhsa_system_sgpr_workgroup_id_y 1
		.amdhsa_system_sgpr_workgroup_id_z 1
		.amdhsa_system_sgpr_workgroup_info 0
		.amdhsa_system_vgpr_workitem_id 1
		.amdhsa_next_free_vgpr 86
		.amdhsa_next_free_sgpr 61
		.amdhsa_reserve_vcc 1
		.amdhsa_reserve_flat_scratch 0
		.amdhsa_float_round_mode_32 0
		.amdhsa_float_round_mode_16_64 0
		.amdhsa_float_denorm_mode_32 3
		.amdhsa_float_denorm_mode_16_64 3
		.amdhsa_dx10_clamp 1
		.amdhsa_ieee_mode 1
		.amdhsa_fp16_overflow 0
		.amdhsa_exception_fp_ieee_invalid_op 0
		.amdhsa_exception_fp_denorm_src 0
		.amdhsa_exception_fp_ieee_div_zero 0
		.amdhsa_exception_fp_ieee_overflow 0
		.amdhsa_exception_fp_ieee_underflow 0
		.amdhsa_exception_fp_ieee_inexact 0
		.amdhsa_exception_int_div_zero 0
	.end_amdhsa_kernel
	.section	.text._ZL13mul_mat_vec_qIL9ggml_type13ELi4ELb0ELb0EEvPKvS2_PKi31ggml_cuda_mm_fusion_args_devicePfj15HIP_vector_typeIjLj3EEjjjS8_jjjS8_jjjj,"axG",@progbits,_ZL13mul_mat_vec_qIL9ggml_type13ELi4ELb0ELb0EEvPKvS2_PKi31ggml_cuda_mm_fusion_args_devicePfj15HIP_vector_typeIjLj3EEjjjS8_jjjS8_jjjj,comdat
.Lfunc_end139:
	.size	_ZL13mul_mat_vec_qIL9ggml_type13ELi4ELb0ELb0EEvPKvS2_PKi31ggml_cuda_mm_fusion_args_devicePfj15HIP_vector_typeIjLj3EEjjjS8_jjjS8_jjjj, .Lfunc_end139-_ZL13mul_mat_vec_qIL9ggml_type13ELi4ELb0ELb0EEvPKvS2_PKi31ggml_cuda_mm_fusion_args_devicePfj15HIP_vector_typeIjLj3EEjjjS8_jjjS8_jjjj
                                        ; -- End function
	.set _ZL13mul_mat_vec_qIL9ggml_type13ELi4ELb0ELb0EEvPKvS2_PKi31ggml_cuda_mm_fusion_args_devicePfj15HIP_vector_typeIjLj3EEjjjS8_jjjS8_jjjj.num_vgpr, 86
	.set _ZL13mul_mat_vec_qIL9ggml_type13ELi4ELb0ELb0EEvPKvS2_PKi31ggml_cuda_mm_fusion_args_devicePfj15HIP_vector_typeIjLj3EEjjjS8_jjjS8_jjjj.num_agpr, 0
	.set _ZL13mul_mat_vec_qIL9ggml_type13ELi4ELb0ELb0EEvPKvS2_PKi31ggml_cuda_mm_fusion_args_devicePfj15HIP_vector_typeIjLj3EEjjjS8_jjjS8_jjjj.numbered_sgpr, 28
	.set _ZL13mul_mat_vec_qIL9ggml_type13ELi4ELb0ELb0EEvPKvS2_PKi31ggml_cuda_mm_fusion_args_devicePfj15HIP_vector_typeIjLj3EEjjjS8_jjjS8_jjjj.num_named_barrier, 0
	.set _ZL13mul_mat_vec_qIL9ggml_type13ELi4ELb0ELb0EEvPKvS2_PKi31ggml_cuda_mm_fusion_args_devicePfj15HIP_vector_typeIjLj3EEjjjS8_jjjS8_jjjj.private_seg_size, 0
	.set _ZL13mul_mat_vec_qIL9ggml_type13ELi4ELb0ELb0EEvPKvS2_PKi31ggml_cuda_mm_fusion_args_devicePfj15HIP_vector_typeIjLj3EEjjjS8_jjjS8_jjjj.uses_vcc, 1
	.set _ZL13mul_mat_vec_qIL9ggml_type13ELi4ELb0ELb0EEvPKvS2_PKi31ggml_cuda_mm_fusion_args_devicePfj15HIP_vector_typeIjLj3EEjjjS8_jjjS8_jjjj.uses_flat_scratch, 0
	.set _ZL13mul_mat_vec_qIL9ggml_type13ELi4ELb0ELb0EEvPKvS2_PKi31ggml_cuda_mm_fusion_args_devicePfj15HIP_vector_typeIjLj3EEjjjS8_jjjS8_jjjj.has_dyn_sized_stack, 0
	.set _ZL13mul_mat_vec_qIL9ggml_type13ELi4ELb0ELb0EEvPKvS2_PKi31ggml_cuda_mm_fusion_args_devicePfj15HIP_vector_typeIjLj3EEjjjS8_jjjS8_jjjj.has_recursion, 0
	.set _ZL13mul_mat_vec_qIL9ggml_type13ELi4ELb0ELb0EEvPKvS2_PKi31ggml_cuda_mm_fusion_args_devicePfj15HIP_vector_typeIjLj3EEjjjS8_jjjS8_jjjj.has_indirect_call, 0
	.section	.AMDGPU.csdata,"",@progbits
; Kernel info:
; codeLenInByte = 4820
; TotalNumSgprs: 32
; NumVgprs: 86
; ScratchSize: 0
; MemoryBound: 0
; FloatMode: 240
; IeeeMode: 1
; LDSByteSize: 2048 bytes/workgroup (compile time only)
; SGPRBlocks: 8
; VGPRBlocks: 21
; NumSGPRsForWavesPerEU: 65
; NumVGPRsForWavesPerEU: 86
; Occupancy: 2
; WaveLimiterHint : 0
; COMPUTE_PGM_RSRC2:SCRATCH_EN: 0
; COMPUTE_PGM_RSRC2:USER_SGPR: 6
; COMPUTE_PGM_RSRC2:TRAP_HANDLER: 0
; COMPUTE_PGM_RSRC2:TGID_X_EN: 1
; COMPUTE_PGM_RSRC2:TGID_Y_EN: 1
; COMPUTE_PGM_RSRC2:TGID_Z_EN: 1
; COMPUTE_PGM_RSRC2:TIDIG_COMP_CNT: 1
	.section	.text._ZL13mul_mat_vec_qIL9ggml_type13ELi5ELb0ELb0EEvPKvS2_PKi31ggml_cuda_mm_fusion_args_devicePfj15HIP_vector_typeIjLj3EEjjjS8_jjjS8_jjjj,"axG",@progbits,_ZL13mul_mat_vec_qIL9ggml_type13ELi5ELb0ELb0EEvPKvS2_PKi31ggml_cuda_mm_fusion_args_devicePfj15HIP_vector_typeIjLj3EEjjjS8_jjjS8_jjjj,comdat
	.globl	_ZL13mul_mat_vec_qIL9ggml_type13ELi5ELb0ELb0EEvPKvS2_PKi31ggml_cuda_mm_fusion_args_devicePfj15HIP_vector_typeIjLj3EEjjjS8_jjjS8_jjjj ; -- Begin function _ZL13mul_mat_vec_qIL9ggml_type13ELi5ELb0ELb0EEvPKvS2_PKi31ggml_cuda_mm_fusion_args_devicePfj15HIP_vector_typeIjLj3EEjjjS8_jjjS8_jjjj
	.p2align	8
	.type	_ZL13mul_mat_vec_qIL9ggml_type13ELi5ELb0ELb0EEvPKvS2_PKi31ggml_cuda_mm_fusion_args_devicePfj15HIP_vector_typeIjLj3EEjjjS8_jjjS8_jjjj,@function
_ZL13mul_mat_vec_qIL9ggml_type13ELi5ELb0ELb0EEvPKvS2_PKi31ggml_cuda_mm_fusion_args_devicePfj15HIP_vector_typeIjLj3EEjjjS8_jjjS8_jjjj: ; @_ZL13mul_mat_vec_qIL9ggml_type13ELi5ELb0ELb0EEvPKvS2_PKi31ggml_cuda_mm_fusion_args_devicePfj15HIP_vector_typeIjLj3EEjjjS8_jjjS8_jjjj
; %bb.0:
	s_load_dword s9, s[4:5], 0x40
	s_load_dwordx4 s[12:15], s[4:5], 0x50
	s_load_dword s25, s[4:5], 0x60
	s_load_dwordx4 s[0:3], s[4:5], 0x68
	;; [unrolled: 2-line block ×3, first 2 shown]
	v_lshl_or_b32 v2, v1, 6, v0
	s_waitcnt lgkmcnt(0)
	s_lshr_b32 s9, s9, 8
	v_lshrrev_b32_e32 v22, 4, v2
	v_mov_b32_e32 v12, 0
	s_lshl_b32 s6, s6, 1
	v_cmp_gt_u32_e32 vcc, s9, v22
	v_mov_b32_e32 v13, v12
	v_mov_b32_e32 v15, v12
	;; [unrolled: 1-line block ×9, first 2 shown]
	s_and_saveexec_b64 s[10:11], vcc
	s_cbranch_execz .LBB140_40
; %bb.1:
	s_mul_hi_u32 s15, s15, s7
	s_add_i32 s15, s7, s15
	s_load_dwordx4 s[20:23], s[4:5], 0x0
	s_lshr_b32 s15, s15, s25
	s_mul_i32 s15, s15, s0
	s_mul_hi_u32 s0, s3, s8
	s_add_i32 s0, s8, s0
	s_lshr_b32 s0, s0, s24
	s_mul_i32 s3, s17, s8
	s_mul_i32 s0, s0, s16
	s_mul_hi_u32 s16, s3, 36
	s_mul_i32 s3, s3, 36
	s_waitcnt lgkmcnt(0)
	s_add_u32 s3, s22, s3
	s_mul_i32 s1, s1, s7
	s_addc_u32 s16, s23, s16
	s_mul_hi_u32 s17, s1, 36
	s_mul_i32 s1, s1, 36
	s_add_u32 s22, s3, s1
	v_lshlrev_b32_e32 v2, 1, v0
	s_addc_u32 s23, s16, s17
	v_and_b32_e32 v3, 30, v2
	v_bfe_u32 v23, v2, 3, 2
	s_add_i32 s16, s6, 1
	v_bfe_u32 v2, v0, 2, 2
	s_add_i32 s15, s0, s15
	v_cmp_lt_u32_e64 s[0:1], 15, v3
	s_mul_i32 s3, s6, s12
	s_mul_i32 s12, s12, s16
	v_mul_hi_u32_u24_e32 v3, 0x48, v2
	v_mul_u32_u24_e32 v2, 0x48, v2
	s_movk_i32 s16, 0x120
	v_mad_u64_u32 v[2:3], s[16:17], v22, s16, v[2:3]
	v_lshlrev_b32_e32 v27, 1, v23
	v_mov_b32_e32 v4, s23
	v_add_co_u32_e32 v2, vcc, s22, v2
	v_addc_co_u32_e32 v3, vcc, v4, v3, vcc
	v_mad_u64_u32 v[4:5], s[22:23], v27, 36, s[22:23]
	v_mov_b32_e32 v14, 0
	v_and_b32_e32 v25, 3, v0
	v_add_co_u32_e32 v2, vcc, 36, v2
	v_lshlrev_b32_e32 v24, 5, v23
	v_lshlrev_b32_e32 v26, 2, v25
	s_add_i32 s3, s15, s3
	s_add_i32 s12, s15, s12
	v_addc_co_u32_e32 v3, vcc, 0, v3, vcc
	s_lshl_b32 s15, s13, 1
	v_lshlrev_b32_e32 v28, 3, v22
	s_mul_i32 s19, s13, 3
	s_lshl_b32 s24, s13, 2
	s_mov_b64 s[16:17], 0
	s_movk_i32 s25, 0xb0
	s_mov_b32 s26, 0x5040100
	s_mov_b32 s27, 0x20004
	;; [unrolled: 1-line block ×6, first 2 shown]
	v_mov_b32_e32 v16, v14
	v_mov_b32_e32 v17, v14
	;; [unrolled: 1-line block ×9, first 2 shown]
	s_branch .LBB140_3
.LBB140_2:                              ;   in Loop: Header=BB140_3 Depth=1
	s_andn2_saveexec_b64 s[22:23], s[22:23]
	s_or_b64 exec, exec, s[22:23]
	s_waitcnt vmcnt(30)
	v_ashrrev_i32_e32 v8, v27, v50
	v_ashrrev_i32_e32 v9, v27, v49
	v_and_b32_e32 v50, 0xf0f0f0f, v47
	v_lshlrev_b32_e32 v78, 4, v8
	v_and_b32_e32 v49, 0xf0f0f0f, v48
	v_lshlrev_b32_e32 v77, 4, v9
	v_and_or_b32 v50, v78, s30, v50
	v_lshrrev_b32_e32 v47, 4, v47
	v_and_or_b32 v49, v77, s30, v49
	v_lshrrev_b32_e32 v48, 4, v48
	v_and_b32_e32 v47, 0xf0f0f0f, v47
	v_lshlrev_b32_e32 v8, 3, v8
	s_waitcnt vmcnt(3)
	v_dot4_i32_i8 v78, v50, v70, 0
	v_dot4_i32_i8 v6, s29, v70, 0
	v_and_b32_e32 v48, 0xf0f0f0f, v48
	v_lshlrev_b32_e32 v9, 3, v9
	v_and_or_b32 v8, v8, s30, v47
	v_lshrrev_b16_e32 v77, 8, v71
	v_dot4_i32_i8 v78, v49, v69, v78
	v_and_b32_sdwa v71, s31, v71 dst_sel:DWORD dst_unused:UNUSED_PAD src0_sel:DWORD src1_sel:BYTE_0
	v_dot4_i32_i8 v6, s29, v69, v6
	s_waitcnt vmcnt(1)
	v_dot4_i32_i8 v7, s29, v68, 0
	v_and_or_b32 v9, v9, s30, v48
	v_lshrrev_b16_e32 v48, 8, v74
	v_mul_lo_u32 v71, v78, v71
	v_and_b32_sdwa v74, s31, v74 dst_sel:DWORD dst_unused:UNUSED_PAD src0_sel:DWORD src1_sel:BYTE_0
	v_dot4_i32_i8 v78, v8, v68, 0
	v_dot4_i32_i8 v7, s29, v67, v7
	v_mul_lo_u32 v74, v6, v74
	v_dot4_i32_i8 v78, v9, v67, v78
	v_mul_lo_u32 v77, v78, v77
	v_mul_lo_u32 v48, v7, v48
	v_cvt_f32_i32_e32 v71, v71
	v_cvt_f32_i32_e32 v74, v74
	;; [unrolled: 1-line block ×4, first 2 shown]
	v_cvt_f32_f16_sdwa v47, v36 dst_sel:DWORD dst_unused:UNUSED_PAD src0_sel:WORD_1
	v_fma_mix_f32 v71, v63, v71, 0 op_sel_hi:[1,0,0]
	v_fma_mix_f32 v74, v63, v74, 0 op_sel_hi:[1,0,0]
	v_ashrrev_i32_e32 v56, v27, v56
	s_waitcnt vmcnt(0)
	v_fma_mix_f32 v71, v66, v77, v71 op_sel_hi:[1,0,0]
	v_fma_mix_f32 v48, v66, v48, v74 op_sel_hi:[1,0,0]
	v_ashrrev_i32_e32 v55, v27, v55
	v_and_b32_e32 v77, 0xf0f0f0f, v53
	v_lshlrev_b32_e32 v79, 4, v56
	v_mul_f32_e32 v48, v48, v47
	v_and_b32_e32 v74, 0xf0f0f0f, v54
	v_lshlrev_b32_e32 v78, 4, v55
	v_and_or_b32 v77, v79, s30, v77
	v_lshrrev_b32_e32 v53, 4, v53
	v_fma_mix_f32 v48, v71, v36, -v48 op_sel_hi:[0,1,0]
	v_and_or_b32 v74, v78, s30, v74
	v_lshrrev_b32_e32 v54, 4, v54
	v_and_b32_e32 v53, 0xf0f0f0f, v53
	v_lshlrev_b32_e32 v56, 3, v56
	v_dot4_i32_i8 v79, v77, v86, 0
	v_add_f32_e32 v13, v13, v48
	v_dot4_i32_i8 v48, s29, v86, 0
	v_and_b32_e32 v54, 0xf0f0f0f, v54
	v_lshlrev_b32_e32 v55, 3, v55
	v_and_or_b32 v53, v56, s30, v53
	v_dot4_i32_i8 v79, v74, v85, v79
	v_and_b32_sdwa v80, s31, v90 dst_sel:DWORD dst_unused:UNUSED_PAD src0_sel:DWORD src1_sel:BYTE_0
	v_dot4_i32_i8 v48, s29, v85, v48
	v_dot4_i32_i8 v71, s29, v84, 0
	v_and_or_b32 v54, v55, s30, v54
	v_mul_lo_u32 v79, v79, v80
	v_and_b32_sdwa v80, s31, v89 dst_sel:DWORD dst_unused:UNUSED_PAD src0_sel:DWORD src1_sel:BYTE_0
	v_dot4_i32_i8 v82, v53, v84, 0
	v_dot4_i32_i8 v71, s29, v81, v71
	v_lshrrev_b16_e32 v56, 8, v89
	v_lshrrev_b16_e32 v78, 8, v90
	v_mul_lo_u32 v80, v48, v80
	v_dot4_i32_i8 v82, v54, v81, v82
	v_mul_lo_u32 v78, v82, v78
	v_mul_lo_u32 v56, v71, v56
	v_cvt_f32_i32_e32 v79, v79
	v_cvt_f32_i32_e32 v80, v80
	;; [unrolled: 1-line block ×4, first 2 shown]
	v_cvt_f32_f16_sdwa v55, v10 dst_sel:DWORD dst_unused:UNUSED_PAD src0_sel:WORD_1
	v_fma_mix_f32 v79, v75, v79, 0 op_sel_hi:[1,0,0]
	v_fma_mix_f32 v80, v75, v80, 0 op_sel_hi:[1,0,0]
	;; [unrolled: 1-line block ×4, first 2 shown]
	v_dot4_i32_i8 v79, v50, v86, 0
	v_mul_f32_e32 v56, v56, v55
	v_dot4_i32_i8 v79, v49, v85, v79
	v_and_b32_sdwa v80, s31, v88 dst_sel:DWORD dst_unused:UNUSED_PAD src0_sel:DWORD src1_sel:BYTE_0
	v_fma_mix_f32 v56, v78, v10, -v56 op_sel_hi:[0,1,0]
	v_mul_lo_u32 v79, v79, v80
	v_and_b32_sdwa v80, s31, v87 dst_sel:DWORD dst_unused:UNUSED_PAD src0_sel:DWORD src1_sel:BYTE_0
	v_add_f32_e32 v15, v15, v56
	v_lshrrev_b16_e32 v56, 8, v87
	v_mul_lo_u32 v48, v48, v80
	v_dot4_i32_i8 v80, v8, v84, 0
	v_lshrrev_b16_e32 v78, 8, v88
	v_dot4_i32_i8 v80, v9, v81, v80
	v_mul_lo_u32 v56, v71, v56
	v_mul_lo_u32 v78, v80, v78
	v_cvt_f32_i32_e32 v48, v48
	v_cvt_f32_i32_e32 v71, v79
	;; [unrolled: 1-line block ×4, first 2 shown]
	v_fma_mix_f32 v48, v75, v48, 0 op_sel_hi:[1,0,0]
	v_fma_mix_f32 v71, v75, v71, 0 op_sel_hi:[1,0,0]
	;; [unrolled: 1-line block ×4, first 2 shown]
	v_mul_f32_e32 v48, v48, v47
	v_fma_mix_f32 v48, v71, v36, -v48 op_sel_hi:[0,1,0]
	v_add_f32_e32 v14, v14, v48
	v_dot4_i32_i8 v48, s29, v62, 0
	v_dot4_i32_i8 v76, v77, v62, 0
	;; [unrolled: 1-line block ×4, first 2 shown]
	v_lshrrev_b16_e32 v71, 8, v72
	v_lshrrev_b16_e32 v75, 8, v73
	v_dot4_i32_i8 v76, v74, v61, v76
	v_and_b32_sdwa v73, s31, v73 dst_sel:DWORD dst_unused:UNUSED_PAD src0_sel:DWORD src1_sel:BYTE_0
	v_and_b32_sdwa v72, s31, v72 dst_sel:DWORD dst_unused:UNUSED_PAD src0_sel:DWORD src1_sel:BYTE_0
	v_dot4_i32_i8 v56, s29, v59, v56
	v_mul_lo_u32 v73, v76, v73
	v_mul_lo_u32 v72, v48, v72
	v_dot4_i32_i8 v76, v53, v60, 0
	v_dot4_i32_i8 v76, v54, v59, v76
	v_mul_lo_u32 v71, v56, v71
	v_mul_lo_u32 v75, v76, v75
	v_cvt_f32_i32_e32 v72, v72
	v_cvt_f32_i32_e32 v73, v73
	;; [unrolled: 1-line block ×4, first 2 shown]
	v_fma_mix_f32 v72, v57, v72, 0 op_sel_hi:[1,0,0]
	v_fma_mix_f32 v73, v57, v73, 0 op_sel_hi:[1,0,0]
	;; [unrolled: 1-line block ×3, first 2 shown]
	v_dot4_i32_i8 v62, v50, v62, 0
	v_fma_mix_f32 v73, v58, v75, v73 op_sel_hi:[1,0,0]
	v_mul_f32_e32 v71, v71, v55
	v_dot4_i32_i8 v61, v49, v61, v62
	v_and_b32_sdwa v62, s31, v65 dst_sel:DWORD dst_unused:UNUSED_PAD src0_sel:DWORD src1_sel:BYTE_0
	v_fma_mix_f32 v71, v73, v10, -v71 op_sel_hi:[0,1,0]
	v_mul_lo_u32 v61, v61, v62
	v_and_b32_sdwa v62, s31, v64 dst_sel:DWORD dst_unused:UNUSED_PAD src0_sel:DWORD src1_sel:BYTE_0
	v_add_f32_e32 v16, v16, v71
	v_lshrrev_b16_e32 v71, 8, v64
	v_mul_lo_u32 v48, v48, v62
	v_dot4_i32_i8 v60, v8, v60, 0
	v_lshrrev_b16_e32 v72, 8, v65
	v_dot4_i32_i8 v59, v9, v59, v60
	v_mul_lo_u32 v56, v56, v71
	v_mul_lo_u32 v59, v59, v72
	v_cvt_f32_i32_e32 v48, v48
	v_cvt_f32_i32_e32 v60, v61
	;; [unrolled: 1-line block ×4, first 2 shown]
	v_fma_mix_f32 v48, v57, v48, 0 op_sel_hi:[1,0,0]
	v_fma_mix_f32 v60, v57, v60, 0 op_sel_hi:[1,0,0]
	;; [unrolled: 1-line block ×4, first 2 shown]
	v_mul_f32_e32 v48, v48, v47
	v_fma_mix_f32 v48, v57, v36, -v48 op_sel_hi:[0,1,0]
	v_add_f32_e32 v17, v17, v48
	v_dot4_i32_i8 v48, s29, v44, 0
	v_dot4_i32_i8 v59, v77, v44, 0
	;; [unrolled: 1-line block ×4, first 2 shown]
	v_lshrrev_b16_e32 v57, 8, v51
	v_lshrrev_b16_e32 v58, 8, v52
	v_dot4_i32_i8 v59, v74, v43, v59
	v_and_b32_sdwa v52, s31, v52 dst_sel:DWORD dst_unused:UNUSED_PAD src0_sel:DWORD src1_sel:BYTE_0
	v_and_b32_sdwa v51, s31, v51 dst_sel:DWORD dst_unused:UNUSED_PAD src0_sel:DWORD src1_sel:BYTE_0
	v_dot4_i32_i8 v56, s29, v40, v56
	v_mul_lo_u32 v52, v59, v52
	v_mul_lo_u32 v51, v48, v51
	v_dot4_i32_i8 v59, v53, v41, 0
	v_dot4_i32_i8 v59, v54, v40, v59
	v_mul_lo_u32 v57, v56, v57
	v_mul_lo_u32 v58, v59, v58
	v_cvt_f32_i32_e32 v51, v51
	v_cvt_f32_i32_e32 v52, v52
	;; [unrolled: 1-line block ×4, first 2 shown]
	v_fma_mix_f32 v51, v11, v51, 0 op_sel_hi:[1,0,0]
	v_fma_mix_f32 v52, v11, v52, 0 op_sel_hi:[1,0,0]
	;; [unrolled: 1-line block ×3, first 2 shown]
	v_dot4_i32_i8 v44, v50, v44, 0
	v_fma_mix_f32 v52, v39, v58, v52 op_sel_hi:[1,0,0]
	v_mul_f32_e32 v51, v51, v55
	v_dot4_i32_i8 v43, v49, v43, v44
	v_and_b32_sdwa v44, s31, v46 dst_sel:DWORD dst_unused:UNUSED_PAD src0_sel:DWORD src1_sel:BYTE_0
	v_fma_mix_f32 v51, v52, v10, -v51 op_sel_hi:[0,1,0]
	v_mul_lo_u32 v43, v43, v44
	v_and_b32_sdwa v44, s31, v45 dst_sel:DWORD dst_unused:UNUSED_PAD src0_sel:DWORD src1_sel:BYTE_0
	v_add_f32_e32 v18, v18, v51
	v_lshrrev_b16_e32 v51, 8, v45
	v_mul_lo_u32 v44, v48, v44
	v_dot4_i32_i8 v41, v8, v41, 0
	v_lshrrev_b16_e32 v52, 8, v46
	v_dot4_i32_i8 v40, v9, v40, v41
	v_mul_lo_u32 v41, v56, v51
	v_mul_lo_u32 v40, v40, v52
	v_cvt_f32_i32_e32 v43, v43
	v_cvt_f32_i32_e32 v44, v44
	;; [unrolled: 1-line block ×4, first 2 shown]
	v_fma_mix_f32 v43, v11, v43, 0 op_sel_hi:[1,0,0]
	v_fma_mix_f32 v11, v11, v44, 0 op_sel_hi:[1,0,0]
	;; [unrolled: 1-line block ×4, first 2 shown]
	v_mul_f32_e32 v11, v11, v47
	v_fma_mix_f32 v11, v40, v36, -v11 op_sel_hi:[0,1,0]
	v_add_f32_e32 v19, v19, v11
	v_dot4_i32_i8 v11, s29, v34, 0
	v_dot4_i32_i8 v43, v77, v34, 0
	;; [unrolled: 1-line block ×4, first 2 shown]
	v_lshrrev_b16_e32 v40, 8, v37
	v_lshrrev_b32_e32 v41, 24, v37
	v_dot4_i32_i8 v43, v74, v33, v43
	v_bfe_u32 v44, v37, 16, 8
	v_and_b32_e32 v37, 0xff, v37
	v_dot4_i32_i8 v39, s29, v31, v39
	v_mul_lo_u32 v43, v43, v44
	v_mul_lo_u32 v37, v11, v37
	v_dot4_i32_i8 v44, v53, v32, 0
	v_dot4_i32_i8 v44, v54, v31, v44
	v_mul_lo_u32 v40, v39, v40
	v_mul_lo_u32 v41, v44, v41
	v_cvt_f32_i32_e32 v37, v37
	v_cvt_f32_i32_e32 v43, v43
	;; [unrolled: 1-line block ×4, first 2 shown]
	v_fma_mix_f32 v37, v29, v37, 0 op_sel_hi:[1,0,0]
	v_fma_mix_f32 v43, v29, v43, 0 op_sel_hi:[1,0,0]
	;; [unrolled: 1-line block ×3, first 2 shown]
	v_dot4_i32_i8 v34, v50, v34, 0
	v_fma_mix_f32 v41, v30, v41, v43 op_sel_hi:[1,0,0]
	v_mul_f32_e32 v37, v37, v55
	v_dot4_i32_i8 v33, v49, v33, v34
	v_bfe_u32 v34, v35, 16, 8
	v_fma_mix_f32 v37, v41, v10, -v37 op_sel_hi:[0,1,0]
	v_mul_lo_u32 v33, v33, v34
	v_and_b32_e32 v34, 0xff, v35
	v_add_f32_e32 v20, v20, v37
	v_lshrrev_b16_e32 v37, 8, v35
	v_mul_lo_u32 v11, v11, v34
	v_dot4_i32_i8 v8, v8, v32, 0
	v_lshrrev_b32_e32 v40, 24, v35
	v_dot4_i32_i8 v8, v9, v31, v8
	v_mul_lo_u32 v9, v39, v37
	v_mul_lo_u32 v8, v8, v40
	v_cvt_f32_i32_e32 v11, v11
	v_cvt_f32_i32_e32 v31, v33
	;; [unrolled: 1-line block ×4, first 2 shown]
	v_fma_mix_f32 v11, v29, v11, 0 op_sel_hi:[1,0,0]
	v_fma_mix_f32 v31, v29, v31, 0 op_sel_hi:[1,0,0]
	;; [unrolled: 1-line block ×4, first 2 shown]
	v_mul_f32_e32 v9, v9, v47
	v_fma_mix_f32 v8, v8, v36, -v9 op_sel_hi:[0,1,0]
	v_dot4_i32_i8 v9, v77, v70, 0
	v_and_b32_sdwa v11, s31, v42 dst_sel:DWORD dst_unused:UNUSED_PAD src0_sel:DWORD src1_sel:BYTE_0
	v_add_f32_e32 v21, v21, v8
	v_lshrrev_b16_e32 v8, 8, v42
	v_dot4_i32_i8 v9, v74, v69, v9
	v_mul_lo_u32 v6, v6, v11
	v_dot4_i32_i8 v11, v53, v68, 0
	v_and_b32_sdwa v30, s31, v38 dst_sel:DWORD dst_unused:UNUSED_PAD src0_sel:DWORD src1_sel:BYTE_0
	v_dot4_i32_i8 v11, v54, v67, v11
	v_lshrrev_b16_e32 v29, 8, v38
	v_mul_lo_u32 v9, v9, v30
	v_mul_lo_u32 v7, v7, v8
	;; [unrolled: 1-line block ×3, first 2 shown]
	v_cvt_f32_i32_e32 v6, v6
	v_cvt_f32_i32_e32 v8, v9
	;; [unrolled: 1-line block ×4, first 2 shown]
	v_fma_mix_f32 v6, v63, v6, 0 op_sel_hi:[1,0,0]
	v_fma_mix_f32 v8, v63, v8, 0 op_sel_hi:[1,0,0]
	;; [unrolled: 1-line block ×3, first 2 shown]
	v_add_co_u32_e32 v2, vcc, 0x480, v2
	v_fma_mix_f32 v8, v66, v9, v8 op_sel_hi:[1,0,0]
	v_mul_f32_e32 v6, v6, v55
	v_add_u32_e32 v22, 4, v22
	v_addc_co_u32_e32 v3, vcc, 0, v3, vcc
	v_fma_mix_f32 v6, v8, v10, -v6 op_sel_hi:[0,1,0]
	v_cmp_le_u32_e32 vcc, s9, v22
	v_add_f32_e32 v12, v12, v6
	s_or_b64 s[16:17], vcc, s[16:17]
	v_add_u32_e32 v28, 32, v28
	s_andn2_b64 exec, exec, s[16:17]
	s_cbranch_execz .LBB140_39
.LBB140_3:                              ; =>This Inner Loop Header: Depth=1
	v_mov_b32_e32 v8, s20
	v_add_u32_e32 v10, s3, v22
	v_mov_b32_e32 v9, s21
	v_mad_i64_i32 v[8:9], s[22:23], v10, s25, v[8:9]
	v_add_co_u32_e32 v6, vcc, v2, v26
	v_addc_co_u32_e32 v7, vcc, 0, v3, vcc
	global_load_dword v29, v[2:3], off offset:-36
	global_load_dword v30, v[2:3], off
	global_load_dword v33, v[6:7], off offset:-32
	global_load_dword v34, v[6:7], off offset:-16
	global_load_dword v31, v[6:7], off offset:4
	global_load_dword v32, v[6:7], off offset:20
	v_add_co_u32_e32 v6, vcc, v8, v24
	v_addc_co_u32_e32 v7, vcc, 0, v9, vcc
	v_add_co_u32_e32 v6, vcc, v6, v26
	v_addc_co_u32_e32 v7, vcc, 0, v7, vcc
	;; [unrolled: 2-line block ×3, first 2 shown]
	global_load_dword v48, v[6:7], off offset:48
	global_load_dword v47, v[6:7], off offset:64
	;; [unrolled: 1-line block ×4, first 2 shown]
	v_lshlrev_b32_e32 v37, 1, v23
	v_add_co_u32_e32 v6, vcc, v8, v37
	v_addc_co_u32_e32 v7, vcc, 0, v9, vcc
                                        ; implicit-def: $vgpr35
                                        ; implicit-def: $vgpr63
                                        ; implicit-def: $vgpr66
	s_and_saveexec_b64 s[22:23], s[0:1]
	s_xor_b64 s[22:23], exec, s[22:23]
	s_cbranch_execz .LBB140_5
; %bb.4:                                ;   in Loop: Header=BB140_3 Depth=1
	global_load_ushort v10, v[6:7], off
	global_load_ushort v63, v[6:7], off offset:8
	global_load_ushort v66, v[6:7], off offset:4
	s_waitcnt vmcnt(1)
	v_perm_b32 v10, v10, v63, s26
	s_waitcnt vmcnt(0)
	v_perm_b32 v11, v63, v66, s26
	v_pk_lshrrev_b16 v11, 2, v11
	v_pk_lshrrev_b16 v10, s27, v10
	v_and_b32_e32 v11, 0xf0f3030, v11
	v_and_or_b32 v35, v10, s28, v11
.LBB140_5:                              ;   in Loop: Header=BB140_3 Depth=1
	s_andn2_saveexec_b64 s[22:23], s[22:23]
	s_cbranch_execz .LBB140_7
; %bb.6:                                ;   in Loop: Header=BB140_3 Depth=1
	global_load_ushort v66, v[6:7], off offset:4
	global_load_ushort v63, v[6:7], off offset:8
	s_waitcnt vmcnt(0)
	v_perm_b32 v10, v66, v63, s26
	v_and_b32_e32 v35, 0x3f3f3f3f, v10
.LBB140_7:                              ;   in Loop: Header=BB140_3 Depth=1
	s_or_b64 exec, exec, s[22:23]
	v_mov_b32_e32 v10, s20
	v_add_u32_e32 v36, s12, v22
	v_mov_b32_e32 v11, s21
	v_mad_i64_i32 v[10:11], s[22:23], v36, s25, v[10:11]
                                        ; implicit-def: $vgpr67
                                        ; implicit-def: $vgpr68
	v_add_co_u32_e32 v36, vcc, v10, v24
	v_addc_co_u32_e32 v39, vcc, 0, v11, vcc
	v_add_co_u32_e32 v38, vcc, v36, v26
	v_addc_co_u32_e32 v39, vcc, 0, v39, vcc
	;; [unrolled: 2-line block ×3, first 2 shown]
	global_load_dword v36, v[8:9], off
	global_load_dword v54, v[38:39], off offset:48
	global_load_dword v53, v[38:39], off offset:64
	;; [unrolled: 1-line block ×4, first 2 shown]
	v_add_co_u32_e32 v8, vcc, v10, v37
	v_addc_co_u32_e32 v9, vcc, 0, v11, vcc
                                        ; implicit-def: $vgpr37
	s_and_saveexec_b64 s[22:23], s[0:1]
	s_xor_b64 s[22:23], exec, s[22:23]
	s_cbranch_execz .LBB140_9
; %bb.8:                                ;   in Loop: Header=BB140_3 Depth=1
	global_load_ushort v37, v[8:9], off
	global_load_ushort v67, v[8:9], off offset:8
	global_load_ushort v68, v[8:9], off offset:4
	s_waitcnt vmcnt(1)
	v_perm_b32 v37, v37, v67, s26
	s_waitcnt vmcnt(0)
	v_perm_b32 v38, v67, v68, s26
	v_pk_lshrrev_b16 v38, 2, v38
	v_pk_lshrrev_b16 v37, s27, v37
	v_and_b32_e32 v38, 0xf0f3030, v38
	v_and_or_b32 v37, v37, s28, v38
.LBB140_9:                              ;   in Loop: Header=BB140_3 Depth=1
	s_andn2_saveexec_b64 s[22:23], s[22:23]
	s_cbranch_execz .LBB140_11
; %bb.10:                               ;   in Loop: Header=BB140_3 Depth=1
	global_load_ushort v68, v[8:9], off offset:4
	global_load_ushort v67, v[8:9], off offset:8
	s_waitcnt vmcnt(0)
	v_perm_b32 v37, v68, v67, s26
	v_and_b32_e32 v37, 0x3f3f3f3f, v37
.LBB140_11:                             ;   in Loop: Header=BB140_3 Depth=1
	s_or_b64 exec, exec, s[22:23]
	v_add_u32_e32 v38, s13, v28
	v_mad_u64_u32 v[45:46], s[22:23], v38, 36, v[4:5]
	v_lshlrev_b32_e32 v69, 2, v25
	global_load_dword v10, v[10:11], off
	v_add_co_u32_e32 v51, vcc, v45, v69
	v_addc_co_u32_e32 v52, vcc, 0, v46, vcc
	global_load_dword v11, v[45:46], off
	global_load_dword v43, v[51:52], off offset:4
	global_load_dword v44, v[51:52], off offset:20
	;; [unrolled: 1-line block ×5, first 2 shown]
	v_lshrrev_b16_e32 v38, 4, v63
	v_lshrrev_b16_e32 v42, 2, v66
	v_and_b32_e32 v77, 0xf0f, v63
	v_and_b32_e32 v78, 0xf0f, v38
	;; [unrolled: 1-line block ×3, first 2 shown]
                                        ; implicit-def: $vgpr46
                                        ; implicit-def: $vgpr45
	s_and_saveexec_b64 s[22:23], s[0:1]
	s_xor_b64 s[22:23], exec, s[22:23]
	s_cbranch_execz .LBB140_13
; %bb.12:                               ;   in Loop: Header=BB140_3 Depth=1
	global_load_ushort v38, v[6:7], off
	v_or_b32_e32 v45, v79, v78
	s_waitcnt vmcnt(0)
	v_lshrrev_b16_e32 v38, 2, v38
	v_and_b32_e32 v38, 0x3030, v38
	v_or_b32_e32 v46, v38, v77
.LBB140_13:                             ;   in Loop: Header=BB140_3 Depth=1
	s_or_saveexec_b64 s[22:23], s[22:23]
	v_and_b32_e32 v71, 0x3f3f, v66
	v_and_b32_e32 v74, 0x3f3f, v63
	s_xor_b64 exec, exec, s[22:23]
; %bb.14:                               ;   in Loop: Header=BB140_3 Depth=1
	v_and_b32_e32 v46, 0x3f3f, v66
	v_and_b32_e32 v45, 0x3f3f, v63
; %bb.15:                               ;   in Loop: Header=BB140_3 Depth=1
	s_or_b64 exec, exec, s[22:23]
	v_lshrrev_b16_e32 v38, 4, v67
	v_lshrrev_b16_e32 v42, 2, v68
	v_and_b32_e32 v80, 0xf0f, v67
	v_and_b32_e32 v82, 0xf0f, v38
	;; [unrolled: 1-line block ×3, first 2 shown]
                                        ; implicit-def: $vgpr52
                                        ; implicit-def: $vgpr51
	s_and_saveexec_b64 s[22:23], s[0:1]
	s_xor_b64 s[22:23], exec, s[22:23]
	s_cbranch_execz .LBB140_17
; %bb.16:                               ;   in Loop: Header=BB140_3 Depth=1
	global_load_ushort v38, v[8:9], off
	v_or_b32_e32 v51, v83, v82
	s_waitcnt vmcnt(0)
	v_lshrrev_b16_e32 v38, 2, v38
	v_and_b32_e32 v38, 0x3030, v38
	v_or_b32_e32 v52, v38, v80
.LBB140_17:                             ;   in Loop: Header=BB140_3 Depth=1
	s_or_saveexec_b64 s[22:23], s[22:23]
	v_and_b32_e32 v38, 0x3f3f, v68
	v_and_b32_e32 v42, 0x3f3f, v67
	s_xor_b64 exec, exec, s[22:23]
; %bb.18:                               ;   in Loop: Header=BB140_3 Depth=1
	v_and_b32_e32 v52, 0x3f3f, v68
	v_and_b32_e32 v51, 0x3f3f, v67
; %bb.19:                               ;   in Loop: Header=BB140_3 Depth=1
	s_or_b64 exec, exec, s[22:23]
	v_add_u32_e32 v57, s15, v28
	v_mad_u64_u32 v[64:65], s[22:23], v57, 36, v[4:5]
	v_add_co_u32_e32 v72, vcc, v64, v69
	v_addc_co_u32_e32 v73, vcc, 0, v65, vcc
	global_load_dword v57, v[64:65], off
	global_load_dword v61, v[72:73], off offset:4
	global_load_dword v62, v[72:73], off offset:20
	;; [unrolled: 1-line block ×5, first 2 shown]
                                        ; implicit-def: $vgpr65
                                        ; implicit-def: $vgpr64
	s_and_saveexec_b64 s[22:23], s[0:1]
	s_xor_b64 s[22:23], exec, s[22:23]
	s_cbranch_execz .LBB140_21
; %bb.20:                               ;   in Loop: Header=BB140_3 Depth=1
	global_load_ushort v64, v[6:7], off
	s_waitcnt vmcnt(0)
	v_lshrrev_b16_e32 v64, 2, v64
	v_and_b32_e32 v64, 0x3030, v64
	v_or_b32_e32 v65, v64, v77
	v_or_b32_e32 v64, v79, v78
	s_andn2_saveexec_b64 s[22:23], s[22:23]
	s_branch .LBB140_22
.LBB140_21:                             ;   in Loop: Header=BB140_3 Depth=1
	s_andn2_saveexec_b64 s[22:23], s[22:23]
.LBB140_22:                             ;   in Loop: Header=BB140_3 Depth=1
	v_and_b32_e32 v65, 0x3f3f, v66
	v_and_b32_e32 v64, 0x3f3f, v63
; %bb.23:                               ;   in Loop: Header=BB140_3 Depth=1
	s_or_b64 exec, exec, s[22:23]
                                        ; implicit-def: $vgpr73
                                        ; implicit-def: $vgpr72
	s_and_saveexec_b64 s[22:23], s[0:1]
	s_xor_b64 s[22:23], exec, s[22:23]
	s_cbranch_execz .LBB140_25
; %bb.24:                               ;   in Loop: Header=BB140_3 Depth=1
	global_load_ushort v70, v[8:9], off
	v_or_b32_e32 v72, v83, v82
	s_waitcnt vmcnt(0)
	v_lshrrev_b16_e32 v70, 2, v70
	v_and_b32_e32 v70, 0x3030, v70
	v_or_b32_e32 v73, v70, v80
	s_andn2_saveexec_b64 s[22:23], s[22:23]
	s_cbranch_execnz .LBB140_26
	s_branch .LBB140_27
.LBB140_25:                             ;   in Loop: Header=BB140_3 Depth=1
	s_andn2_saveexec_b64 s[22:23], s[22:23]
.LBB140_26:                             ;   in Loop: Header=BB140_3 Depth=1
	v_and_b32_e32 v73, 0x3f3f, v68
	v_and_b32_e32 v72, 0x3f3f, v67
.LBB140_27:                             ;   in Loop: Header=BB140_3 Depth=1
	s_or_b64 exec, exec, s[22:23]
	v_add_u32_e32 v70, s19, v28
	v_mad_u64_u32 v[87:88], s[22:23], v70, 36, v[4:5]
	v_add_co_u32_e32 v89, vcc, v87, v69
	v_addc_co_u32_e32 v90, vcc, 0, v88, vcc
	global_load_dword v75, v[87:88], off
	global_load_dword v85, v[89:90], off offset:4
	global_load_dword v86, v[89:90], off offset:20
	;; [unrolled: 1-line block ×5, first 2 shown]
                                        ; implicit-def: $vgpr88
                                        ; implicit-def: $vgpr87
	s_and_saveexec_b64 s[22:23], s[0:1]
	s_xor_b64 s[22:23], exec, s[22:23]
	s_cbranch_execz .LBB140_29
; %bb.28:                               ;   in Loop: Header=BB140_3 Depth=1
	global_load_ushort v63, v[6:7], off
	v_or_b32_e32 v87, v79, v78
                                        ; implicit-def: $vgpr66
	s_waitcnt vmcnt(0)
	v_lshrrev_b16_e32 v63, 2, v63
	v_and_b32_e32 v63, 0x3030, v63
	v_or_b32_e32 v88, v63, v77
                                        ; implicit-def: $vgpr63
	s_andn2_saveexec_b64 s[22:23], s[22:23]
	s_branch .LBB140_30
.LBB140_29:                             ;   in Loop: Header=BB140_3 Depth=1
	s_andn2_saveexec_b64 s[22:23], s[22:23]
.LBB140_30:                             ;   in Loop: Header=BB140_3 Depth=1
	v_and_b32_e32 v88, 0x3f3f, v66
	v_and_b32_e32 v87, 0x3f3f, v63
; %bb.31:                               ;   in Loop: Header=BB140_3 Depth=1
	s_or_b64 exec, exec, s[22:23]
                                        ; implicit-def: $vgpr90
                                        ; implicit-def: $vgpr89
	s_and_saveexec_b64 s[22:23], s[0:1]
	s_xor_b64 s[22:23], exec, s[22:23]
	s_cbranch_execz .LBB140_33
; %bb.32:                               ;   in Loop: Header=BB140_3 Depth=1
	global_load_ushort v63, v[8:9], off
	v_or_b32_e32 v89, v83, v82
                                        ; implicit-def: $vgpr68
                                        ; implicit-def: $vgpr67
	s_waitcnt vmcnt(0)
	v_lshrrev_b16_e32 v63, 2, v63
	v_and_b32_e32 v63, 0x3030, v63
	v_or_b32_e32 v90, v63, v80
	s_andn2_saveexec_b64 s[22:23], s[22:23]
	s_cbranch_execnz .LBB140_34
	s_branch .LBB140_35
.LBB140_33:                             ;   in Loop: Header=BB140_3 Depth=1
	s_andn2_saveexec_b64 s[22:23], s[22:23]
.LBB140_34:                             ;   in Loop: Header=BB140_3 Depth=1
	v_and_b32_e32 v90, 0x3f3f, v68
	v_and_b32_e32 v89, 0x3f3f, v67
.LBB140_35:                             ;   in Loop: Header=BB140_3 Depth=1
	s_or_b64 exec, exec, s[22:23]
	v_add_u32_e32 v63, s24, v28
	v_mad_u64_u32 v[91:92], s[22:23], v63, 36, v[4:5]
	v_add_co_u32_e32 v93, vcc, v91, v69
	v_addc_co_u32_e32 v94, vcc, 0, v92, vcc
	global_load_dword v63, v[91:92], off
	global_load_dword v69, v[93:94], off offset:4
	global_load_dword v70, v[93:94], off offset:20
	;; [unrolled: 1-line block ×5, first 2 shown]
	s_and_saveexec_b64 s[22:23], s[0:1]
	s_xor_b64 s[22:23], exec, s[22:23]
	s_cbranch_execz .LBB140_37
; %bb.36:                               ;   in Loop: Header=BB140_3 Depth=1
	global_load_ushort v6, v[6:7], off
	v_or_b32_e32 v74, v79, v78
	s_waitcnt vmcnt(0)
	v_lshrrev_b16_e32 v6, 2, v6
	v_and_b32_e32 v6, 0x3030, v6
	v_or_b32_e32 v71, v6, v77
.LBB140_37:                             ;   in Loop: Header=BB140_3 Depth=1
	s_andn2_saveexec_b64 s[22:23], s[22:23]
	s_or_b64 exec, exec, s[22:23]
	s_and_saveexec_b64 s[22:23], s[0:1]
	s_xor_b64 s[22:23], exec, s[22:23]
	s_cbranch_execz .LBB140_2
; %bb.38:                               ;   in Loop: Header=BB140_3 Depth=1
	global_load_ushort v6, v[8:9], off
	v_or_b32_e32 v42, v83, v82
	s_waitcnt vmcnt(0)
	v_lshrrev_b16_e32 v6, 2, v6
	v_and_b32_e32 v6, 0x3030, v6
	v_or_b32_e32 v38, v6, v80
	s_branch .LBB140_2
.LBB140_39:
	s_or_b64 exec, exec, s[16:17]
.LBB140_40:
	s_or_b64 exec, exec, s[10:11]
	s_mov_b32 s1, 0
	v_cmp_eq_u32_e32 vcc, 0, v1
	; wave barrier
	s_and_saveexec_b64 s[10:11], vcc
	s_cbranch_execz .LBB140_51
; %bb.41:
	v_mbcnt_lo_u32_b32 v1, -1, 0
	v_mbcnt_hi_u32_b32 v6, -1, v1
	v_and_b32_e32 v1, 64, v6
	v_add_u32_e32 v7, 64, v1
	v_xor_b32_e32 v1, 32, v6
	v_cmp_lt_i32_e32 vcc, v1, v7
	v_cndmask_b32_e32 v1, v6, v1, vcc
	v_lshlrev_b32_e32 v1, 2, v1
	ds_bpermute_b32 v5, v1, v21
	ds_bpermute_b32 v8, v1, v20
	v_xor_b32_e32 v2, 16, v6
	v_cmp_lt_i32_e32 vcc, v2, v7
	v_cndmask_b32_e32 v2, v6, v2, vcc
	v_lshlrev_b32_e32 v2, 2, v2
	s_waitcnt lgkmcnt(1)
	v_add_f32_e32 v5, v21, v5
	s_waitcnt lgkmcnt(0)
	v_add_f32_e32 v8, v20, v8
	ds_bpermute_b32 v10, v2, v5
	ds_bpermute_b32 v11, v2, v8
	v_xor_b32_e32 v3, 8, v6
	v_cmp_lt_i32_e32 vcc, v3, v7
	v_cndmask_b32_e32 v3, v6, v3, vcc
	v_lshlrev_b32_e32 v3, 2, v3
	s_waitcnt lgkmcnt(1)
	v_add_f32_e32 v10, v5, v10
	s_waitcnt lgkmcnt(0)
	v_add_f32_e32 v8, v8, v11
	;; [unrolled: 10-line block ×3, first 2 shown]
	ds_bpermute_b32 v20, v4, v10
	ds_bpermute_b32 v11, v4, v8
	v_xor_b32_e32 v9, 2, v6
	v_cmp_lt_i32_e32 vcc, v9, v7
	v_cndmask_b32_e32 v9, v6, v9, vcc
	v_lshlrev_b32_e32 v5, 2, v9
	v_xor_b32_e32 v9, 1, v6
	v_cmp_lt_i32_e32 vcc, v9, v7
	s_waitcnt lgkmcnt(1)
	v_add_f32_e32 v7, v10, v20
	s_waitcnt lgkmcnt(0)
	v_add_f32_e32 v10, v8, v11
	v_cndmask_b32_e32 v6, v6, v9, vcc
	ds_bpermute_b32 v9, v5, v7
	ds_bpermute_b32 v11, v5, v10
	s_load_dwordx2 s[4:5], s[4:5], 0x38
	s_mul_i32 s2, s2, s7
	v_lshlrev_b32_e32 v8, 2, v6
	s_waitcnt lgkmcnt(0)
	v_add_f32_e32 v6, v7, v9
	v_add_f32_e32 v9, v10, v11
	s_mul_i32 s0, s18, s8
	s_add_i32 s2, s2, s6
	ds_bpermute_b32 v7, v8, v6
	ds_bpermute_b32 v10, v8, v9
	s_add_i32 s0, s2, s0
	s_lshl_b64 s[0:1], s[0:1], 2
	s_add_u32 s2, s4, s0
	v_add_u32_e32 v11, s6, v0
	s_addc_u32 s3, s5, s1
	v_cmp_gt_u32_e32 vcc, 2, v0
	v_cmp_gt_u32_e64 s[0:1], s14, v11
	s_and_b64 s[0:1], vcc, s[0:1]
	s_waitcnt lgkmcnt(1)
	v_add_f32_e32 v6, v6, v7
	s_waitcnt lgkmcnt(0)
	v_add_f32_e32 v7, v9, v10
	s_and_saveexec_b64 s[4:5], s[0:1]
	s_cbranch_execz .LBB140_43
; %bb.42:
	v_cmp_eq_u32_e32 vcc, 1, v0
	v_cndmask_b32_e32 v9, v6, v7, vcc
	v_cmp_eq_u32_e32 vcc, 2, v0
	v_cndmask_b32_e32 v9, v9, v19, vcc
	v_cmp_eq_u32_e32 vcc, 3, v0
	v_cndmask_b32_e32 v9, v9, v18, vcc
	v_cmp_eq_u32_e32 vcc, 4, v0
	v_cndmask_b32_e32 v9, v9, v17, vcc
	v_cmp_eq_u32_e32 vcc, 5, v0
	v_cndmask_b32_e32 v9, v9, v16, vcc
	v_cmp_eq_u32_e32 vcc, 6, v0
	v_cndmask_b32_e32 v9, v9, v14, vcc
	v_cmp_eq_u32_e32 vcc, 7, v0
	v_cndmask_b32_e32 v9, v9, v15, vcc
	v_cmp_eq_u32_e32 vcc, 8, v0
	v_cndmask_b32_e32 v9, v9, v13, vcc
	v_cmp_eq_u32_e32 vcc, 9, v0
	v_cndmask_b32_e32 v9, v9, v12, vcc
	v_lshlrev_b32_e32 v10, 2, v0
	global_store_dword v10, v9, s[2:3]
.LBB140_43:
	s_or_b64 exec, exec, s[4:5]
	ds_bpermute_b32 v9, v1, v19
	ds_bpermute_b32 v10, v1, v18
	s_waitcnt lgkmcnt(1)
	v_add_f32_e32 v9, v19, v9
	s_waitcnt lgkmcnt(0)
	v_add_f32_e32 v10, v18, v10
	ds_bpermute_b32 v11, v2, v9
	ds_bpermute_b32 v18, v2, v10
	s_waitcnt lgkmcnt(1)
	v_add_f32_e32 v9, v9, v11
	s_waitcnt lgkmcnt(0)
	v_add_f32_e32 v10, v10, v18
	;; [unrolled: 6-line block ×6, first 2 shown]
	s_and_saveexec_b64 s[4:5], s[0:1]
	s_cbranch_execz .LBB140_45
; %bb.44:
	v_add_u32_e32 v11, 2, v0
	v_cmp_eq_u32_e32 vcc, 1, v11
	v_cndmask_b32_e32 v18, v6, v7, vcc
	v_cmp_eq_u32_e32 vcc, 2, v11
	v_cndmask_b32_e32 v18, v18, v10, vcc
	;; [unrolled: 2-line block ×9, first 2 shown]
	v_add_u32_e32 v18, s14, v0
	v_mov_b32_e32 v19, 0
	v_lshlrev_b64 v[18:19], 2, v[18:19]
	v_mov_b32_e32 v20, s3
	v_add_co_u32_e32 v18, vcc, s2, v18
	v_addc_co_u32_e32 v19, vcc, v20, v19, vcc
	global_store_dword v[18:19], v11, off
.LBB140_45:
	s_or_b64 exec, exec, s[4:5]
	ds_bpermute_b32 v11, v1, v17
	ds_bpermute_b32 v18, v1, v16
	s_waitcnt lgkmcnt(1)
	v_add_f32_e32 v11, v17, v11
	s_waitcnt lgkmcnt(0)
	v_add_f32_e32 v16, v16, v18
	ds_bpermute_b32 v17, v2, v11
	ds_bpermute_b32 v18, v2, v16
	s_waitcnt lgkmcnt(1)
	v_add_f32_e32 v11, v11, v17
	s_waitcnt lgkmcnt(0)
	v_add_f32_e32 v16, v16, v18
	;; [unrolled: 6-line block ×6, first 2 shown]
	s_and_saveexec_b64 s[4:5], s[0:1]
	s_cbranch_execz .LBB140_47
; %bb.46:
	v_add_u32_e32 v17, 4, v0
	v_cmp_eq_u32_e32 vcc, 1, v17
	v_cndmask_b32_e32 v18, v6, v7, vcc
	v_cmp_eq_u32_e32 vcc, 2, v17
	v_cndmask_b32_e32 v18, v18, v10, vcc
	;; [unrolled: 2-line block ×9, first 2 shown]
	v_lshl_or_b32 v17, s14, 1, v0
	v_mov_b32_e32 v18, 0
	v_lshlrev_b64 v[17:18], 2, v[17:18]
	v_mov_b32_e32 v20, s3
	v_add_co_u32_e32 v17, vcc, s2, v17
	v_addc_co_u32_e32 v18, vcc, v20, v18, vcc
	global_store_dword v[17:18], v19, off
.LBB140_47:
	s_or_b64 exec, exec, s[4:5]
	ds_bpermute_b32 v17, v1, v14
	ds_bpermute_b32 v18, v1, v15
	s_waitcnt lgkmcnt(1)
	v_add_f32_e32 v14, v14, v17
	s_waitcnt lgkmcnt(0)
	v_add_f32_e32 v15, v15, v18
	ds_bpermute_b32 v17, v2, v14
	ds_bpermute_b32 v18, v2, v15
	s_waitcnt lgkmcnt(1)
	v_add_f32_e32 v14, v14, v17
	s_waitcnt lgkmcnt(0)
	v_add_f32_e32 v15, v15, v18
	;; [unrolled: 6-line block ×6, first 2 shown]
	s_and_saveexec_b64 s[4:5], s[0:1]
	s_cbranch_execz .LBB140_49
; %bb.48:
	v_add_u32_e32 v19, 6, v0
	v_cmp_eq_u32_e32 vcc, 1, v19
	v_cndmask_b32_e32 v17, v6, v7, vcc
	v_cmp_eq_u32_e32 vcc, 2, v19
	v_cndmask_b32_e32 v17, v17, v10, vcc
	;; [unrolled: 2-line block ×8, first 2 shown]
	v_mad_u64_u32 v[17:18], s[6:7], s14, 3, v[0:1]
	v_mov_b32_e32 v18, 0
	v_cmp_eq_u32_e32 vcc, 9, v19
	v_lshlrev_b64 v[17:18], 2, v[17:18]
	v_cndmask_b32_e32 v19, v20, v12, vcc
	v_mov_b32_e32 v20, s3
	v_add_co_u32_e32 v17, vcc, s2, v17
	v_addc_co_u32_e32 v18, vcc, v20, v18, vcc
	global_store_dword v[17:18], v19, off
.LBB140_49:
	s_or_b64 exec, exec, s[4:5]
	ds_bpermute_b32 v17, v1, v13
	ds_bpermute_b32 v1, v1, v12
	s_waitcnt lgkmcnt(1)
	v_add_f32_e32 v13, v13, v17
	s_waitcnt lgkmcnt(0)
	v_add_f32_e32 v1, v12, v1
	ds_bpermute_b32 v12, v2, v13
	ds_bpermute_b32 v2, v2, v1
	s_waitcnt lgkmcnt(1)
	v_add_f32_e32 v12, v13, v12
	s_waitcnt lgkmcnt(0)
	v_add_f32_e32 v1, v1, v2
	;; [unrolled: 6-line block ×5, first 2 shown]
	ds_bpermute_b32 v3, v8, v1
	ds_bpermute_b32 v4, v8, v2
	s_and_b64 exec, exec, s[0:1]
	s_cbranch_execz .LBB140_51
; %bb.50:
	s_waitcnt lgkmcnt(1)
	v_add_f32_e32 v1, v1, v3
	v_add_u32_e32 v3, 8, v0
	v_cmp_eq_u32_e32 vcc, 1, v3
	s_waitcnt lgkmcnt(0)
	v_add_f32_e32 v2, v2, v4
	v_cndmask_b32_e32 v4, v6, v7, vcc
	v_cmp_eq_u32_e32 vcc, 2, v3
	v_cndmask_b32_e32 v4, v4, v10, vcc
	v_cmp_eq_u32_e32 vcc, 3, v3
	;; [unrolled: 2-line block ×8, first 2 shown]
	v_cndmask_b32_e32 v2, v1, v2, vcc
	v_lshl_or_b32 v0, s14, 2, v0
	v_mov_b32_e32 v1, 0
	v_lshlrev_b64 v[0:1], 2, v[0:1]
	v_mov_b32_e32 v3, s3
	v_add_co_u32_e32 v0, vcc, s2, v0
	v_addc_co_u32_e32 v1, vcc, v3, v1, vcc
	global_store_dword v[0:1], v2, off
.LBB140_51:
	s_endpgm
	.section	.rodata,"a",@progbits
	.p2align	6, 0x0
	.amdhsa_kernel _ZL13mul_mat_vec_qIL9ggml_type13ELi5ELb0ELb0EEvPKvS2_PKi31ggml_cuda_mm_fusion_args_devicePfj15HIP_vector_typeIjLj3EEjjjS8_jjjS8_jjjj
		.amdhsa_group_segment_fixed_size 0
		.amdhsa_private_segment_fixed_size 0
		.amdhsa_kernarg_size 144
		.amdhsa_user_sgpr_count 6
		.amdhsa_user_sgpr_private_segment_buffer 1
		.amdhsa_user_sgpr_dispatch_ptr 0
		.amdhsa_user_sgpr_queue_ptr 0
		.amdhsa_user_sgpr_kernarg_segment_ptr 1
		.amdhsa_user_sgpr_dispatch_id 0
		.amdhsa_user_sgpr_flat_scratch_init 0
		.amdhsa_user_sgpr_private_segment_size 0
		.amdhsa_uses_dynamic_stack 0
		.amdhsa_system_sgpr_private_segment_wavefront_offset 0
		.amdhsa_system_sgpr_workgroup_id_x 1
		.amdhsa_system_sgpr_workgroup_id_y 1
		.amdhsa_system_sgpr_workgroup_id_z 1
		.amdhsa_system_sgpr_workgroup_info 0
		.amdhsa_system_vgpr_workitem_id 1
		.amdhsa_next_free_vgpr 95
		.amdhsa_next_free_sgpr 32
		.amdhsa_reserve_vcc 1
		.amdhsa_reserve_flat_scratch 0
		.amdhsa_float_round_mode_32 0
		.amdhsa_float_round_mode_16_64 0
		.amdhsa_float_denorm_mode_32 3
		.amdhsa_float_denorm_mode_16_64 3
		.amdhsa_dx10_clamp 1
		.amdhsa_ieee_mode 1
		.amdhsa_fp16_overflow 0
		.amdhsa_exception_fp_ieee_invalid_op 0
		.amdhsa_exception_fp_denorm_src 0
		.amdhsa_exception_fp_ieee_div_zero 0
		.amdhsa_exception_fp_ieee_overflow 0
		.amdhsa_exception_fp_ieee_underflow 0
		.amdhsa_exception_fp_ieee_inexact 0
		.amdhsa_exception_int_div_zero 0
	.end_amdhsa_kernel
	.section	.text._ZL13mul_mat_vec_qIL9ggml_type13ELi5ELb0ELb0EEvPKvS2_PKi31ggml_cuda_mm_fusion_args_devicePfj15HIP_vector_typeIjLj3EEjjjS8_jjjS8_jjjj,"axG",@progbits,_ZL13mul_mat_vec_qIL9ggml_type13ELi5ELb0ELb0EEvPKvS2_PKi31ggml_cuda_mm_fusion_args_devicePfj15HIP_vector_typeIjLj3EEjjjS8_jjjS8_jjjj,comdat
.Lfunc_end140:
	.size	_ZL13mul_mat_vec_qIL9ggml_type13ELi5ELb0ELb0EEvPKvS2_PKi31ggml_cuda_mm_fusion_args_devicePfj15HIP_vector_typeIjLj3EEjjjS8_jjjS8_jjjj, .Lfunc_end140-_ZL13mul_mat_vec_qIL9ggml_type13ELi5ELb0ELb0EEvPKvS2_PKi31ggml_cuda_mm_fusion_args_devicePfj15HIP_vector_typeIjLj3EEjjjS8_jjjS8_jjjj
                                        ; -- End function
	.set _ZL13mul_mat_vec_qIL9ggml_type13ELi5ELb0ELb0EEvPKvS2_PKi31ggml_cuda_mm_fusion_args_devicePfj15HIP_vector_typeIjLj3EEjjjS8_jjjS8_jjjj.num_vgpr, 95
	.set _ZL13mul_mat_vec_qIL9ggml_type13ELi5ELb0ELb0EEvPKvS2_PKi31ggml_cuda_mm_fusion_args_devicePfj15HIP_vector_typeIjLj3EEjjjS8_jjjS8_jjjj.num_agpr, 0
	.set _ZL13mul_mat_vec_qIL9ggml_type13ELi5ELb0ELb0EEvPKvS2_PKi31ggml_cuda_mm_fusion_args_devicePfj15HIP_vector_typeIjLj3EEjjjS8_jjjS8_jjjj.numbered_sgpr, 32
	.set _ZL13mul_mat_vec_qIL9ggml_type13ELi5ELb0ELb0EEvPKvS2_PKi31ggml_cuda_mm_fusion_args_devicePfj15HIP_vector_typeIjLj3EEjjjS8_jjjS8_jjjj.num_named_barrier, 0
	.set _ZL13mul_mat_vec_qIL9ggml_type13ELi5ELb0ELb0EEvPKvS2_PKi31ggml_cuda_mm_fusion_args_devicePfj15HIP_vector_typeIjLj3EEjjjS8_jjjS8_jjjj.private_seg_size, 0
	.set _ZL13mul_mat_vec_qIL9ggml_type13ELi5ELb0ELb0EEvPKvS2_PKi31ggml_cuda_mm_fusion_args_devicePfj15HIP_vector_typeIjLj3EEjjjS8_jjjS8_jjjj.uses_vcc, 1
	.set _ZL13mul_mat_vec_qIL9ggml_type13ELi5ELb0ELb0EEvPKvS2_PKi31ggml_cuda_mm_fusion_args_devicePfj15HIP_vector_typeIjLj3EEjjjS8_jjjS8_jjjj.uses_flat_scratch, 0
	.set _ZL13mul_mat_vec_qIL9ggml_type13ELi5ELb0ELb0EEvPKvS2_PKi31ggml_cuda_mm_fusion_args_devicePfj15HIP_vector_typeIjLj3EEjjjS8_jjjS8_jjjj.has_dyn_sized_stack, 0
	.set _ZL13mul_mat_vec_qIL9ggml_type13ELi5ELb0ELb0EEvPKvS2_PKi31ggml_cuda_mm_fusion_args_devicePfj15HIP_vector_typeIjLj3EEjjjS8_jjjS8_jjjj.has_recursion, 0
	.set _ZL13mul_mat_vec_qIL9ggml_type13ELi5ELb0ELb0EEvPKvS2_PKi31ggml_cuda_mm_fusion_args_devicePfj15HIP_vector_typeIjLj3EEjjjS8_jjjS8_jjjj.has_indirect_call, 0
	.section	.AMDGPU.csdata,"",@progbits
; Kernel info:
; codeLenInByte = 5612
; TotalNumSgprs: 36
; NumVgprs: 95
; ScratchSize: 0
; MemoryBound: 0
; FloatMode: 240
; IeeeMode: 1
; LDSByteSize: 0 bytes/workgroup (compile time only)
; SGPRBlocks: 4
; VGPRBlocks: 23
; NumSGPRsForWavesPerEU: 36
; NumVGPRsForWavesPerEU: 95
; Occupancy: 2
; WaveLimiterHint : 0
; COMPUTE_PGM_RSRC2:SCRATCH_EN: 0
; COMPUTE_PGM_RSRC2:USER_SGPR: 6
; COMPUTE_PGM_RSRC2:TRAP_HANDLER: 0
; COMPUTE_PGM_RSRC2:TGID_X_EN: 1
; COMPUTE_PGM_RSRC2:TGID_Y_EN: 1
; COMPUTE_PGM_RSRC2:TGID_Z_EN: 1
; COMPUTE_PGM_RSRC2:TIDIG_COMP_CNT: 1
	.section	.text._ZL13mul_mat_vec_qIL9ggml_type13ELi6ELb0ELb0EEvPKvS2_PKi31ggml_cuda_mm_fusion_args_devicePfj15HIP_vector_typeIjLj3EEjjjS8_jjjS8_jjjj,"axG",@progbits,_ZL13mul_mat_vec_qIL9ggml_type13ELi6ELb0ELb0EEvPKvS2_PKi31ggml_cuda_mm_fusion_args_devicePfj15HIP_vector_typeIjLj3EEjjjS8_jjjS8_jjjj,comdat
	.globl	_ZL13mul_mat_vec_qIL9ggml_type13ELi6ELb0ELb0EEvPKvS2_PKi31ggml_cuda_mm_fusion_args_devicePfj15HIP_vector_typeIjLj3EEjjjS8_jjjS8_jjjj ; -- Begin function _ZL13mul_mat_vec_qIL9ggml_type13ELi6ELb0ELb0EEvPKvS2_PKi31ggml_cuda_mm_fusion_args_devicePfj15HIP_vector_typeIjLj3EEjjjS8_jjjS8_jjjj
	.p2align	8
	.type	_ZL13mul_mat_vec_qIL9ggml_type13ELi6ELb0ELb0EEvPKvS2_PKi31ggml_cuda_mm_fusion_args_devicePfj15HIP_vector_typeIjLj3EEjjjS8_jjjS8_jjjj,@function
_ZL13mul_mat_vec_qIL9ggml_type13ELi6ELb0ELb0EEvPKvS2_PKi31ggml_cuda_mm_fusion_args_devicePfj15HIP_vector_typeIjLj3EEjjjS8_jjjS8_jjjj: ; @_ZL13mul_mat_vec_qIL9ggml_type13ELi6ELb0ELb0EEvPKvS2_PKi31ggml_cuda_mm_fusion_args_devicePfj15HIP_vector_typeIjLj3EEjjjS8_jjjS8_jjjj
; %bb.0:
	s_load_dword s9, s[4:5], 0x40
	s_load_dwordx4 s[12:15], s[4:5], 0x50
	s_load_dword s25, s[4:5], 0x60
	s_load_dwordx4 s[0:3], s[4:5], 0x68
	s_load_dword s24, s[4:5], 0x78
	s_load_dwordx4 s[16:19], s[4:5], 0x80
	v_lshl_or_b32 v2, v1, 6, v0
	s_waitcnt lgkmcnt(0)
	s_lshr_b32 s9, s9, 8
	v_lshrrev_b32_e32 v24, 4, v2
	v_mov_b32_e32 v12, 0
	s_lshl_b32 s6, s6, 1
	v_cmp_gt_u32_e32 vcc, s9, v24
	v_mov_b32_e32 v13, v12
	v_mov_b32_e32 v15, v12
	;; [unrolled: 1-line block ×11, first 2 shown]
	s_and_saveexec_b64 s[10:11], vcc
	s_cbranch_execz .LBB141_48
; %bb.1:
	s_mul_hi_u32 s15, s15, s7
	s_add_i32 s15, s7, s15
	s_load_dwordx4 s[20:23], s[4:5], 0x0
	s_lshr_b32 s15, s15, s25
	s_mul_i32 s15, s15, s0
	s_mul_hi_u32 s0, s3, s8
	s_add_i32 s0, s8, s0
	s_lshr_b32 s0, s0, s24
	s_mul_i32 s3, s17, s8
	s_mul_i32 s0, s0, s16
	s_mul_hi_u32 s16, s3, 36
	s_mul_i32 s3, s3, 36
	s_waitcnt lgkmcnt(0)
	s_add_u32 s3, s22, s3
	s_mul_i32 s1, s1, s7
	s_addc_u32 s16, s23, s16
	s_mul_hi_u32 s17, s1, 36
	s_mul_i32 s1, s1, 36
	s_add_u32 s22, s3, s1
	v_lshlrev_b32_e32 v2, 1, v0
	s_addc_u32 s23, s16, s17
	v_and_b32_e32 v3, 30, v2
	v_bfe_u32 v25, v2, 3, 2
	s_add_i32 s16, s6, 1
	v_bfe_u32 v2, v0, 2, 2
	s_add_i32 s15, s0, s15
	v_cmp_lt_u32_e64 s[0:1], 15, v3
	s_mul_i32 s3, s6, s12
	s_mul_i32 s12, s12, s16
	v_mul_hi_u32_u24_e32 v3, 0x48, v2
	v_mul_u32_u24_e32 v2, 0x48, v2
	s_movk_i32 s16, 0x120
	v_mad_u64_u32 v[2:3], s[16:17], v24, s16, v[2:3]
	v_lshlrev_b32_e32 v29, 1, v25
	v_mov_b32_e32 v4, s23
	v_add_co_u32_e32 v2, vcc, s22, v2
	v_addc_co_u32_e32 v3, vcc, v4, v3, vcc
	v_mad_u64_u32 v[4:5], s[22:23], v29, 36, s[22:23]
	v_mov_b32_e32 v14, 0
	v_and_b32_e32 v27, 3, v0
	v_add_co_u32_e32 v2, vcc, 36, v2
	v_lshlrev_b32_e32 v26, 5, v25
	v_lshlrev_b32_e32 v28, 2, v27
	s_add_i32 s3, s15, s3
	s_add_i32 s12, s15, s12
	v_addc_co_u32_e32 v3, vcc, 0, v3, vcc
	s_lshl_b32 s15, s13, 1
	v_lshlrev_b32_e32 v30, 3, v24
	s_mul_i32 s19, s13, 3
	s_lshl_b32 s24, s13, 2
	s_mul_i32 s25, s13, 5
	s_mov_b64 s[16:17], 0
	s_movk_i32 s26, 0xb0
	s_mov_b32 s27, 0x5040100
	s_mov_b32 s28, 0x20004
	;; [unrolled: 1-line block ×6, first 2 shown]
	v_mov_b32_e32 v16, v14
	v_mov_b32_e32 v17, v14
	;; [unrolled: 1-line block ×11, first 2 shown]
	s_branch .LBB141_3
.LBB141_2:                              ;   in Loop: Header=BB141_3 Depth=1
	s_andn2_saveexec_b64 s[22:23], s[22:23]
	s_or_b64 exec, exec, s[22:23]
	s_waitcnt vmcnt(36)
	v_ashrrev_i32_e32 v8, v29, v54
	v_ashrrev_i32_e32 v9, v29, v53
	v_and_b32_e32 v54, 0xf0f0f0f, v51
	v_lshlrev_b32_e32 v86, 4, v8
	v_and_b32_e32 v53, 0xf0f0f0f, v52
	v_lshlrev_b32_e32 v85, 4, v9
	v_and_or_b32 v54, v86, s31, v54
	v_lshrrev_b32_e32 v51, 4, v51
	v_and_or_b32 v53, v85, s31, v53
	v_lshrrev_b32_e32 v52, 4, v52
	v_and_b32_e32 v51, 0xf0f0f0f, v51
	v_lshlrev_b32_e32 v8, 3, v8
	s_waitcnt vmcnt(3)
	v_dot4_i32_i8 v86, v54, v74, 0
	v_dot4_i32_i8 v6, s30, v74, 0
	v_and_b32_e32 v52, 0xf0f0f0f, v52
	v_lshlrev_b32_e32 v9, 3, v9
	v_and_or_b32 v8, v8, s31, v51
	v_lshrrev_b16_e32 v85, 8, v77
	v_dot4_i32_i8 v86, v53, v73, v86
	v_and_b32_sdwa v77, s33, v77 dst_sel:DWORD dst_unused:UNUSED_PAD src0_sel:DWORD src1_sel:BYTE_0
	v_dot4_i32_i8 v6, s30, v73, v6
	s_waitcnt vmcnt(1)
	v_dot4_i32_i8 v7, s30, v72, 0
	v_and_or_b32 v9, v9, s31, v52
	v_lshrrev_b16_e32 v52, 8, v78
	v_mul_lo_u32 v77, v86, v77
	v_and_b32_sdwa v78, s33, v78 dst_sel:DWORD dst_unused:UNUSED_PAD src0_sel:DWORD src1_sel:BYTE_0
	v_dot4_i32_i8 v86, v8, v72, 0
	v_dot4_i32_i8 v7, s30, v71, v7
	v_mul_lo_u32 v78, v6, v78
	v_dot4_i32_i8 v86, v9, v71, v86
	v_mul_lo_u32 v85, v86, v85
	v_mul_lo_u32 v52, v7, v52
	v_cvt_f32_i32_e32 v77, v77
	v_cvt_f32_i32_e32 v78, v78
	;; [unrolled: 1-line block ×4, first 2 shown]
	v_cvt_f32_f16_sdwa v51, v38 dst_sel:DWORD dst_unused:UNUSED_PAD src0_sel:WORD_1
	v_fma_mix_f32 v77, v69, v77, 0 op_sel_hi:[1,0,0]
	v_fma_mix_f32 v78, v69, v78, 0 op_sel_hi:[1,0,0]
	v_ashrrev_i32_e32 v64, v29, v64
	s_waitcnt vmcnt(0)
	v_fma_mix_f32 v77, v70, v85, v77 op_sel_hi:[1,0,0]
	v_fma_mix_f32 v52, v70, v52, v78 op_sel_hi:[1,0,0]
	v_ashrrev_i32_e32 v62, v29, v62
	v_and_b32_e32 v85, 0xf0f0f0f, v57
	v_lshlrev_b32_e32 v87, 4, v64
	v_mul_f32_e32 v52, v52, v51
	v_and_b32_e32 v78, 0xf0f0f0f, v58
	v_lshlrev_b32_e32 v86, 4, v62
	v_and_or_b32 v85, v87, s31, v85
	v_lshrrev_b32_e32 v57, 4, v57
	v_fma_mix_f32 v52, v77, v38, -v52 op_sel_hi:[0,1,0]
	v_and_or_b32 v78, v86, s31, v78
	v_lshrrev_b32_e32 v58, 4, v58
	v_and_b32_e32 v57, 0xf0f0f0f, v57
	v_lshlrev_b32_e32 v64, 3, v64
	v_dot4_i32_i8 v87, v85, v98, 0
	v_add_f32_e32 v13, v13, v52
	v_dot4_i32_i8 v52, s30, v98, 0
	v_and_b32_e32 v58, 0xf0f0f0f, v58
	v_lshlrev_b32_e32 v62, 3, v62
	v_and_or_b32 v57, v64, s31, v57
	v_dot4_i32_i8 v87, v78, v97, v87
	v_and_b32_sdwa v88, s33, v102 dst_sel:DWORD dst_unused:UNUSED_PAD src0_sel:DWORD src1_sel:BYTE_0
	v_dot4_i32_i8 v52, s30, v97, v52
	v_dot4_i32_i8 v77, s30, v96, 0
	v_and_or_b32 v58, v62, s31, v58
	v_mul_lo_u32 v87, v87, v88
	v_and_b32_sdwa v88, s33, v101 dst_sel:DWORD dst_unused:UNUSED_PAD src0_sel:DWORD src1_sel:BYTE_0
	v_dot4_i32_i8 v89, v57, v96, 0
	v_dot4_i32_i8 v77, s30, v95, v77
	v_lshrrev_b16_e32 v64, 8, v101
	v_lshrrev_b16_e32 v86, 8, v102
	v_mul_lo_u32 v88, v52, v88
	v_dot4_i32_i8 v89, v58, v95, v89
	v_mul_lo_u32 v86, v89, v86
	v_mul_lo_u32 v64, v77, v64
	v_cvt_f32_i32_e32 v87, v87
	v_cvt_f32_i32_e32 v88, v88
	;; [unrolled: 1-line block ×4, first 2 shown]
	v_cvt_f32_f16_sdwa v62, v10 dst_sel:DWORD dst_unused:UNUSED_PAD src0_sel:WORD_1
	v_fma_mix_f32 v87, v93, v87, 0 op_sel_hi:[1,0,0]
	v_fma_mix_f32 v88, v93, v88, 0 op_sel_hi:[1,0,0]
	v_fma_mix_f32 v86, v94, v86, v87 op_sel_hi:[1,0,0]
	v_fma_mix_f32 v64, v94, v64, v88 op_sel_hi:[1,0,0]
	v_dot4_i32_i8 v87, v54, v98, 0
	v_mul_f32_e32 v64, v64, v62
	v_dot4_i32_i8 v87, v53, v97, v87
	v_and_b32_sdwa v88, s33, v100 dst_sel:DWORD dst_unused:UNUSED_PAD src0_sel:DWORD src1_sel:BYTE_0
	v_fma_mix_f32 v64, v86, v10, -v64 op_sel_hi:[0,1,0]
	v_mul_lo_u32 v87, v87, v88
	v_and_b32_sdwa v88, s33, v99 dst_sel:DWORD dst_unused:UNUSED_PAD src0_sel:DWORD src1_sel:BYTE_0
	v_add_f32_e32 v15, v15, v64
	v_lshrrev_b16_e32 v64, 8, v99
	v_mul_lo_u32 v52, v52, v88
	v_dot4_i32_i8 v88, v8, v96, 0
	v_lshrrev_b16_e32 v86, 8, v100
	v_dot4_i32_i8 v88, v9, v95, v88
	v_mul_lo_u32 v64, v77, v64
	v_mul_lo_u32 v86, v88, v86
	v_cvt_f32_i32_e32 v52, v52
	v_cvt_f32_i32_e32 v77, v87
	;; [unrolled: 1-line block ×4, first 2 shown]
	v_fma_mix_f32 v52, v93, v52, 0 op_sel_hi:[1,0,0]
	v_fma_mix_f32 v77, v93, v77, 0 op_sel_hi:[1,0,0]
	;; [unrolled: 1-line block ×4, first 2 shown]
	v_mul_f32_e32 v52, v52, v51
	v_fma_mix_f32 v52, v77, v38, -v52 op_sel_hi:[0,1,0]
	v_dot4_i32_i8 v87, v85, v82, 0
	v_add_f32_e32 v14, v14, v52
	v_dot4_i32_i8 v52, s30, v82, 0
	v_dot4_i32_i8 v87, v78, v81, v87
	v_and_b32_sdwa v88, s33, v92 dst_sel:DWORD dst_unused:UNUSED_PAD src0_sel:DWORD src1_sel:BYTE_0
	v_dot4_i32_i8 v52, s30, v81, v52
	v_dot4_i32_i8 v64, s30, v80, 0
	v_mul_lo_u32 v87, v87, v88
	v_and_b32_sdwa v88, s33, v91 dst_sel:DWORD dst_unused:UNUSED_PAD src0_sel:DWORD src1_sel:BYTE_0
	v_dot4_i32_i8 v64, s30, v79, v64
	v_lshrrev_b16_e32 v77, 8, v91
	v_mul_lo_u32 v88, v52, v88
	v_dot4_i32_i8 v89, v57, v80, 0
	v_lshrrev_b16_e32 v86, 8, v92
	v_dot4_i32_i8 v89, v58, v79, v89
	v_mul_lo_u32 v77, v64, v77
	v_mul_lo_u32 v86, v89, v86
	v_cvt_f32_i32_e32 v88, v88
	v_cvt_f32_i32_e32 v87, v87
	;; [unrolled: 1-line block ×4, first 2 shown]
	v_fma_mix_f32 v88, v75, v88, 0 op_sel_hi:[1,0,0]
	v_fma_mix_f32 v87, v75, v87, 0 op_sel_hi:[1,0,0]
	;; [unrolled: 1-line block ×3, first 2 shown]
	v_dot4_i32_i8 v82, v54, v82, 0
	v_fma_mix_f32 v86, v76, v86, v87 op_sel_hi:[1,0,0]
	v_mul_f32_e32 v77, v77, v62
	v_dot4_i32_i8 v81, v53, v81, v82
	v_and_b32_sdwa v82, s33, v84 dst_sel:DWORD dst_unused:UNUSED_PAD src0_sel:DWORD src1_sel:BYTE_0
	v_fma_mix_f32 v77, v86, v10, -v77 op_sel_hi:[0,1,0]
	v_mul_lo_u32 v81, v81, v82
	v_and_b32_sdwa v82, s33, v83 dst_sel:DWORD dst_unused:UNUSED_PAD src0_sel:DWORD src1_sel:BYTE_0
	v_add_f32_e32 v16, v16, v77
	v_lshrrev_b16_e32 v77, 8, v83
	v_mul_lo_u32 v52, v52, v82
	v_dot4_i32_i8 v80, v8, v80, 0
	v_lshrrev_b16_e32 v86, 8, v84
	v_dot4_i32_i8 v79, v9, v79, v80
	v_mul_lo_u32 v64, v64, v77
	v_mul_lo_u32 v79, v79, v86
	v_cvt_f32_i32_e32 v52, v52
	v_cvt_f32_i32_e32 v77, v81
	;; [unrolled: 1-line block ×4, first 2 shown]
	v_fma_mix_f32 v52, v75, v52, 0 op_sel_hi:[1,0,0]
	v_fma_mix_f32 v77, v75, v77, 0 op_sel_hi:[1,0,0]
	;; [unrolled: 1-line block ×4, first 2 shown]
	v_mul_f32_e32 v52, v52, v51
	v_fma_mix_f32 v52, v75, v38, -v52 op_sel_hi:[0,1,0]
	v_add_f32_e32 v17, v17, v52
	v_dot4_i32_i8 v52, s30, v63, 0
	v_dot4_i32_i8 v77, v85, v63, 0
	;; [unrolled: 1-line block ×4, first 2 shown]
	v_lshrrev_b16_e32 v75, 8, v67
	v_lshrrev_b16_e32 v76, 8, v68
	v_dot4_i32_i8 v77, v78, v61, v77
	v_and_b32_sdwa v68, s33, v68 dst_sel:DWORD dst_unused:UNUSED_PAD src0_sel:DWORD src1_sel:BYTE_0
	v_and_b32_sdwa v67, s33, v67 dst_sel:DWORD dst_unused:UNUSED_PAD src0_sel:DWORD src1_sel:BYTE_0
	v_dot4_i32_i8 v64, s30, v59, v64
	v_mul_lo_u32 v68, v77, v68
	v_mul_lo_u32 v67, v52, v67
	v_dot4_i32_i8 v77, v57, v60, 0
	v_dot4_i32_i8 v77, v58, v59, v77
	v_mul_lo_u32 v75, v64, v75
	v_mul_lo_u32 v76, v77, v76
	v_cvt_f32_i32_e32 v67, v67
	v_cvt_f32_i32_e32 v68, v68
	;; [unrolled: 1-line block ×4, first 2 shown]
	v_fma_mix_f32 v67, v55, v67, 0 op_sel_hi:[1,0,0]
	v_fma_mix_f32 v68, v55, v68, 0 op_sel_hi:[1,0,0]
	;; [unrolled: 1-line block ×3, first 2 shown]
	v_dot4_i32_i8 v63, v54, v63, 0
	v_fma_mix_f32 v68, v56, v76, v68 op_sel_hi:[1,0,0]
	v_mul_f32_e32 v67, v67, v62
	v_dot4_i32_i8 v61, v53, v61, v63
	v_and_b32_sdwa v63, s33, v66 dst_sel:DWORD dst_unused:UNUSED_PAD src0_sel:DWORD src1_sel:BYTE_0
	v_fma_mix_f32 v67, v68, v10, -v67 op_sel_hi:[0,1,0]
	v_mul_lo_u32 v61, v61, v63
	v_and_b32_sdwa v63, s33, v65 dst_sel:DWORD dst_unused:UNUSED_PAD src0_sel:DWORD src1_sel:BYTE_0
	v_add_f32_e32 v18, v18, v67
	v_lshrrev_b16_e32 v67, 8, v65
	v_mul_lo_u32 v52, v52, v63
	v_dot4_i32_i8 v60, v8, v60, 0
	v_lshrrev_b16_e32 v68, 8, v66
	v_dot4_i32_i8 v59, v9, v59, v60
	v_mul_lo_u32 v60, v64, v67
	v_mul_lo_u32 v59, v59, v68
	v_cvt_f32_i32_e32 v52, v52
	v_cvt_f32_i32_e32 v61, v61
	v_cvt_f32_i32_e32 v60, v60
	v_cvt_f32_i32_e32 v59, v59
	v_fma_mix_f32 v52, v55, v52, 0 op_sel_hi:[1,0,0]
	v_fma_mix_f32 v61, v55, v61, 0 op_sel_hi:[1,0,0]
	;; [unrolled: 1-line block ×4, first 2 shown]
	v_mul_f32_e32 v52, v52, v51
	v_fma_mix_f32 v52, v55, v38, -v52 op_sel_hi:[0,1,0]
	v_add_f32_e32 v19, v19, v52
	v_dot4_i32_i8 v52, s30, v46, 0
	v_dot4_i32_i8 v60, v85, v46, 0
	v_dot4_i32_i8 v52, s30, v45, v52
	v_dot4_i32_i8 v55, s30, v43, 0
	v_lshrrev_b16_e32 v56, 8, v49
	v_lshrrev_b16_e32 v59, 8, v50
	v_dot4_i32_i8 v60, v78, v45, v60
	v_and_b32_sdwa v50, s33, v50 dst_sel:DWORD dst_unused:UNUSED_PAD src0_sel:DWORD src1_sel:BYTE_0
	v_and_b32_sdwa v49, s33, v49 dst_sel:DWORD dst_unused:UNUSED_PAD src0_sel:DWORD src1_sel:BYTE_0
	v_dot4_i32_i8 v55, s30, v42, v55
	v_mul_lo_u32 v50, v60, v50
	v_mul_lo_u32 v49, v52, v49
	v_dot4_i32_i8 v60, v57, v43, 0
	v_dot4_i32_i8 v60, v58, v42, v60
	v_mul_lo_u32 v56, v55, v56
	v_mul_lo_u32 v59, v60, v59
	v_cvt_f32_i32_e32 v49, v49
	v_cvt_f32_i32_e32 v50, v50
	;; [unrolled: 1-line block ×4, first 2 shown]
	v_fma_mix_f32 v49, v11, v49, 0 op_sel_hi:[1,0,0]
	v_fma_mix_f32 v50, v11, v50, 0 op_sel_hi:[1,0,0]
	;; [unrolled: 1-line block ×3, first 2 shown]
	v_dot4_i32_i8 v46, v54, v46, 0
	v_fma_mix_f32 v50, v41, v59, v50 op_sel_hi:[1,0,0]
	v_mul_f32_e32 v49, v49, v62
	v_dot4_i32_i8 v45, v53, v45, v46
	v_and_b32_sdwa v46, s33, v48 dst_sel:DWORD dst_unused:UNUSED_PAD src0_sel:DWORD src1_sel:BYTE_0
	v_fma_mix_f32 v49, v50, v10, -v49 op_sel_hi:[0,1,0]
	v_mul_lo_u32 v45, v45, v46
	v_and_b32_sdwa v46, s33, v47 dst_sel:DWORD dst_unused:UNUSED_PAD src0_sel:DWORD src1_sel:BYTE_0
	v_add_f32_e32 v20, v20, v49
	v_lshrrev_b16_e32 v49, 8, v47
	v_mul_lo_u32 v46, v52, v46
	v_dot4_i32_i8 v43, v8, v43, 0
	v_lshrrev_b16_e32 v50, 8, v48
	v_dot4_i32_i8 v42, v9, v42, v43
	v_mul_lo_u32 v43, v55, v49
	v_mul_lo_u32 v42, v42, v50
	v_cvt_f32_i32_e32 v45, v45
	v_cvt_f32_i32_e32 v46, v46
	;; [unrolled: 1-line block ×4, first 2 shown]
	v_fma_mix_f32 v45, v11, v45, 0 op_sel_hi:[1,0,0]
	v_fma_mix_f32 v11, v11, v46, 0 op_sel_hi:[1,0,0]
	;; [unrolled: 1-line block ×4, first 2 shown]
	v_mul_f32_e32 v11, v11, v51
	v_fma_mix_f32 v11, v42, v38, -v11 op_sel_hi:[0,1,0]
	v_add_f32_e32 v21, v21, v11
	v_dot4_i32_i8 v11, s30, v36, 0
	v_dot4_i32_i8 v45, v85, v36, 0
	;; [unrolled: 1-line block ×4, first 2 shown]
	v_lshrrev_b16_e32 v42, 8, v39
	v_lshrrev_b32_e32 v43, 24, v39
	v_dot4_i32_i8 v45, v78, v35, v45
	v_bfe_u32 v46, v39, 16, 8
	v_and_b32_e32 v39, 0xff, v39
	v_dot4_i32_i8 v41, s30, v33, v41
	v_mul_lo_u32 v45, v45, v46
	v_mul_lo_u32 v39, v11, v39
	v_dot4_i32_i8 v46, v57, v34, 0
	v_dot4_i32_i8 v46, v58, v33, v46
	v_mul_lo_u32 v42, v41, v42
	v_mul_lo_u32 v43, v46, v43
	v_cvt_f32_i32_e32 v39, v39
	v_cvt_f32_i32_e32 v45, v45
	;; [unrolled: 1-line block ×4, first 2 shown]
	v_fma_mix_f32 v39, v31, v39, 0 op_sel_hi:[1,0,0]
	v_fma_mix_f32 v45, v31, v45, 0 op_sel_hi:[1,0,0]
	;; [unrolled: 1-line block ×3, first 2 shown]
	v_dot4_i32_i8 v36, v54, v36, 0
	v_fma_mix_f32 v43, v32, v43, v45 op_sel_hi:[1,0,0]
	v_mul_f32_e32 v39, v39, v62
	v_dot4_i32_i8 v35, v53, v35, v36
	v_bfe_u32 v36, v37, 16, 8
	v_fma_mix_f32 v39, v43, v10, -v39 op_sel_hi:[0,1,0]
	v_mul_lo_u32 v35, v35, v36
	v_and_b32_e32 v36, 0xff, v37
	v_add_f32_e32 v22, v22, v39
	v_lshrrev_b16_e32 v39, 8, v37
	v_mul_lo_u32 v11, v11, v36
	v_dot4_i32_i8 v8, v8, v34, 0
	v_lshrrev_b32_e32 v42, 24, v37
	v_dot4_i32_i8 v8, v9, v33, v8
	v_mul_lo_u32 v9, v41, v39
	v_mul_lo_u32 v8, v8, v42
	v_cvt_f32_i32_e32 v11, v11
	v_cvt_f32_i32_e32 v33, v35
	;; [unrolled: 1-line block ×4, first 2 shown]
	v_fma_mix_f32 v11, v31, v11, 0 op_sel_hi:[1,0,0]
	v_fma_mix_f32 v33, v31, v33, 0 op_sel_hi:[1,0,0]
	;; [unrolled: 1-line block ×4, first 2 shown]
	v_mul_f32_e32 v9, v9, v51
	v_fma_mix_f32 v8, v8, v38, -v9 op_sel_hi:[0,1,0]
	v_dot4_i32_i8 v9, v85, v74, 0
	v_and_b32_sdwa v11, s33, v44 dst_sel:DWORD dst_unused:UNUSED_PAD src0_sel:DWORD src1_sel:BYTE_0
	v_add_f32_e32 v23, v23, v8
	v_lshrrev_b16_e32 v8, 8, v44
	v_dot4_i32_i8 v9, v78, v73, v9
	v_mul_lo_u32 v6, v6, v11
	v_dot4_i32_i8 v11, v57, v72, 0
	v_and_b32_sdwa v32, s33, v40 dst_sel:DWORD dst_unused:UNUSED_PAD src0_sel:DWORD src1_sel:BYTE_0
	v_dot4_i32_i8 v11, v58, v71, v11
	v_lshrrev_b16_e32 v31, 8, v40
	v_mul_lo_u32 v9, v9, v32
	v_mul_lo_u32 v7, v7, v8
	;; [unrolled: 1-line block ×3, first 2 shown]
	v_cvt_f32_i32_e32 v6, v6
	v_cvt_f32_i32_e32 v8, v9
	v_cvt_f32_i32_e32 v7, v7
	v_cvt_f32_i32_e32 v9, v11
	v_fma_mix_f32 v6, v69, v6, 0 op_sel_hi:[1,0,0]
	v_fma_mix_f32 v8, v69, v8, 0 op_sel_hi:[1,0,0]
	;; [unrolled: 1-line block ×3, first 2 shown]
	v_add_co_u32_e32 v2, vcc, 0x480, v2
	v_fma_mix_f32 v8, v70, v9, v8 op_sel_hi:[1,0,0]
	v_mul_f32_e32 v6, v6, v62
	v_add_u32_e32 v24, 4, v24
	v_addc_co_u32_e32 v3, vcc, 0, v3, vcc
	v_fma_mix_f32 v6, v8, v10, -v6 op_sel_hi:[0,1,0]
	v_cmp_le_u32_e32 vcc, s9, v24
	v_add_f32_e32 v12, v12, v6
	s_or_b64 s[16:17], vcc, s[16:17]
	v_add_u32_e32 v30, 32, v30
	s_andn2_b64 exec, exec, s[16:17]
	s_cbranch_execz .LBB141_47
.LBB141_3:                              ; =>This Inner Loop Header: Depth=1
	v_mov_b32_e32 v8, s20
	v_add_u32_e32 v10, s3, v24
	v_mov_b32_e32 v9, s21
	v_mad_i64_i32 v[8:9], s[22:23], v10, s26, v[8:9]
	v_add_co_u32_e32 v6, vcc, v2, v28
	v_addc_co_u32_e32 v7, vcc, 0, v3, vcc
	global_load_dword v31, v[2:3], off offset:-36
	global_load_dword v32, v[2:3], off
	global_load_dword v35, v[6:7], off offset:-32
	global_load_dword v36, v[6:7], off offset:-16
	global_load_dword v33, v[6:7], off offset:4
	global_load_dword v34, v[6:7], off offset:20
	v_add_co_u32_e32 v6, vcc, v8, v26
	v_addc_co_u32_e32 v7, vcc, 0, v9, vcc
	v_add_co_u32_e32 v6, vcc, v6, v28
	v_addc_co_u32_e32 v7, vcc, 0, v7, vcc
	;; [unrolled: 2-line block ×3, first 2 shown]
	global_load_dword v52, v[6:7], off offset:48
	global_load_dword v51, v[6:7], off offset:64
	;; [unrolled: 1-line block ×4, first 2 shown]
	v_lshlrev_b32_e32 v39, 1, v25
	v_add_co_u32_e32 v6, vcc, v8, v39
	v_addc_co_u32_e32 v7, vcc, 0, v9, vcc
                                        ; implicit-def: $vgpr37
                                        ; implicit-def: $vgpr69
                                        ; implicit-def: $vgpr70
	s_and_saveexec_b64 s[22:23], s[0:1]
	s_xor_b64 s[22:23], exec, s[22:23]
	s_cbranch_execz .LBB141_5
; %bb.4:                                ;   in Loop: Header=BB141_3 Depth=1
	global_load_ushort v10, v[6:7], off
	global_load_ushort v69, v[6:7], off offset:8
	global_load_ushort v70, v[6:7], off offset:4
	s_waitcnt vmcnt(1)
	v_perm_b32 v10, v10, v69, s27
	s_waitcnt vmcnt(0)
	v_perm_b32 v11, v69, v70, s27
	v_pk_lshrrev_b16 v11, 2, v11
	v_pk_lshrrev_b16 v10, s28, v10
	v_and_b32_e32 v11, 0xf0f3030, v11
	v_and_or_b32 v37, v10, s29, v11
.LBB141_5:                              ;   in Loop: Header=BB141_3 Depth=1
	s_andn2_saveexec_b64 s[22:23], s[22:23]
	s_cbranch_execz .LBB141_7
; %bb.6:                                ;   in Loop: Header=BB141_3 Depth=1
	global_load_ushort v70, v[6:7], off offset:4
	global_load_ushort v69, v[6:7], off offset:8
	s_waitcnt vmcnt(0)
	v_perm_b32 v10, v70, v69, s27
	v_and_b32_e32 v37, 0x3f3f3f3f, v10
.LBB141_7:                              ;   in Loop: Header=BB141_3 Depth=1
	s_or_b64 exec, exec, s[22:23]
	v_mov_b32_e32 v10, s20
	v_add_u32_e32 v38, s12, v24
	v_mov_b32_e32 v11, s21
	v_mad_i64_i32 v[10:11], s[22:23], v38, s26, v[10:11]
                                        ; implicit-def: $vgpr71
                                        ; implicit-def: $vgpr72
	v_add_co_u32_e32 v38, vcc, v10, v26
	v_addc_co_u32_e32 v41, vcc, 0, v11, vcc
	v_add_co_u32_e32 v40, vcc, v38, v28
	v_addc_co_u32_e32 v41, vcc, 0, v41, vcc
	;; [unrolled: 2-line block ×3, first 2 shown]
	global_load_dword v38, v[8:9], off
	global_load_dword v58, v[40:41], off offset:48
	global_load_dword v57, v[40:41], off offset:64
	;; [unrolled: 1-line block ×4, first 2 shown]
	v_add_co_u32_e32 v8, vcc, v10, v39
	v_addc_co_u32_e32 v9, vcc, 0, v11, vcc
                                        ; implicit-def: $vgpr39
	s_and_saveexec_b64 s[22:23], s[0:1]
	s_xor_b64 s[22:23], exec, s[22:23]
	s_cbranch_execz .LBB141_9
; %bb.8:                                ;   in Loop: Header=BB141_3 Depth=1
	global_load_ushort v39, v[8:9], off
	global_load_ushort v71, v[8:9], off offset:8
	global_load_ushort v72, v[8:9], off offset:4
	s_waitcnt vmcnt(1)
	v_perm_b32 v39, v39, v71, s27
	s_waitcnt vmcnt(0)
	v_perm_b32 v40, v71, v72, s27
	v_pk_lshrrev_b16 v40, 2, v40
	v_pk_lshrrev_b16 v39, s28, v39
	v_and_b32_e32 v40, 0xf0f3030, v40
	v_and_or_b32 v39, v39, s29, v40
.LBB141_9:                              ;   in Loop: Header=BB141_3 Depth=1
	s_andn2_saveexec_b64 s[22:23], s[22:23]
	s_cbranch_execz .LBB141_11
; %bb.10:                               ;   in Loop: Header=BB141_3 Depth=1
	global_load_ushort v72, v[8:9], off offset:4
	global_load_ushort v71, v[8:9], off offset:8
	s_waitcnt vmcnt(0)
	v_perm_b32 v39, v72, v71, s27
	v_and_b32_e32 v39, 0x3f3f3f3f, v39
.LBB141_11:                             ;   in Loop: Header=BB141_3 Depth=1
	s_or_b64 exec, exec, s[22:23]
	v_add_u32_e32 v40, s13, v30
	v_mad_u64_u32 v[47:48], s[22:23], v40, 36, v[4:5]
	v_lshlrev_b32_e32 v73, 2, v27
	global_load_dword v10, v[10:11], off
	v_add_co_u32_e32 v49, vcc, v47, v73
	v_addc_co_u32_e32 v50, vcc, 0, v48, vcc
	global_load_dword v11, v[47:48], off
	global_load_dword v45, v[49:50], off offset:4
	global_load_dword v46, v[49:50], off offset:20
	;; [unrolled: 1-line block ×5, first 2 shown]
	v_lshrrev_b16_e32 v40, 4, v69
	v_lshrrev_b16_e32 v44, 2, v70
	v_and_b32_e32 v85, 0xf0f, v69
	v_and_b32_e32 v86, 0xf0f, v40
	;; [unrolled: 1-line block ×3, first 2 shown]
                                        ; implicit-def: $vgpr48
                                        ; implicit-def: $vgpr47
	s_and_saveexec_b64 s[22:23], s[0:1]
	s_xor_b64 s[22:23], exec, s[22:23]
	s_cbranch_execz .LBB141_13
; %bb.12:                               ;   in Loop: Header=BB141_3 Depth=1
	global_load_ushort v40, v[6:7], off
	v_or_b32_e32 v47, v87, v86
	s_waitcnt vmcnt(0)
	v_lshrrev_b16_e32 v40, 2, v40
	v_and_b32_e32 v40, 0x3030, v40
	v_or_b32_e32 v48, v40, v85
.LBB141_13:                             ;   in Loop: Header=BB141_3 Depth=1
	s_or_saveexec_b64 s[22:23], s[22:23]
	v_and_b32_e32 v77, 0x3f3f, v70
	v_and_b32_e32 v78, 0x3f3f, v69
	s_xor_b64 exec, exec, s[22:23]
; %bb.14:                               ;   in Loop: Header=BB141_3 Depth=1
	v_and_b32_e32 v48, 0x3f3f, v70
	v_and_b32_e32 v47, 0x3f3f, v69
; %bb.15:                               ;   in Loop: Header=BB141_3 Depth=1
	s_or_b64 exec, exec, s[22:23]
	v_lshrrev_b16_e32 v40, 4, v71
	v_lshrrev_b16_e32 v44, 2, v72
	v_and_b32_e32 v88, 0xf0f, v71
	v_and_b32_e32 v89, 0xf0f, v40
	;; [unrolled: 1-line block ×3, first 2 shown]
                                        ; implicit-def: $vgpr50
                                        ; implicit-def: $vgpr49
	s_and_saveexec_b64 s[22:23], s[0:1]
	s_xor_b64 s[22:23], exec, s[22:23]
	s_cbranch_execz .LBB141_17
; %bb.16:                               ;   in Loop: Header=BB141_3 Depth=1
	global_load_ushort v40, v[8:9], off
	v_or_b32_e32 v49, v90, v89
	s_waitcnt vmcnt(0)
	v_lshrrev_b16_e32 v40, 2, v40
	v_and_b32_e32 v40, 0x3030, v40
	v_or_b32_e32 v50, v40, v88
.LBB141_17:                             ;   in Loop: Header=BB141_3 Depth=1
	s_or_saveexec_b64 s[22:23], s[22:23]
	v_and_b32_e32 v40, 0x3f3f, v72
	v_and_b32_e32 v44, 0x3f3f, v71
	s_xor_b64 exec, exec, s[22:23]
; %bb.18:                               ;   in Loop: Header=BB141_3 Depth=1
	v_and_b32_e32 v50, 0x3f3f, v72
	v_and_b32_e32 v49, 0x3f3f, v71
; %bb.19:                               ;   in Loop: Header=BB141_3 Depth=1
	s_or_b64 exec, exec, s[22:23]
	v_add_u32_e32 v55, s15, v30
	v_mad_u64_u32 v[65:66], s[22:23], v55, 36, v[4:5]
	v_add_co_u32_e32 v67, vcc, v65, v73
	v_addc_co_u32_e32 v68, vcc, 0, v66, vcc
	global_load_dword v55, v[65:66], off
	global_load_dword v61, v[67:68], off offset:4
	global_load_dword v63, v[67:68], off offset:20
	;; [unrolled: 1-line block ×5, first 2 shown]
                                        ; implicit-def: $vgpr66
                                        ; implicit-def: $vgpr65
	s_and_saveexec_b64 s[22:23], s[0:1]
	s_xor_b64 s[22:23], exec, s[22:23]
	s_cbranch_execz .LBB141_21
; %bb.20:                               ;   in Loop: Header=BB141_3 Depth=1
	global_load_ushort v65, v[6:7], off
	s_waitcnt vmcnt(0)
	v_lshrrev_b16_e32 v65, 2, v65
	v_and_b32_e32 v65, 0x3030, v65
	v_or_b32_e32 v66, v65, v85
	v_or_b32_e32 v65, v87, v86
	s_andn2_saveexec_b64 s[22:23], s[22:23]
	s_branch .LBB141_22
.LBB141_21:                             ;   in Loop: Header=BB141_3 Depth=1
	s_andn2_saveexec_b64 s[22:23], s[22:23]
.LBB141_22:                             ;   in Loop: Header=BB141_3 Depth=1
	v_and_b32_e32 v66, 0x3f3f, v70
	v_and_b32_e32 v65, 0x3f3f, v69
; %bb.23:                               ;   in Loop: Header=BB141_3 Depth=1
	s_or_b64 exec, exec, s[22:23]
                                        ; implicit-def: $vgpr68
                                        ; implicit-def: $vgpr67
	s_and_saveexec_b64 s[22:23], s[0:1]
	s_xor_b64 s[22:23], exec, s[22:23]
	s_cbranch_execz .LBB141_25
; %bb.24:                               ;   in Loop: Header=BB141_3 Depth=1
	global_load_ushort v67, v[8:9], off
	s_waitcnt vmcnt(0)
	v_lshrrev_b16_e32 v67, 2, v67
	v_and_b32_e32 v67, 0x3030, v67
	v_or_b32_e32 v68, v67, v88
	v_or_b32_e32 v67, v90, v89
	s_andn2_saveexec_b64 s[22:23], s[22:23]
	s_cbranch_execnz .LBB141_26
	s_branch .LBB141_27
.LBB141_25:                             ;   in Loop: Header=BB141_3 Depth=1
	s_andn2_saveexec_b64 s[22:23], s[22:23]
.LBB141_26:                             ;   in Loop: Header=BB141_3 Depth=1
	v_and_b32_e32 v68, 0x3f3f, v72
	v_and_b32_e32 v67, 0x3f3f, v71
.LBB141_27:                             ;   in Loop: Header=BB141_3 Depth=1
	s_or_b64 exec, exec, s[22:23]
	v_add_u32_e32 v74, s19, v30
	v_mad_u64_u32 v[83:84], s[22:23], v74, 36, v[4:5]
	v_add_co_u32_e32 v91, vcc, v83, v73
	v_addc_co_u32_e32 v92, vcc, 0, v84, vcc
	global_load_dword v75, v[83:84], off
	global_load_dword v81, v[91:92], off offset:4
	global_load_dword v82, v[91:92], off offset:20
	;; [unrolled: 1-line block ×5, first 2 shown]
                                        ; implicit-def: $vgpr84
                                        ; implicit-def: $vgpr83
	s_and_saveexec_b64 s[22:23], s[0:1]
	s_xor_b64 s[22:23], exec, s[22:23]
	s_cbranch_execz .LBB141_29
; %bb.28:                               ;   in Loop: Header=BB141_3 Depth=1
	global_load_ushort v74, v[6:7], off
	v_or_b32_e32 v83, v87, v86
	s_waitcnt vmcnt(0)
	v_lshrrev_b16_e32 v74, 2, v74
	v_and_b32_e32 v74, 0x3030, v74
	v_or_b32_e32 v84, v74, v85
	s_andn2_saveexec_b64 s[22:23], s[22:23]
	s_branch .LBB141_30
.LBB141_29:                             ;   in Loop: Header=BB141_3 Depth=1
	s_andn2_saveexec_b64 s[22:23], s[22:23]
.LBB141_30:                             ;   in Loop: Header=BB141_3 Depth=1
	v_and_b32_e32 v84, 0x3f3f, v70
	v_and_b32_e32 v83, 0x3f3f, v69
; %bb.31:                               ;   in Loop: Header=BB141_3 Depth=1
	s_or_b64 exec, exec, s[22:23]
                                        ; implicit-def: $vgpr92
                                        ; implicit-def: $vgpr91
	s_and_saveexec_b64 s[22:23], s[0:1]
	s_xor_b64 s[22:23], exec, s[22:23]
	s_cbranch_execz .LBB141_33
; %bb.32:                               ;   in Loop: Header=BB141_3 Depth=1
	global_load_ushort v74, v[8:9], off
	v_or_b32_e32 v91, v90, v89
	s_waitcnt vmcnt(0)
	v_lshrrev_b16_e32 v74, 2, v74
	v_and_b32_e32 v74, 0x3030, v74
	v_or_b32_e32 v92, v74, v88
	s_andn2_saveexec_b64 s[22:23], s[22:23]
	s_cbranch_execnz .LBB141_34
	s_branch .LBB141_35
.LBB141_33:                             ;   in Loop: Header=BB141_3 Depth=1
	s_andn2_saveexec_b64 s[22:23], s[22:23]
.LBB141_34:                             ;   in Loop: Header=BB141_3 Depth=1
	v_and_b32_e32 v92, 0x3f3f, v72
	v_and_b32_e32 v91, 0x3f3f, v71
.LBB141_35:                             ;   in Loop: Header=BB141_3 Depth=1
	s_or_b64 exec, exec, s[22:23]
	v_add_u32_e32 v74, s24, v30
	v_mad_u64_u32 v[99:100], s[22:23], v74, 36, v[4:5]
	v_add_co_u32_e32 v101, vcc, v99, v73
	v_addc_co_u32_e32 v102, vcc, 0, v100, vcc
	global_load_dword v93, v[99:100], off
	global_load_dword v97, v[101:102], off offset:4
	global_load_dword v98, v[101:102], off offset:20
	;; [unrolled: 1-line block ×5, first 2 shown]
                                        ; implicit-def: $vgpr100
                                        ; implicit-def: $vgpr99
	s_and_saveexec_b64 s[22:23], s[0:1]
	s_xor_b64 s[22:23], exec, s[22:23]
	s_cbranch_execz .LBB141_37
; %bb.36:                               ;   in Loop: Header=BB141_3 Depth=1
	global_load_ushort v69, v[6:7], off
	v_or_b32_e32 v99, v87, v86
                                        ; implicit-def: $vgpr70
	s_waitcnt vmcnt(0)
	v_lshrrev_b16_e32 v69, 2, v69
	v_and_b32_e32 v69, 0x3030, v69
	v_or_b32_e32 v100, v69, v85
                                        ; implicit-def: $vgpr69
	s_andn2_saveexec_b64 s[22:23], s[22:23]
	s_branch .LBB141_38
.LBB141_37:                             ;   in Loop: Header=BB141_3 Depth=1
	s_andn2_saveexec_b64 s[22:23], s[22:23]
.LBB141_38:                             ;   in Loop: Header=BB141_3 Depth=1
	v_and_b32_e32 v100, 0x3f3f, v70
	v_and_b32_e32 v99, 0x3f3f, v69
; %bb.39:                               ;   in Loop: Header=BB141_3 Depth=1
	s_or_b64 exec, exec, s[22:23]
                                        ; implicit-def: $vgpr102
                                        ; implicit-def: $vgpr101
	s_and_saveexec_b64 s[22:23], s[0:1]
	s_xor_b64 s[22:23], exec, s[22:23]
	s_cbranch_execz .LBB141_41
; %bb.40:                               ;   in Loop: Header=BB141_3 Depth=1
	global_load_ushort v69, v[8:9], off
	v_or_b32_e32 v101, v90, v89
                                        ; implicit-def: $vgpr72
                                        ; implicit-def: $vgpr71
	s_waitcnt vmcnt(0)
	v_lshrrev_b16_e32 v69, 2, v69
	v_and_b32_e32 v69, 0x3030, v69
	v_or_b32_e32 v102, v69, v88
	s_andn2_saveexec_b64 s[22:23], s[22:23]
	s_cbranch_execnz .LBB141_42
	s_branch .LBB141_43
.LBB141_41:                             ;   in Loop: Header=BB141_3 Depth=1
	s_andn2_saveexec_b64 s[22:23], s[22:23]
.LBB141_42:                             ;   in Loop: Header=BB141_3 Depth=1
	v_and_b32_e32 v102, 0x3f3f, v72
	v_and_b32_e32 v101, 0x3f3f, v71
.LBB141_43:                             ;   in Loop: Header=BB141_3 Depth=1
	s_or_b64 exec, exec, s[22:23]
	v_add_u32_e32 v69, s25, v30
	v_mad_u64_u32 v[103:104], s[22:23], v69, 36, v[4:5]
	v_add_co_u32_e32 v105, vcc, v103, v73
	v_addc_co_u32_e32 v106, vcc, 0, v104, vcc
	global_load_dword v69, v[103:104], off
	global_load_dword v73, v[105:106], off offset:4
	global_load_dword v74, v[105:106], off offset:20
	;; [unrolled: 1-line block ×5, first 2 shown]
	s_and_saveexec_b64 s[22:23], s[0:1]
	s_xor_b64 s[22:23], exec, s[22:23]
	s_cbranch_execz .LBB141_45
; %bb.44:                               ;   in Loop: Header=BB141_3 Depth=1
	global_load_ushort v6, v[6:7], off
	v_or_b32_e32 v78, v87, v86
	s_waitcnt vmcnt(0)
	v_lshrrev_b16_e32 v6, 2, v6
	v_and_b32_e32 v6, 0x3030, v6
	v_or_b32_e32 v77, v6, v85
.LBB141_45:                             ;   in Loop: Header=BB141_3 Depth=1
	s_andn2_saveexec_b64 s[22:23], s[22:23]
	s_or_b64 exec, exec, s[22:23]
	s_and_saveexec_b64 s[22:23], s[0:1]
	s_xor_b64 s[22:23], exec, s[22:23]
	s_cbranch_execz .LBB141_2
; %bb.46:                               ;   in Loop: Header=BB141_3 Depth=1
	global_load_ushort v6, v[8:9], off
	v_or_b32_e32 v44, v90, v89
	s_waitcnt vmcnt(0)
	v_lshrrev_b16_e32 v6, 2, v6
	v_and_b32_e32 v6, 0x3030, v6
	v_or_b32_e32 v40, v6, v88
	s_branch .LBB141_2
.LBB141_47:
	s_or_b64 exec, exec, s[16:17]
.LBB141_48:
	s_or_b64 exec, exec, s[10:11]
	s_mov_b32 s1, 0
	v_cmp_eq_u32_e32 vcc, 0, v1
	; wave barrier
	s_and_saveexec_b64 s[10:11], vcc
	s_cbranch_execz .LBB141_61
; %bb.49:
	v_mbcnt_lo_u32_b32 v1, -1, 0
	v_mbcnt_hi_u32_b32 v6, -1, v1
	v_and_b32_e32 v1, 64, v6
	v_add_u32_e32 v7, 64, v1
	v_xor_b32_e32 v1, 32, v6
	v_cmp_lt_i32_e32 vcc, v1, v7
	v_cndmask_b32_e32 v1, v6, v1, vcc
	v_lshlrev_b32_e32 v1, 2, v1
	ds_bpermute_b32 v5, v1, v23
	ds_bpermute_b32 v8, v1, v22
	v_xor_b32_e32 v2, 16, v6
	v_cmp_lt_i32_e32 vcc, v2, v7
	v_cndmask_b32_e32 v2, v6, v2, vcc
	v_lshlrev_b32_e32 v2, 2, v2
	s_waitcnt lgkmcnt(1)
	v_add_f32_e32 v5, v23, v5
	s_waitcnt lgkmcnt(0)
	v_add_f32_e32 v8, v22, v8
	ds_bpermute_b32 v10, v2, v5
	ds_bpermute_b32 v11, v2, v8
	v_xor_b32_e32 v3, 8, v6
	v_cmp_lt_i32_e32 vcc, v3, v7
	v_cndmask_b32_e32 v3, v6, v3, vcc
	v_lshlrev_b32_e32 v3, 2, v3
	s_waitcnt lgkmcnt(1)
	v_add_f32_e32 v10, v5, v10
	s_waitcnt lgkmcnt(0)
	v_add_f32_e32 v8, v8, v11
	;; [unrolled: 10-line block ×3, first 2 shown]
	ds_bpermute_b32 v22, v4, v10
	ds_bpermute_b32 v11, v4, v8
	v_xor_b32_e32 v9, 2, v6
	v_cmp_lt_i32_e32 vcc, v9, v7
	v_cndmask_b32_e32 v9, v6, v9, vcc
	v_lshlrev_b32_e32 v5, 2, v9
	v_xor_b32_e32 v9, 1, v6
	v_cmp_lt_i32_e32 vcc, v9, v7
	s_waitcnt lgkmcnt(1)
	v_add_f32_e32 v7, v10, v22
	s_waitcnt lgkmcnt(0)
	v_add_f32_e32 v10, v8, v11
	v_cndmask_b32_e32 v6, v6, v9, vcc
	ds_bpermute_b32 v9, v5, v7
	ds_bpermute_b32 v11, v5, v10
	s_load_dwordx2 s[4:5], s[4:5], 0x38
	s_mul_i32 s2, s2, s7
	v_lshlrev_b32_e32 v8, 2, v6
	s_waitcnt lgkmcnt(0)
	v_add_f32_e32 v6, v7, v9
	v_add_f32_e32 v9, v10, v11
	s_mul_i32 s0, s18, s8
	s_add_i32 s2, s2, s6
	ds_bpermute_b32 v7, v8, v6
	ds_bpermute_b32 v10, v8, v9
	s_add_i32 s0, s2, s0
	s_lshl_b64 s[0:1], s[0:1], 2
	s_add_u32 s2, s4, s0
	v_add_u32_e32 v11, s6, v0
	s_addc_u32 s3, s5, s1
	v_cmp_gt_u32_e32 vcc, 2, v0
	v_cmp_gt_u32_e64 s[0:1], s14, v11
	s_and_b64 s[0:1], vcc, s[0:1]
	s_waitcnt lgkmcnt(1)
	v_add_f32_e32 v6, v6, v7
	s_waitcnt lgkmcnt(0)
	v_add_f32_e32 v7, v9, v10
	s_and_saveexec_b64 s[4:5], s[0:1]
	s_cbranch_execz .LBB141_51
; %bb.50:
	v_cmp_eq_u32_e32 vcc, 1, v0
	v_cndmask_b32_e32 v9, v6, v7, vcc
	v_cmp_eq_u32_e32 vcc, 2, v0
	v_cndmask_b32_e32 v9, v9, v21, vcc
	;; [unrolled: 2-line block ×11, first 2 shown]
	v_lshlrev_b32_e32 v10, 2, v0
	global_store_dword v10, v9, s[2:3]
.LBB141_51:
	s_or_b64 exec, exec, s[4:5]
	ds_bpermute_b32 v9, v1, v21
	ds_bpermute_b32 v10, v1, v20
	s_waitcnt lgkmcnt(1)
	v_add_f32_e32 v9, v21, v9
	s_waitcnt lgkmcnt(0)
	v_add_f32_e32 v10, v20, v10
	ds_bpermute_b32 v11, v2, v9
	ds_bpermute_b32 v20, v2, v10
	s_waitcnt lgkmcnt(1)
	v_add_f32_e32 v9, v9, v11
	s_waitcnt lgkmcnt(0)
	v_add_f32_e32 v10, v10, v20
	;; [unrolled: 6-line block ×6, first 2 shown]
	s_and_saveexec_b64 s[4:5], s[0:1]
	s_cbranch_execz .LBB141_53
; %bb.52:
	v_add_u32_e32 v11, 2, v0
	v_cmp_eq_u32_e32 vcc, 1, v11
	v_cndmask_b32_e32 v20, v6, v7, vcc
	v_cmp_eq_u32_e32 vcc, 2, v11
	v_cndmask_b32_e32 v20, v20, v10, vcc
	v_cmp_eq_u32_e32 vcc, 3, v11
	v_cndmask_b32_e32 v20, v20, v9, vcc
	v_cmp_eq_u32_e32 vcc, 4, v11
	v_cndmask_b32_e32 v20, v20, v19, vcc
	v_cmp_eq_u32_e32 vcc, 5, v11
	v_cndmask_b32_e32 v20, v20, v18, vcc
	v_cmp_eq_u32_e32 vcc, 6, v11
	v_cndmask_b32_e32 v20, v20, v17, vcc
	v_cmp_eq_u32_e32 vcc, 7, v11
	v_cndmask_b32_e32 v20, v20, v16, vcc
	v_cmp_eq_u32_e32 vcc, 8, v11
	v_cndmask_b32_e32 v20, v20, v14, vcc
	v_cmp_eq_u32_e32 vcc, 9, v11
	v_cndmask_b32_e32 v20, v20, v15, vcc
	v_cmp_eq_u32_e32 vcc, 10, v11
	v_cndmask_b32_e32 v20, v20, v13, vcc
	v_cmp_eq_u32_e32 vcc, 11, v11
	v_cndmask_b32_e32 v11, v20, v12, vcc
	v_add_u32_e32 v20, s14, v0
	v_mov_b32_e32 v21, 0
	v_lshlrev_b64 v[20:21], 2, v[20:21]
	v_mov_b32_e32 v22, s3
	v_add_co_u32_e32 v20, vcc, s2, v20
	v_addc_co_u32_e32 v21, vcc, v22, v21, vcc
	global_store_dword v[20:21], v11, off
.LBB141_53:
	s_or_b64 exec, exec, s[4:5]
	ds_bpermute_b32 v11, v1, v19
	ds_bpermute_b32 v20, v1, v18
	s_waitcnt lgkmcnt(1)
	v_add_f32_e32 v11, v19, v11
	s_waitcnt lgkmcnt(0)
	v_add_f32_e32 v18, v18, v20
	ds_bpermute_b32 v19, v2, v11
	ds_bpermute_b32 v20, v2, v18
	s_waitcnt lgkmcnt(1)
	v_add_f32_e32 v11, v11, v19
	s_waitcnt lgkmcnt(0)
	v_add_f32_e32 v18, v18, v20
	;; [unrolled: 6-line block ×6, first 2 shown]
	s_and_saveexec_b64 s[4:5], s[0:1]
	s_cbranch_execz .LBB141_55
; %bb.54:
	v_add_u32_e32 v19, 4, v0
	v_cmp_eq_u32_e32 vcc, 1, v19
	v_cndmask_b32_e32 v20, v6, v7, vcc
	v_cmp_eq_u32_e32 vcc, 2, v19
	v_cndmask_b32_e32 v20, v20, v10, vcc
	;; [unrolled: 2-line block ×11, first 2 shown]
	v_lshl_or_b32 v19, s14, 1, v0
	v_mov_b32_e32 v20, 0
	v_lshlrev_b64 v[19:20], 2, v[19:20]
	v_mov_b32_e32 v22, s3
	v_add_co_u32_e32 v19, vcc, s2, v19
	v_addc_co_u32_e32 v20, vcc, v22, v20, vcc
	global_store_dword v[19:20], v21, off
.LBB141_55:
	s_or_b64 exec, exec, s[4:5]
	ds_bpermute_b32 v19, v1, v17
	ds_bpermute_b32 v20, v1, v16
	s_waitcnt lgkmcnt(1)
	v_add_f32_e32 v17, v17, v19
	s_waitcnt lgkmcnt(0)
	v_add_f32_e32 v16, v16, v20
	ds_bpermute_b32 v19, v2, v17
	ds_bpermute_b32 v20, v2, v16
	s_waitcnt lgkmcnt(1)
	v_add_f32_e32 v17, v17, v19
	s_waitcnt lgkmcnt(0)
	v_add_f32_e32 v16, v16, v20
	ds_bpermute_b32 v19, v3, v17
	ds_bpermute_b32 v20, v3, v16
	s_waitcnt lgkmcnt(1)
	v_add_f32_e32 v17, v17, v19
	s_waitcnt lgkmcnt(0)
	v_add_f32_e32 v16, v16, v20
	ds_bpermute_b32 v19, v4, v17
	ds_bpermute_b32 v20, v4, v16
	s_waitcnt lgkmcnt(1)
	v_add_f32_e32 v17, v17, v19
	s_waitcnt lgkmcnt(0)
	v_add_f32_e32 v16, v16, v20
	ds_bpermute_b32 v19, v5, v17
	ds_bpermute_b32 v20, v5, v16
	s_waitcnt lgkmcnt(1)
	v_add_f32_e32 v17, v17, v19
	s_waitcnt lgkmcnt(0)
	v_add_f32_e32 v16, v16, v20
	ds_bpermute_b32 v19, v8, v17
	ds_bpermute_b32 v20, v8, v16
	s_waitcnt lgkmcnt(1)
	v_add_f32_e32 v17, v17, v19
	s_waitcnt lgkmcnt(0)
	v_add_f32_e32 v16, v16, v20
	s_and_saveexec_b64 s[4:5], s[0:1]
	s_cbranch_execz .LBB141_57
; %bb.56:
	v_add_u32_e32 v21, 6, v0
	v_cmp_eq_u32_e32 vcc, 1, v21
	v_cndmask_b32_e32 v19, v6, v7, vcc
	v_cmp_eq_u32_e32 vcc, 2, v21
	v_cndmask_b32_e32 v19, v19, v10, vcc
	;; [unrolled: 2-line block ×10, first 2 shown]
	v_mad_u64_u32 v[19:20], s[6:7], s14, 3, v[0:1]
	v_mov_b32_e32 v20, 0
	v_cmp_eq_u32_e32 vcc, 11, v21
	v_lshlrev_b64 v[19:20], 2, v[19:20]
	v_cndmask_b32_e32 v21, v22, v12, vcc
	v_mov_b32_e32 v22, s3
	v_add_co_u32_e32 v19, vcc, s2, v19
	v_addc_co_u32_e32 v20, vcc, v22, v20, vcc
	global_store_dword v[19:20], v21, off
.LBB141_57:
	s_or_b64 exec, exec, s[4:5]
	ds_bpermute_b32 v19, v1, v14
	ds_bpermute_b32 v20, v1, v15
	s_waitcnt lgkmcnt(1)
	v_add_f32_e32 v14, v14, v19
	s_waitcnt lgkmcnt(0)
	v_add_f32_e32 v15, v15, v20
	ds_bpermute_b32 v19, v2, v14
	ds_bpermute_b32 v20, v2, v15
	s_waitcnt lgkmcnt(1)
	v_add_f32_e32 v14, v14, v19
	s_waitcnt lgkmcnt(0)
	v_add_f32_e32 v15, v15, v20
	;; [unrolled: 6-line block ×6, first 2 shown]
	s_and_saveexec_b64 s[4:5], s[0:1]
	s_cbranch_execz .LBB141_59
; %bb.58:
	v_add_u32_e32 v19, 8, v0
	v_cmp_eq_u32_e32 vcc, 1, v19
	v_cndmask_b32_e32 v20, v6, v7, vcc
	v_cmp_eq_u32_e32 vcc, 2, v19
	v_cndmask_b32_e32 v20, v20, v10, vcc
	;; [unrolled: 2-line block ×11, first 2 shown]
	v_lshl_or_b32 v19, s14, 2, v0
	v_mov_b32_e32 v20, 0
	v_lshlrev_b64 v[19:20], 2, v[19:20]
	v_mov_b32_e32 v22, s3
	v_add_co_u32_e32 v19, vcc, s2, v19
	v_addc_co_u32_e32 v20, vcc, v22, v20, vcc
	global_store_dword v[19:20], v21, off
.LBB141_59:
	s_or_b64 exec, exec, s[4:5]
	ds_bpermute_b32 v19, v1, v13
	ds_bpermute_b32 v1, v1, v12
	s_waitcnt lgkmcnt(1)
	v_add_f32_e32 v13, v13, v19
	s_waitcnt lgkmcnt(0)
	v_add_f32_e32 v1, v12, v1
	ds_bpermute_b32 v12, v2, v13
	ds_bpermute_b32 v2, v2, v1
	s_waitcnt lgkmcnt(1)
	v_add_f32_e32 v12, v13, v12
	s_waitcnt lgkmcnt(0)
	v_add_f32_e32 v1, v1, v2
	ds_bpermute_b32 v2, v3, v12
	ds_bpermute_b32 v3, v3, v1
	s_waitcnt lgkmcnt(1)
	v_add_f32_e32 v2, v12, v2
	s_waitcnt lgkmcnt(0)
	v_add_f32_e32 v1, v1, v3
	ds_bpermute_b32 v3, v4, v2
	ds_bpermute_b32 v4, v4, v1
	s_waitcnt lgkmcnt(1)
	v_add_f32_e32 v2, v2, v3
	s_waitcnt lgkmcnt(0)
	v_add_f32_e32 v3, v1, v4
	ds_bpermute_b32 v1, v5, v2
	ds_bpermute_b32 v4, v5, v3
	s_waitcnt lgkmcnt(1)
	v_add_f32_e32 v1, v2, v1
	s_waitcnt lgkmcnt(0)
	v_add_f32_e32 v2, v3, v4
	ds_bpermute_b32 v3, v8, v1
	ds_bpermute_b32 v4, v8, v2
	s_and_b64 exec, exec, s[0:1]
	s_cbranch_execz .LBB141_61
; %bb.60:
	s_waitcnt lgkmcnt(1)
	v_add_f32_e32 v1, v1, v3
	v_add_u32_e32 v3, 10, v0
	v_cmp_eq_u32_e32 vcc, 1, v3
	s_waitcnt lgkmcnt(0)
	v_add_f32_e32 v2, v2, v4
	v_cndmask_b32_e32 v4, v6, v7, vcc
	v_cmp_eq_u32_e32 vcc, 2, v3
	v_cndmask_b32_e32 v4, v4, v10, vcc
	v_cmp_eq_u32_e32 vcc, 3, v3
	;; [unrolled: 2-line block ×9, first 2 shown]
	v_cndmask_b32_e32 v4, v4, v1, vcc
	v_mad_u64_u32 v[0:1], s[0:1], s14, 5, v[0:1]
	v_mov_b32_e32 v1, 0
	v_cmp_eq_u32_e32 vcc, 11, v3
	v_lshlrev_b64 v[0:1], 2, v[0:1]
	v_cndmask_b32_e32 v2, v4, v2, vcc
	v_mov_b32_e32 v3, s3
	v_add_co_u32_e32 v0, vcc, s2, v0
	v_addc_co_u32_e32 v1, vcc, v3, v1, vcc
	global_store_dword v[0:1], v2, off
.LBB141_61:
	s_endpgm
	.section	.rodata,"a",@progbits
	.p2align	6, 0x0
	.amdhsa_kernel _ZL13mul_mat_vec_qIL9ggml_type13ELi6ELb0ELb0EEvPKvS2_PKi31ggml_cuda_mm_fusion_args_devicePfj15HIP_vector_typeIjLj3EEjjjS8_jjjS8_jjjj
		.amdhsa_group_segment_fixed_size 0
		.amdhsa_private_segment_fixed_size 0
		.amdhsa_kernarg_size 144
		.amdhsa_user_sgpr_count 6
		.amdhsa_user_sgpr_private_segment_buffer 1
		.amdhsa_user_sgpr_dispatch_ptr 0
		.amdhsa_user_sgpr_queue_ptr 0
		.amdhsa_user_sgpr_kernarg_segment_ptr 1
		.amdhsa_user_sgpr_dispatch_id 0
		.amdhsa_user_sgpr_flat_scratch_init 0
		.amdhsa_user_sgpr_private_segment_size 0
		.amdhsa_uses_dynamic_stack 0
		.amdhsa_system_sgpr_private_segment_wavefront_offset 0
		.amdhsa_system_sgpr_workgroup_id_x 1
		.amdhsa_system_sgpr_workgroup_id_y 1
		.amdhsa_system_sgpr_workgroup_id_z 1
		.amdhsa_system_sgpr_workgroup_info 0
		.amdhsa_system_vgpr_workitem_id 1
		.amdhsa_next_free_vgpr 107
		.amdhsa_next_free_sgpr 34
		.amdhsa_reserve_vcc 1
		.amdhsa_reserve_flat_scratch 0
		.amdhsa_float_round_mode_32 0
		.amdhsa_float_round_mode_16_64 0
		.amdhsa_float_denorm_mode_32 3
		.amdhsa_float_denorm_mode_16_64 3
		.amdhsa_dx10_clamp 1
		.amdhsa_ieee_mode 1
		.amdhsa_fp16_overflow 0
		.amdhsa_exception_fp_ieee_invalid_op 0
		.amdhsa_exception_fp_denorm_src 0
		.amdhsa_exception_fp_ieee_div_zero 0
		.amdhsa_exception_fp_ieee_overflow 0
		.amdhsa_exception_fp_ieee_underflow 0
		.amdhsa_exception_fp_ieee_inexact 0
		.amdhsa_exception_int_div_zero 0
	.end_amdhsa_kernel
	.section	.text._ZL13mul_mat_vec_qIL9ggml_type13ELi6ELb0ELb0EEvPKvS2_PKi31ggml_cuda_mm_fusion_args_devicePfj15HIP_vector_typeIjLj3EEjjjS8_jjjS8_jjjj,"axG",@progbits,_ZL13mul_mat_vec_qIL9ggml_type13ELi6ELb0ELb0EEvPKvS2_PKi31ggml_cuda_mm_fusion_args_devicePfj15HIP_vector_typeIjLj3EEjjjS8_jjjS8_jjjj,comdat
.Lfunc_end141:
	.size	_ZL13mul_mat_vec_qIL9ggml_type13ELi6ELb0ELb0EEvPKvS2_PKi31ggml_cuda_mm_fusion_args_devicePfj15HIP_vector_typeIjLj3EEjjjS8_jjjS8_jjjj, .Lfunc_end141-_ZL13mul_mat_vec_qIL9ggml_type13ELi6ELb0ELb0EEvPKvS2_PKi31ggml_cuda_mm_fusion_args_devicePfj15HIP_vector_typeIjLj3EEjjjS8_jjjS8_jjjj
                                        ; -- End function
	.set _ZL13mul_mat_vec_qIL9ggml_type13ELi6ELb0ELb0EEvPKvS2_PKi31ggml_cuda_mm_fusion_args_devicePfj15HIP_vector_typeIjLj3EEjjjS8_jjjS8_jjjj.num_vgpr, 107
	.set _ZL13mul_mat_vec_qIL9ggml_type13ELi6ELb0ELb0EEvPKvS2_PKi31ggml_cuda_mm_fusion_args_devicePfj15HIP_vector_typeIjLj3EEjjjS8_jjjS8_jjjj.num_agpr, 0
	.set _ZL13mul_mat_vec_qIL9ggml_type13ELi6ELb0ELb0EEvPKvS2_PKi31ggml_cuda_mm_fusion_args_devicePfj15HIP_vector_typeIjLj3EEjjjS8_jjjS8_jjjj.numbered_sgpr, 34
	.set _ZL13mul_mat_vec_qIL9ggml_type13ELi6ELb0ELb0EEvPKvS2_PKi31ggml_cuda_mm_fusion_args_devicePfj15HIP_vector_typeIjLj3EEjjjS8_jjjS8_jjjj.num_named_barrier, 0
	.set _ZL13mul_mat_vec_qIL9ggml_type13ELi6ELb0ELb0EEvPKvS2_PKi31ggml_cuda_mm_fusion_args_devicePfj15HIP_vector_typeIjLj3EEjjjS8_jjjS8_jjjj.private_seg_size, 0
	.set _ZL13mul_mat_vec_qIL9ggml_type13ELi6ELb0ELb0EEvPKvS2_PKi31ggml_cuda_mm_fusion_args_devicePfj15HIP_vector_typeIjLj3EEjjjS8_jjjS8_jjjj.uses_vcc, 1
	.set _ZL13mul_mat_vec_qIL9ggml_type13ELi6ELb0ELb0EEvPKvS2_PKi31ggml_cuda_mm_fusion_args_devicePfj15HIP_vector_typeIjLj3EEjjjS8_jjjS8_jjjj.uses_flat_scratch, 0
	.set _ZL13mul_mat_vec_qIL9ggml_type13ELi6ELb0ELb0EEvPKvS2_PKi31ggml_cuda_mm_fusion_args_devicePfj15HIP_vector_typeIjLj3EEjjjS8_jjjS8_jjjj.has_dyn_sized_stack, 0
	.set _ZL13mul_mat_vec_qIL9ggml_type13ELi6ELb0ELb0EEvPKvS2_PKi31ggml_cuda_mm_fusion_args_devicePfj15HIP_vector_typeIjLj3EEjjjS8_jjjS8_jjjj.has_recursion, 0
	.set _ZL13mul_mat_vec_qIL9ggml_type13ELi6ELb0ELb0EEvPKvS2_PKi31ggml_cuda_mm_fusion_args_devicePfj15HIP_vector_typeIjLj3EEjjjS8_jjjS8_jjjj.has_indirect_call, 0
	.section	.AMDGPU.csdata,"",@progbits
; Kernel info:
; codeLenInByte = 6608
; TotalNumSgprs: 38
; NumVgprs: 107
; ScratchSize: 0
; MemoryBound: 0
; FloatMode: 240
; IeeeMode: 1
; LDSByteSize: 0 bytes/workgroup (compile time only)
; SGPRBlocks: 4
; VGPRBlocks: 26
; NumSGPRsForWavesPerEU: 38
; NumVGPRsForWavesPerEU: 107
; Occupancy: 2
; WaveLimiterHint : 0
; COMPUTE_PGM_RSRC2:SCRATCH_EN: 0
; COMPUTE_PGM_RSRC2:USER_SGPR: 6
; COMPUTE_PGM_RSRC2:TRAP_HANDLER: 0
; COMPUTE_PGM_RSRC2:TGID_X_EN: 1
; COMPUTE_PGM_RSRC2:TGID_Y_EN: 1
; COMPUTE_PGM_RSRC2:TGID_Z_EN: 1
; COMPUTE_PGM_RSRC2:TIDIG_COMP_CNT: 1
	.section	.text._ZL13mul_mat_vec_qIL9ggml_type13ELi7ELb0ELb0EEvPKvS2_PKi31ggml_cuda_mm_fusion_args_devicePfj15HIP_vector_typeIjLj3EEjjjS8_jjjS8_jjjj,"axG",@progbits,_ZL13mul_mat_vec_qIL9ggml_type13ELi7ELb0ELb0EEvPKvS2_PKi31ggml_cuda_mm_fusion_args_devicePfj15HIP_vector_typeIjLj3EEjjjS8_jjjS8_jjjj,comdat
	.globl	_ZL13mul_mat_vec_qIL9ggml_type13ELi7ELb0ELb0EEvPKvS2_PKi31ggml_cuda_mm_fusion_args_devicePfj15HIP_vector_typeIjLj3EEjjjS8_jjjS8_jjjj ; -- Begin function _ZL13mul_mat_vec_qIL9ggml_type13ELi7ELb0ELb0EEvPKvS2_PKi31ggml_cuda_mm_fusion_args_devicePfj15HIP_vector_typeIjLj3EEjjjS8_jjjS8_jjjj
	.p2align	8
	.type	_ZL13mul_mat_vec_qIL9ggml_type13ELi7ELb0ELb0EEvPKvS2_PKi31ggml_cuda_mm_fusion_args_devicePfj15HIP_vector_typeIjLj3EEjjjS8_jjjS8_jjjj,@function
_ZL13mul_mat_vec_qIL9ggml_type13ELi7ELb0ELb0EEvPKvS2_PKi31ggml_cuda_mm_fusion_args_devicePfj15HIP_vector_typeIjLj3EEjjjS8_jjjS8_jjjj: ; @_ZL13mul_mat_vec_qIL9ggml_type13ELi7ELb0ELb0EEvPKvS2_PKi31ggml_cuda_mm_fusion_args_devicePfj15HIP_vector_typeIjLj3EEjjjS8_jjjS8_jjjj
; %bb.0:
	s_load_dword s9, s[4:5], 0x40
	s_load_dwordx4 s[12:15], s[4:5], 0x50
	s_load_dword s25, s[4:5], 0x60
	s_load_dwordx4 s[0:3], s[4:5], 0x68
	;; [unrolled: 2-line block ×3, first 2 shown]
	v_lshl_or_b32 v2, v1, 6, v0
	s_waitcnt lgkmcnt(0)
	s_lshr_b32 s9, s9, 8
	v_lshrrev_b32_e32 v26, 4, v2
	s_lshl_b32 s6, s6, 1
	v_cmp_gt_u32_e32 vcc, s9, v26
	v_mov_b32_e32 v12, 0
	v_mov_b32_e32 v13, 0
	;; [unrolled: 1-line block ×14, first 2 shown]
	s_and_saveexec_b64 s[10:11], vcc
	s_cbranch_execz .LBB142_56
; %bb.1:
	s_mul_hi_u32 s15, s15, s7
	s_add_i32 s15, s7, s15
	s_load_dwordx4 s[20:23], s[4:5], 0x0
	s_lshr_b32 s15, s15, s25
	s_mul_i32 s15, s15, s0
	s_mul_hi_u32 s0, s3, s8
	s_add_i32 s0, s8, s0
	s_lshr_b32 s0, s0, s24
	s_mul_i32 s3, s17, s8
	s_mul_i32 s0, s0, s16
	s_mul_hi_u32 s16, s3, 36
	s_mul_i32 s3, s3, 36
	s_waitcnt lgkmcnt(0)
	s_add_u32 s3, s22, s3
	s_mul_i32 s1, s1, s7
	s_addc_u32 s16, s23, s16
	s_mul_hi_u32 s17, s1, 36
	s_mul_i32 s1, s1, 36
	s_add_u32 s22, s3, s1
	v_lshlrev_b32_e32 v2, 1, v0
	s_addc_u32 s23, s16, s17
	v_and_b32_e32 v3, 30, v2
	v_bfe_u32 v27, v2, 3, 2
	s_add_i32 s16, s6, 1
	v_bfe_u32 v2, v0, 2, 2
	s_add_i32 s15, s0, s15
	v_cmp_lt_u32_e64 s[0:1], 15, v3
	s_mul_i32 s3, s6, s12
	s_mul_i32 s12, s12, s16
	v_mul_hi_u32_u24_e32 v3, 0x48, v2
	v_mul_u32_u24_e32 v2, 0x48, v2
	s_movk_i32 s16, 0x120
	v_mad_u64_u32 v[2:3], s[16:17], v26, s16, v[2:3]
	v_lshlrev_b32_e32 v31, 1, v27
	v_mov_b32_e32 v4, s23
	v_add_co_u32_e32 v2, vcc, s22, v2
	v_addc_co_u32_e32 v3, vcc, v4, v3, vcc
	v_mad_u64_u32 v[4:5], s[22:23], v31, 36, s[22:23]
	v_and_b32_e32 v29, 3, v0
	v_add_co_u32_e32 v2, vcc, 36, v2
	v_lshlrev_b32_e32 v28, 5, v27
	v_mov_b32_e32 v14, 0
	v_lshlrev_b32_e32 v30, 2, v29
	s_add_i32 s3, s15, s3
	s_add_i32 s12, s15, s12
	v_addc_co_u32_e32 v3, vcc, 0, v3, vcc
	s_lshl_b32 s15, s13, 1
	v_lshlrev_b32_e32 v32, 3, v26
	s_mul_i32 s19, s13, 3
	s_lshl_b32 s24, s13, 2
	s_mul_i32 s25, s13, 5
	s_mul_i32 s26, s13, 6
	s_mov_b64 s[16:17], 0
	s_movk_i32 s27, 0xb0
	s_mov_b32 s28, 0x5040100
	s_mov_b32 s29, 0x20004
	;; [unrolled: 1-line block ×6, first 2 shown]
	v_mov_b32_e32 v16, 0
	v_mov_b32_e32 v17, 0
	;; [unrolled: 1-line block ×13, first 2 shown]
	s_branch .LBB142_3
.LBB142_2:                              ;   in Loop: Header=BB142_3 Depth=1
	s_andn2_saveexec_b64 s[22:23], s[22:23]
	s_or_b64 exec, exec, s[22:23]
	s_waitcnt vmcnt(42)
	v_ashrrev_i32_e32 v8, v31, v64
	v_ashrrev_i32_e32 v9, v31, v63
	v_and_b32_e32 v64, 0xf0f0f0f, v61
	v_lshlrev_b32_e32 v90, 4, v8
	v_and_b32_e32 v63, 0xf0f0f0f, v62
	v_lshlrev_b32_e32 v89, 4, v9
	v_and_or_b32 v64, v90, s33, v64
	v_lshrrev_b32_e32 v61, 4, v61
	v_and_or_b32 v63, v89, s33, v63
	v_lshrrev_b32_e32 v62, 4, v62
	v_and_b32_e32 v61, 0xf0f0f0f, v61
	v_lshlrev_b32_e32 v8, 3, v8
	s_waitcnt vmcnt(3)
	v_dot4_i32_i8 v90, v64, v86, 0
	v_dot4_i32_i8 v6, s31, v86, 0
	v_and_b32_e32 v62, 0xf0f0f0f, v62
	v_lshlrev_b32_e32 v9, 3, v9
	v_and_or_b32 v8, v8, s33, v61
	v_lshrrev_b16_e32 v89, 8, v81
	v_dot4_i32_i8 v90, v63, v85, v90
	v_and_b32_sdwa v81, s34, v81 dst_sel:DWORD dst_unused:UNUSED_PAD src0_sel:DWORD src1_sel:BYTE_0
	v_dot4_i32_i8 v6, s31, v85, v6
	s_waitcnt vmcnt(1)
	v_dot4_i32_i8 v7, s31, v84, 0
	v_and_or_b32 v9, v9, s33, v62
	v_lshrrev_b16_e32 v62, 8, v83
	v_mul_lo_u32 v81, v90, v81
	v_and_b32_sdwa v83, s34, v83 dst_sel:DWORD dst_unused:UNUSED_PAD src0_sel:DWORD src1_sel:BYTE_0
	v_dot4_i32_i8 v90, v8, v84, 0
	v_dot4_i32_i8 v7, s31, v82, v7
	v_mul_lo_u32 v83, v6, v83
	v_dot4_i32_i8 v90, v9, v82, v90
	v_mul_lo_u32 v89, v90, v89
	v_mul_lo_u32 v62, v7, v62
	v_cvt_f32_i32_e32 v81, v81
	v_cvt_f32_i32_e32 v83, v83
	v_cvt_f32_i32_e32 v89, v89
	v_cvt_f32_i32_e32 v62, v62
	v_cvt_f32_f16_sdwa v61, v40 dst_sel:DWORD dst_unused:UNUSED_PAD src0_sel:WORD_1
	v_fma_mix_f32 v81, v79, v81, 0 op_sel_hi:[1,0,0]
	v_fma_mix_f32 v83, v79, v83, 0 op_sel_hi:[1,0,0]
	v_ashrrev_i32_e32 v68, v31, v68
	s_waitcnt vmcnt(0)
	v_fma_mix_f32 v81, v80, v89, v81 op_sel_hi:[1,0,0]
	v_fma_mix_f32 v62, v80, v62, v83 op_sel_hi:[1,0,0]
	v_ashrrev_i32_e32 v67, v31, v67
	v_and_b32_e32 v89, 0xf0f0f0f, v65
	v_lshlrev_b32_e32 v91, 4, v68
	v_mul_f32_e32 v62, v62, v61
	v_and_b32_e32 v83, 0xf0f0f0f, v66
	v_lshlrev_b32_e32 v90, 4, v67
	v_and_or_b32 v89, v91, s33, v89
	v_lshrrev_b32_e32 v65, 4, v65
	v_fma_mix_f32 v62, v81, v40, -v62 op_sel_hi:[0,1,0]
	v_and_or_b32 v83, v90, s33, v83
	v_lshrrev_b32_e32 v66, 4, v66
	v_and_b32_e32 v65, 0xf0f0f0f, v65
	v_lshlrev_b32_e32 v68, 3, v68
	v_dot4_i32_i8 v91, v89, v110, 0
	v_add_f32_e32 v13, v13, v62
	v_dot4_i32_i8 v62, s31, v110, 0
	v_and_b32_e32 v66, 0xf0f0f0f, v66
	v_lshlrev_b32_e32 v67, 3, v67
	v_and_or_b32 v65, v68, s33, v65
	v_dot4_i32_i8 v91, v83, v109, v91
	v_and_b32_sdwa v92, s34, v114 dst_sel:DWORD dst_unused:UNUSED_PAD src0_sel:DWORD src1_sel:BYTE_0
	v_dot4_i32_i8 v62, s31, v109, v62
	v_dot4_i32_i8 v81, s31, v108, 0
	v_and_or_b32 v66, v67, s33, v66
	v_mul_lo_u32 v91, v91, v92
	v_and_b32_sdwa v92, s34, v113 dst_sel:DWORD dst_unused:UNUSED_PAD src0_sel:DWORD src1_sel:BYTE_0
	v_dot4_i32_i8 v93, v65, v108, 0
	v_dot4_i32_i8 v81, s31, v107, v81
	v_lshrrev_b16_e32 v68, 8, v113
	v_lshrrev_b16_e32 v90, 8, v114
	v_mul_lo_u32 v92, v62, v92
	v_dot4_i32_i8 v93, v66, v107, v93
	v_mul_lo_u32 v90, v93, v90
	v_mul_lo_u32 v68, v81, v68
	v_cvt_f32_i32_e32 v91, v91
	v_cvt_f32_i32_e32 v92, v92
	;; [unrolled: 1-line block ×4, first 2 shown]
	v_cvt_f32_f16_sdwa v67, v10 dst_sel:DWORD dst_unused:UNUSED_PAD src0_sel:WORD_1
	v_fma_mix_f32 v91, v105, v91, 0 op_sel_hi:[1,0,0]
	v_fma_mix_f32 v92, v105, v92, 0 op_sel_hi:[1,0,0]
	;; [unrolled: 1-line block ×4, first 2 shown]
	v_dot4_i32_i8 v91, v64, v110, 0
	v_mul_f32_e32 v68, v68, v67
	v_dot4_i32_i8 v91, v63, v109, v91
	v_and_b32_sdwa v92, s34, v112 dst_sel:DWORD dst_unused:UNUSED_PAD src0_sel:DWORD src1_sel:BYTE_0
	v_fma_mix_f32 v68, v90, v10, -v68 op_sel_hi:[0,1,0]
	v_mul_lo_u32 v91, v91, v92
	v_and_b32_sdwa v92, s34, v111 dst_sel:DWORD dst_unused:UNUSED_PAD src0_sel:DWORD src1_sel:BYTE_0
	v_add_f32_e32 v15, v15, v68
	v_lshrrev_b16_e32 v68, 8, v111
	v_mul_lo_u32 v62, v62, v92
	v_dot4_i32_i8 v92, v8, v108, 0
	v_lshrrev_b16_e32 v90, 8, v112
	v_dot4_i32_i8 v92, v9, v107, v92
	v_mul_lo_u32 v68, v81, v68
	v_mul_lo_u32 v90, v92, v90
	v_cvt_f32_i32_e32 v62, v62
	v_cvt_f32_i32_e32 v81, v91
	;; [unrolled: 1-line block ×4, first 2 shown]
	v_fma_mix_f32 v62, v105, v62, 0 op_sel_hi:[1,0,0]
	v_fma_mix_f32 v81, v105, v81, 0 op_sel_hi:[1,0,0]
	;; [unrolled: 1-line block ×4, first 2 shown]
	v_mul_f32_e32 v62, v62, v61
	v_fma_mix_f32 v62, v81, v40, -v62 op_sel_hi:[0,1,0]
	v_dot4_i32_i8 v91, v89, v100, 0
	v_add_f32_e32 v14, v14, v62
	v_dot4_i32_i8 v62, s31, v100, 0
	v_dot4_i32_i8 v91, v83, v99, v91
	v_and_b32_sdwa v92, s34, v104 dst_sel:DWORD dst_unused:UNUSED_PAD src0_sel:DWORD src1_sel:BYTE_0
	v_dot4_i32_i8 v62, s31, v99, v62
	v_dot4_i32_i8 v68, s31, v98, 0
	v_mul_lo_u32 v91, v91, v92
	v_and_b32_sdwa v92, s34, v103 dst_sel:DWORD dst_unused:UNUSED_PAD src0_sel:DWORD src1_sel:BYTE_0
	v_dot4_i32_i8 v93, v65, v98, 0
	v_dot4_i32_i8 v68, s31, v97, v68
	v_lshrrev_b16_e32 v81, 8, v103
	v_lshrrev_b16_e32 v90, 8, v104
	v_mul_lo_u32 v92, v62, v92
	v_dot4_i32_i8 v93, v66, v97, v93
	v_mul_lo_u32 v90, v93, v90
	v_mul_lo_u32 v81, v68, v81
	v_cvt_f32_i32_e32 v91, v91
	v_cvt_f32_i32_e32 v92, v92
	;; [unrolled: 1-line block ×4, first 2 shown]
	v_fma_mix_f32 v91, v95, v91, 0 op_sel_hi:[1,0,0]
	v_fma_mix_f32 v92, v95, v92, 0 op_sel_hi:[1,0,0]
	;; [unrolled: 1-line block ×4, first 2 shown]
	v_dot4_i32_i8 v91, v64, v100, 0
	v_mul_f32_e32 v81, v81, v67
	v_dot4_i32_i8 v91, v63, v99, v91
	v_and_b32_sdwa v92, s34, v102 dst_sel:DWORD dst_unused:UNUSED_PAD src0_sel:DWORD src1_sel:BYTE_0
	v_fma_mix_f32 v81, v90, v10, -v81 op_sel_hi:[0,1,0]
	v_mul_lo_u32 v91, v91, v92
	v_and_b32_sdwa v92, s34, v101 dst_sel:DWORD dst_unused:UNUSED_PAD src0_sel:DWORD src1_sel:BYTE_0
	v_add_f32_e32 v16, v16, v81
	v_lshrrev_b16_e32 v81, 8, v101
	v_mul_lo_u32 v62, v62, v92
	v_dot4_i32_i8 v92, v8, v98, 0
	v_lshrrev_b16_e32 v90, 8, v102
	v_dot4_i32_i8 v92, v9, v97, v92
	v_mul_lo_u32 v68, v68, v81
	v_mul_lo_u32 v90, v92, v90
	v_cvt_f32_i32_e32 v62, v62
	v_cvt_f32_i32_e32 v81, v91
	v_cvt_f32_i32_e32 v68, v68
	v_cvt_f32_i32_e32 v90, v90
	v_fma_mix_f32 v62, v95, v62, 0 op_sel_hi:[1,0,0]
	v_fma_mix_f32 v81, v95, v81, 0 op_sel_hi:[1,0,0]
	v_fma_mix_f32 v62, v96, v68, v62 op_sel_hi:[1,0,0]
	v_fma_mix_f32 v81, v96, v90, v81 op_sel_hi:[1,0,0]
	v_mul_f32_e32 v62, v62, v61
	v_fma_mix_f32 v62, v81, v40, -v62 op_sel_hi:[0,1,0]
	v_add_f32_e32 v17, v17, v62
	v_dot4_i32_i8 v62, s31, v76, 0
	v_dot4_i32_i8 v91, v89, v76, 0
	v_dot4_i32_i8 v62, s31, v75, v62
	v_dot4_i32_i8 v68, s31, v74, 0
	v_lshrrev_b16_e32 v81, 8, v87
	v_lshrrev_b16_e32 v90, 8, v88
	v_dot4_i32_i8 v91, v83, v75, v91
	v_and_b32_sdwa v88, s34, v88 dst_sel:DWORD dst_unused:UNUSED_PAD src0_sel:DWORD src1_sel:BYTE_0
	v_and_b32_sdwa v87, s34, v87 dst_sel:DWORD dst_unused:UNUSED_PAD src0_sel:DWORD src1_sel:BYTE_0
	v_dot4_i32_i8 v68, s31, v73, v68
	v_mul_lo_u32 v88, v91, v88
	v_mul_lo_u32 v87, v62, v87
	v_dot4_i32_i8 v91, v65, v74, 0
	v_dot4_i32_i8 v91, v66, v73, v91
	v_mul_lo_u32 v81, v68, v81
	v_mul_lo_u32 v90, v91, v90
	v_cvt_f32_i32_e32 v87, v87
	v_cvt_f32_i32_e32 v88, v88
	v_cvt_f32_i32_e32 v81, v81
	v_cvt_f32_i32_e32 v90, v90
	v_fma_mix_f32 v87, v71, v87, 0 op_sel_hi:[1,0,0]
	v_fma_mix_f32 v88, v71, v88, 0 op_sel_hi:[1,0,0]
	v_fma_mix_f32 v81, v72, v81, v87 op_sel_hi:[1,0,0]
	v_dot4_i32_i8 v76, v64, v76, 0
	v_fma_mix_f32 v88, v72, v90, v88 op_sel_hi:[1,0,0]
	v_mul_f32_e32 v81, v81, v67
	v_dot4_i32_i8 v75, v63, v75, v76
	v_and_b32_sdwa v76, s34, v78 dst_sel:DWORD dst_unused:UNUSED_PAD src0_sel:DWORD src1_sel:BYTE_0
	v_fma_mix_f32 v81, v88, v10, -v81 op_sel_hi:[0,1,0]
	v_mul_lo_u32 v75, v75, v76
	v_and_b32_sdwa v76, s34, v77 dst_sel:DWORD dst_unused:UNUSED_PAD src0_sel:DWORD src1_sel:BYTE_0
	v_add_f32_e32 v18, v18, v81
	v_lshrrev_b16_e32 v81, 8, v77
	v_mul_lo_u32 v62, v62, v76
	v_dot4_i32_i8 v74, v8, v74, 0
	v_lshrrev_b16_e32 v87, 8, v78
	v_dot4_i32_i8 v73, v9, v73, v74
	v_mul_lo_u32 v68, v68, v81
	v_mul_lo_u32 v73, v73, v87
	v_cvt_f32_i32_e32 v62, v62
	v_cvt_f32_i32_e32 v74, v75
	v_cvt_f32_i32_e32 v68, v68
	v_cvt_f32_i32_e32 v73, v73
	v_fma_mix_f32 v62, v71, v62, 0 op_sel_hi:[1,0,0]
	v_fma_mix_f32 v74, v71, v74, 0 op_sel_hi:[1,0,0]
	v_fma_mix_f32 v62, v72, v68, v62 op_sel_hi:[1,0,0]
	v_fma_mix_f32 v71, v72, v73, v74 op_sel_hi:[1,0,0]
	v_mul_f32_e32 v62, v62, v61
	v_fma_mix_f32 v62, v71, v40, -v62 op_sel_hi:[0,1,0]
	v_add_f32_e32 v19, v19, v62
	v_dot4_i32_i8 v62, s31, v58, 0
	v_dot4_i32_i8 v73, v89, v58, 0
	v_dot4_i32_i8 v62, s31, v57, v62
	v_dot4_i32_i8 v68, s31, v56, 0
	v_lshrrev_b16_e32 v71, 8, v69
	v_lshrrev_b16_e32 v72, 8, v70
	v_dot4_i32_i8 v73, v83, v57, v73
	v_and_b32_sdwa v70, s34, v70 dst_sel:DWORD dst_unused:UNUSED_PAD src0_sel:DWORD src1_sel:BYTE_0
	v_and_b32_sdwa v69, s34, v69 dst_sel:DWORD dst_unused:UNUSED_PAD src0_sel:DWORD src1_sel:BYTE_0
	v_dot4_i32_i8 v68, s31, v55, v68
	v_mul_lo_u32 v70, v73, v70
	v_mul_lo_u32 v69, v62, v69
	v_dot4_i32_i8 v73, v65, v56, 0
	v_dot4_i32_i8 v73, v66, v55, v73
	v_mul_lo_u32 v71, v68, v71
	v_mul_lo_u32 v72, v73, v72
	v_cvt_f32_i32_e32 v69, v69
	v_cvt_f32_i32_e32 v70, v70
	v_cvt_f32_i32_e32 v71, v71
	v_cvt_f32_i32_e32 v72, v72
	v_fma_mix_f32 v69, v53, v69, 0 op_sel_hi:[1,0,0]
	v_fma_mix_f32 v70, v53, v70, 0 op_sel_hi:[1,0,0]
	v_fma_mix_f32 v69, v54, v71, v69 op_sel_hi:[1,0,0]
	v_dot4_i32_i8 v58, v64, v58, 0
	v_fma_mix_f32 v70, v54, v72, v70 op_sel_hi:[1,0,0]
	;; [unrolled: 50-line block ×3, first 2 shown]
	v_mul_f32_e32 v51, v51, v67
	v_dot4_i32_i8 v47, v63, v47, v48
	v_and_b32_sdwa v48, s34, v50 dst_sel:DWORD dst_unused:UNUSED_PAD src0_sel:DWORD src1_sel:BYTE_0
	v_fma_mix_f32 v51, v52, v10, -v51 op_sel_hi:[0,1,0]
	v_mul_lo_u32 v47, v47, v48
	v_and_b32_sdwa v48, s34, v49 dst_sel:DWORD dst_unused:UNUSED_PAD src0_sel:DWORD src1_sel:BYTE_0
	v_add_f32_e32 v22, v22, v51
	v_lshrrev_b16_e32 v51, 8, v49
	v_mul_lo_u32 v48, v53, v48
	v_dot4_i32_i8 v45, v8, v45, 0
	v_lshrrev_b16_e32 v52, 8, v50
	v_dot4_i32_i8 v44, v9, v44, v45
	v_mul_lo_u32 v45, v54, v51
	v_mul_lo_u32 v44, v44, v52
	v_cvt_f32_i32_e32 v47, v47
	v_cvt_f32_i32_e32 v48, v48
	;; [unrolled: 1-line block ×4, first 2 shown]
	v_fma_mix_f32 v47, v11, v47, 0 op_sel_hi:[1,0,0]
	v_fma_mix_f32 v11, v11, v48, 0 op_sel_hi:[1,0,0]
	;; [unrolled: 1-line block ×4, first 2 shown]
	v_mul_f32_e32 v11, v11, v61
	v_fma_mix_f32 v11, v44, v40, -v11 op_sel_hi:[0,1,0]
	v_add_f32_e32 v23, v23, v11
	v_dot4_i32_i8 v11, s31, v38, 0
	v_dot4_i32_i8 v47, v89, v38, 0
	;; [unrolled: 1-line block ×4, first 2 shown]
	v_lshrrev_b16_e32 v44, 8, v41
	v_lshrrev_b32_e32 v45, 24, v41
	v_dot4_i32_i8 v47, v83, v37, v47
	v_bfe_u32 v48, v41, 16, 8
	v_and_b32_e32 v41, 0xff, v41
	v_dot4_i32_i8 v43, s31, v35, v43
	v_mul_lo_u32 v47, v47, v48
	v_mul_lo_u32 v41, v11, v41
	v_dot4_i32_i8 v48, v65, v36, 0
	v_dot4_i32_i8 v48, v66, v35, v48
	v_mul_lo_u32 v44, v43, v44
	v_mul_lo_u32 v45, v48, v45
	v_cvt_f32_i32_e32 v41, v41
	v_cvt_f32_i32_e32 v47, v47
	;; [unrolled: 1-line block ×4, first 2 shown]
	v_fma_mix_f32 v41, v33, v41, 0 op_sel_hi:[1,0,0]
	v_fma_mix_f32 v47, v33, v47, 0 op_sel_hi:[1,0,0]
	;; [unrolled: 1-line block ×3, first 2 shown]
	v_dot4_i32_i8 v38, v64, v38, 0
	v_fma_mix_f32 v45, v34, v45, v47 op_sel_hi:[1,0,0]
	v_mul_f32_e32 v41, v41, v67
	v_dot4_i32_i8 v37, v63, v37, v38
	v_bfe_u32 v38, v39, 16, 8
	v_fma_mix_f32 v41, v45, v10, -v41 op_sel_hi:[0,1,0]
	v_mul_lo_u32 v37, v37, v38
	v_and_b32_e32 v38, 0xff, v39
	v_add_f32_e32 v24, v24, v41
	v_lshrrev_b16_e32 v41, 8, v39
	v_mul_lo_u32 v11, v11, v38
	v_dot4_i32_i8 v8, v8, v36, 0
	v_lshrrev_b32_e32 v44, 24, v39
	v_dot4_i32_i8 v8, v9, v35, v8
	v_mul_lo_u32 v9, v43, v41
	v_mul_lo_u32 v8, v8, v44
	v_cvt_f32_i32_e32 v11, v11
	v_cvt_f32_i32_e32 v35, v37
	;; [unrolled: 1-line block ×4, first 2 shown]
	v_fma_mix_f32 v11, v33, v11, 0 op_sel_hi:[1,0,0]
	v_fma_mix_f32 v35, v33, v35, 0 op_sel_hi:[1,0,0]
	;; [unrolled: 1-line block ×4, first 2 shown]
	v_mul_f32_e32 v9, v9, v61
	v_fma_mix_f32 v8, v8, v40, -v9 op_sel_hi:[0,1,0]
	v_dot4_i32_i8 v9, v89, v86, 0
	v_and_b32_sdwa v11, s34, v46 dst_sel:DWORD dst_unused:UNUSED_PAD src0_sel:DWORD src1_sel:BYTE_0
	v_add_f32_e32 v25, v25, v8
	v_lshrrev_b16_e32 v8, 8, v46
	v_dot4_i32_i8 v9, v83, v85, v9
	v_mul_lo_u32 v6, v6, v11
	v_dot4_i32_i8 v11, v65, v84, 0
	v_and_b32_sdwa v34, s34, v42 dst_sel:DWORD dst_unused:UNUSED_PAD src0_sel:DWORD src1_sel:BYTE_0
	v_dot4_i32_i8 v11, v66, v82, v11
	v_lshrrev_b16_e32 v33, 8, v42
	v_mul_lo_u32 v9, v9, v34
	v_mul_lo_u32 v7, v7, v8
	;; [unrolled: 1-line block ×3, first 2 shown]
	v_cvt_f32_i32_e32 v6, v6
	v_cvt_f32_i32_e32 v8, v9
	;; [unrolled: 1-line block ×4, first 2 shown]
	v_fma_mix_f32 v6, v79, v6, 0 op_sel_hi:[1,0,0]
	v_fma_mix_f32 v8, v79, v8, 0 op_sel_hi:[1,0,0]
	;; [unrolled: 1-line block ×3, first 2 shown]
	v_add_co_u32_e32 v2, vcc, 0x480, v2
	v_fma_mix_f32 v8, v80, v9, v8 op_sel_hi:[1,0,0]
	v_mul_f32_e32 v6, v6, v67
	v_add_u32_e32 v26, 4, v26
	v_addc_co_u32_e32 v3, vcc, 0, v3, vcc
	v_fma_mix_f32 v6, v8, v10, -v6 op_sel_hi:[0,1,0]
	v_cmp_le_u32_e32 vcc, s9, v26
	v_add_f32_e32 v12, v12, v6
	s_or_b64 s[16:17], vcc, s[16:17]
	v_add_u32_e32 v32, 32, v32
	s_andn2_b64 exec, exec, s[16:17]
	s_cbranch_execz .LBB142_55
.LBB142_3:                              ; =>This Inner Loop Header: Depth=1
	v_mov_b32_e32 v8, s20
	v_add_u32_e32 v10, s3, v26
	v_mov_b32_e32 v9, s21
	v_mad_i64_i32 v[8:9], s[22:23], v10, s27, v[8:9]
	v_add_co_u32_e32 v6, vcc, v2, v30
	v_addc_co_u32_e32 v7, vcc, 0, v3, vcc
	global_load_dword v33, v[2:3], off offset:-36
	global_load_dword v34, v[2:3], off
	global_load_dword v37, v[6:7], off offset:-32
	global_load_dword v38, v[6:7], off offset:-16
	global_load_dword v35, v[6:7], off offset:4
	global_load_dword v36, v[6:7], off offset:20
	v_add_co_u32_e32 v6, vcc, v8, v28
	v_addc_co_u32_e32 v7, vcc, 0, v9, vcc
	v_add_co_u32_e32 v6, vcc, v6, v30
	v_addc_co_u32_e32 v7, vcc, 0, v7, vcc
	;; [unrolled: 2-line block ×3, first 2 shown]
	global_load_dword v62, v[6:7], off offset:48
	global_load_dword v61, v[6:7], off offset:64
	;; [unrolled: 1-line block ×4, first 2 shown]
	v_lshlrev_b32_e32 v41, 1, v27
	v_add_co_u32_e32 v6, vcc, v8, v41
	v_addc_co_u32_e32 v7, vcc, 0, v9, vcc
                                        ; implicit-def: $vgpr39
                                        ; implicit-def: $vgpr79
                                        ; implicit-def: $vgpr80
	s_and_saveexec_b64 s[22:23], s[0:1]
	s_xor_b64 s[22:23], exec, s[22:23]
	s_cbranch_execz .LBB142_5
; %bb.4:                                ;   in Loop: Header=BB142_3 Depth=1
	global_load_ushort v10, v[6:7], off
	global_load_ushort v79, v[6:7], off offset:8
	global_load_ushort v80, v[6:7], off offset:4
	s_waitcnt vmcnt(1)
	v_perm_b32 v10, v10, v79, s28
	s_waitcnt vmcnt(0)
	v_perm_b32 v11, v79, v80, s28
	v_pk_lshrrev_b16 v11, 2, v11
	v_pk_lshrrev_b16 v10, s29, v10
	v_and_b32_e32 v11, 0xf0f3030, v11
	v_and_or_b32 v39, v10, s30, v11
.LBB142_5:                              ;   in Loop: Header=BB142_3 Depth=1
	s_andn2_saveexec_b64 s[22:23], s[22:23]
	s_cbranch_execz .LBB142_7
; %bb.6:                                ;   in Loop: Header=BB142_3 Depth=1
	global_load_ushort v80, v[6:7], off offset:4
	global_load_ushort v79, v[6:7], off offset:8
	s_waitcnt vmcnt(0)
	v_perm_b32 v10, v80, v79, s28
	v_and_b32_e32 v39, 0x3f3f3f3f, v10
.LBB142_7:                              ;   in Loop: Header=BB142_3 Depth=1
	s_or_b64 exec, exec, s[22:23]
	v_mov_b32_e32 v10, s20
	v_add_u32_e32 v40, s12, v26
	v_mov_b32_e32 v11, s21
	v_mad_i64_i32 v[10:11], s[22:23], v40, s27, v[10:11]
                                        ; implicit-def: $vgpr82
                                        ; implicit-def: $vgpr84
	v_add_co_u32_e32 v40, vcc, v10, v28
	v_addc_co_u32_e32 v43, vcc, 0, v11, vcc
	v_add_co_u32_e32 v42, vcc, v40, v30
	v_addc_co_u32_e32 v43, vcc, 0, v43, vcc
	v_add_co_u32_e32 v44, vcc, v10, v30
	v_addc_co_u32_e32 v45, vcc, 0, v11, vcc
	global_load_dword v40, v[8:9], off
	global_load_dword v66, v[42:43], off offset:48
	global_load_dword v65, v[42:43], off offset:64
	;; [unrolled: 1-line block ×4, first 2 shown]
	v_add_co_u32_e32 v8, vcc, v10, v41
	v_addc_co_u32_e32 v9, vcc, 0, v11, vcc
                                        ; implicit-def: $vgpr41
	s_and_saveexec_b64 s[22:23], s[0:1]
	s_xor_b64 s[22:23], exec, s[22:23]
	s_cbranch_execz .LBB142_9
; %bb.8:                                ;   in Loop: Header=BB142_3 Depth=1
	global_load_ushort v41, v[8:9], off
	global_load_ushort v82, v[8:9], off offset:8
	global_load_ushort v84, v[8:9], off offset:4
	s_waitcnt vmcnt(1)
	v_perm_b32 v41, v41, v82, s28
	s_waitcnt vmcnt(0)
	v_perm_b32 v42, v82, v84, s28
	v_pk_lshrrev_b16 v42, 2, v42
	v_pk_lshrrev_b16 v41, s29, v41
	v_and_b32_e32 v42, 0xf0f3030, v42
	v_and_or_b32 v41, v41, s30, v42
.LBB142_9:                              ;   in Loop: Header=BB142_3 Depth=1
	s_andn2_saveexec_b64 s[22:23], s[22:23]
	s_cbranch_execz .LBB142_11
; %bb.10:                               ;   in Loop: Header=BB142_3 Depth=1
	global_load_ushort v84, v[8:9], off offset:4
	global_load_ushort v82, v[8:9], off offset:8
	s_waitcnt vmcnt(0)
	v_perm_b32 v41, v84, v82, s28
	v_and_b32_e32 v41, 0x3f3f3f3f, v41
.LBB142_11:                             ;   in Loop: Header=BB142_3 Depth=1
	s_or_b64 exec, exec, s[22:23]
	v_add_u32_e32 v42, s13, v32
	v_mad_u64_u32 v[49:50], s[22:23], v42, 36, v[4:5]
	v_lshlrev_b32_e32 v85, 2, v29
	global_load_dword v10, v[10:11], off
	v_add_co_u32_e32 v51, vcc, v49, v85
	v_addc_co_u32_e32 v52, vcc, 0, v50, vcc
	global_load_dword v11, v[49:50], off
	global_load_dword v47, v[51:52], off offset:4
	global_load_dword v48, v[51:52], off offset:20
	;; [unrolled: 1-line block ×5, first 2 shown]
	v_lshrrev_b16_e32 v42, 4, v79
	v_lshrrev_b16_e32 v46, 2, v80
	v_and_b32_e32 v89, 0xf0f, v79
	v_and_b32_e32 v90, 0xf0f, v42
	;; [unrolled: 1-line block ×3, first 2 shown]
                                        ; implicit-def: $vgpr50
                                        ; implicit-def: $vgpr49
	s_and_saveexec_b64 s[22:23], s[0:1]
	s_xor_b64 s[22:23], exec, s[22:23]
	s_cbranch_execz .LBB142_13
; %bb.12:                               ;   in Loop: Header=BB142_3 Depth=1
	global_load_ushort v42, v[6:7], off
	v_or_b32_e32 v49, v91, v90
	s_waitcnt vmcnt(0)
	v_lshrrev_b16_e32 v42, 2, v42
	v_and_b32_e32 v42, 0x3030, v42
	v_or_b32_e32 v50, v42, v89
.LBB142_13:                             ;   in Loop: Header=BB142_3 Depth=1
	s_or_saveexec_b64 s[22:23], s[22:23]
	v_and_b32_e32 v81, 0x3f3f, v80
	v_and_b32_e32 v83, 0x3f3f, v79
	s_xor_b64 exec, exec, s[22:23]
; %bb.14:                               ;   in Loop: Header=BB142_3 Depth=1
	v_and_b32_e32 v50, 0x3f3f, v80
	v_and_b32_e32 v49, 0x3f3f, v79
; %bb.15:                               ;   in Loop: Header=BB142_3 Depth=1
	s_or_b64 exec, exec, s[22:23]
	v_lshrrev_b16_e32 v42, 4, v82
	v_lshrrev_b16_e32 v46, 2, v84
	v_and_b32_e32 v92, 0xf0f, v82
	v_and_b32_e32 v93, 0xf0f, v42
	;; [unrolled: 1-line block ×3, first 2 shown]
                                        ; implicit-def: $vgpr52
                                        ; implicit-def: $vgpr51
	s_and_saveexec_b64 s[22:23], s[0:1]
	s_xor_b64 s[22:23], exec, s[22:23]
	s_cbranch_execz .LBB142_17
; %bb.16:                               ;   in Loop: Header=BB142_3 Depth=1
	global_load_ushort v42, v[8:9], off
	v_or_b32_e32 v51, v94, v93
	s_waitcnt vmcnt(0)
	v_lshrrev_b16_e32 v42, 2, v42
	v_and_b32_e32 v42, 0x3030, v42
	v_or_b32_e32 v52, v42, v92
.LBB142_17:                             ;   in Loop: Header=BB142_3 Depth=1
	s_or_saveexec_b64 s[22:23], s[22:23]
	v_and_b32_e32 v42, 0x3f3f, v84
	v_and_b32_e32 v46, 0x3f3f, v82
	s_xor_b64 exec, exec, s[22:23]
; %bb.18:                               ;   in Loop: Header=BB142_3 Depth=1
	v_and_b32_e32 v52, 0x3f3f, v84
	v_and_b32_e32 v51, 0x3f3f, v82
; %bb.19:                               ;   in Loop: Header=BB142_3 Depth=1
	s_or_b64 exec, exec, s[22:23]
	v_add_u32_e32 v53, s15, v32
	v_mad_u64_u32 v[59:60], s[22:23], v53, 36, v[4:5]
	v_add_co_u32_e32 v69, vcc, v59, v85
	v_addc_co_u32_e32 v70, vcc, 0, v60, vcc
	global_load_dword v53, v[59:60], off
	global_load_dword v57, v[69:70], off offset:4
	global_load_dword v58, v[69:70], off offset:20
	;; [unrolled: 1-line block ×5, first 2 shown]
                                        ; implicit-def: $vgpr60
                                        ; implicit-def: $vgpr59
	s_and_saveexec_b64 s[22:23], s[0:1]
	s_xor_b64 s[22:23], exec, s[22:23]
	s_cbranch_execz .LBB142_21
; %bb.20:                               ;   in Loop: Header=BB142_3 Depth=1
	global_load_ushort v59, v[6:7], off
	s_waitcnt vmcnt(0)
	v_lshrrev_b16_e32 v59, 2, v59
	v_and_b32_e32 v59, 0x3030, v59
	v_or_b32_e32 v60, v59, v89
	v_or_b32_e32 v59, v91, v90
	s_andn2_saveexec_b64 s[22:23], s[22:23]
	s_branch .LBB142_22
.LBB142_21:                             ;   in Loop: Header=BB142_3 Depth=1
	s_andn2_saveexec_b64 s[22:23], s[22:23]
.LBB142_22:                             ;   in Loop: Header=BB142_3 Depth=1
	v_and_b32_e32 v60, 0x3f3f, v80
	v_and_b32_e32 v59, 0x3f3f, v79
; %bb.23:                               ;   in Loop: Header=BB142_3 Depth=1
	s_or_b64 exec, exec, s[22:23]
                                        ; implicit-def: $vgpr70
                                        ; implicit-def: $vgpr69
	s_and_saveexec_b64 s[22:23], s[0:1]
	s_xor_b64 s[22:23], exec, s[22:23]
	s_cbranch_execz .LBB142_25
; %bb.24:                               ;   in Loop: Header=BB142_3 Depth=1
	global_load_ushort v69, v[8:9], off
	s_waitcnt vmcnt(0)
	v_lshrrev_b16_e32 v69, 2, v69
	v_and_b32_e32 v69, 0x3030, v69
	v_or_b32_e32 v70, v69, v92
	v_or_b32_e32 v69, v94, v93
	s_andn2_saveexec_b64 s[22:23], s[22:23]
	s_cbranch_execnz .LBB142_26
	s_branch .LBB142_27
.LBB142_25:                             ;   in Loop: Header=BB142_3 Depth=1
	s_andn2_saveexec_b64 s[22:23], s[22:23]
.LBB142_26:                             ;   in Loop: Header=BB142_3 Depth=1
	v_and_b32_e32 v70, 0x3f3f, v84
	v_and_b32_e32 v69, 0x3f3f, v82
.LBB142_27:                             ;   in Loop: Header=BB142_3 Depth=1
	s_or_b64 exec, exec, s[22:23]
	v_add_u32_e32 v71, s19, v32
	v_mad_u64_u32 v[77:78], s[22:23], v71, 36, v[4:5]
	v_add_co_u32_e32 v86, vcc, v77, v85
	v_addc_co_u32_e32 v87, vcc, 0, v78, vcc
	global_load_dword v71, v[77:78], off
	global_load_dword v75, v[86:87], off offset:4
	global_load_dword v76, v[86:87], off offset:20
	global_load_dword v73, v[86:87], off offset:40
	global_load_dword v74, v[86:87], off offset:56
	global_load_dword v72, v[77:78], off offset:36
                                        ; implicit-def: $vgpr78
                                        ; implicit-def: $vgpr77
	s_and_saveexec_b64 s[22:23], s[0:1]
	s_xor_b64 s[22:23], exec, s[22:23]
	s_cbranch_execz .LBB142_29
; %bb.28:                               ;   in Loop: Header=BB142_3 Depth=1
	global_load_ushort v77, v[6:7], off
	s_waitcnt vmcnt(0)
	v_lshrrev_b16_e32 v77, 2, v77
	v_and_b32_e32 v77, 0x3030, v77
	v_or_b32_e32 v78, v77, v89
	v_or_b32_e32 v77, v91, v90
	s_andn2_saveexec_b64 s[22:23], s[22:23]
	s_branch .LBB142_30
.LBB142_29:                             ;   in Loop: Header=BB142_3 Depth=1
	s_andn2_saveexec_b64 s[22:23], s[22:23]
.LBB142_30:                             ;   in Loop: Header=BB142_3 Depth=1
	v_and_b32_e32 v78, 0x3f3f, v80
	v_and_b32_e32 v77, 0x3f3f, v79
; %bb.31:                               ;   in Loop: Header=BB142_3 Depth=1
	s_or_b64 exec, exec, s[22:23]
                                        ; implicit-def: $vgpr88
                                        ; implicit-def: $vgpr87
	s_and_saveexec_b64 s[22:23], s[0:1]
	s_xor_b64 s[22:23], exec, s[22:23]
	s_cbranch_execz .LBB142_33
; %bb.32:                               ;   in Loop: Header=BB142_3 Depth=1
	global_load_ushort v86, v[8:9], off
	v_or_b32_e32 v87, v94, v93
	s_waitcnt vmcnt(0)
	v_lshrrev_b16_e32 v86, 2, v86
	v_and_b32_e32 v86, 0x3030, v86
	v_or_b32_e32 v88, v86, v92
	s_andn2_saveexec_b64 s[22:23], s[22:23]
	s_cbranch_execnz .LBB142_34
	s_branch .LBB142_35
.LBB142_33:                             ;   in Loop: Header=BB142_3 Depth=1
	s_andn2_saveexec_b64 s[22:23], s[22:23]
.LBB142_34:                             ;   in Loop: Header=BB142_3 Depth=1
	v_and_b32_e32 v88, 0x3f3f, v84
	v_and_b32_e32 v87, 0x3f3f, v82
.LBB142_35:                             ;   in Loop: Header=BB142_3 Depth=1
	s_or_b64 exec, exec, s[22:23]
	v_add_u32_e32 v86, s24, v32
	v_mad_u64_u32 v[101:102], s[22:23], v86, 36, v[4:5]
	v_add_co_u32_e32 v103, vcc, v101, v85
	v_addc_co_u32_e32 v104, vcc, 0, v102, vcc
	global_load_dword v95, v[101:102], off
	global_load_dword v99, v[103:104], off offset:4
	global_load_dword v100, v[103:104], off offset:20
	;; [unrolled: 1-line block ×5, first 2 shown]
                                        ; implicit-def: $vgpr102
                                        ; implicit-def: $vgpr101
	s_and_saveexec_b64 s[22:23], s[0:1]
	s_xor_b64 s[22:23], exec, s[22:23]
	s_cbranch_execz .LBB142_37
; %bb.36:                               ;   in Loop: Header=BB142_3 Depth=1
	global_load_ushort v86, v[6:7], off
	v_or_b32_e32 v101, v91, v90
	s_waitcnt vmcnt(0)
	v_lshrrev_b16_e32 v86, 2, v86
	v_and_b32_e32 v86, 0x3030, v86
	v_or_b32_e32 v102, v86, v89
	s_andn2_saveexec_b64 s[22:23], s[22:23]
	s_branch .LBB142_38
.LBB142_37:                             ;   in Loop: Header=BB142_3 Depth=1
	s_andn2_saveexec_b64 s[22:23], s[22:23]
.LBB142_38:                             ;   in Loop: Header=BB142_3 Depth=1
	v_and_b32_e32 v102, 0x3f3f, v80
	v_and_b32_e32 v101, 0x3f3f, v79
; %bb.39:                               ;   in Loop: Header=BB142_3 Depth=1
	s_or_b64 exec, exec, s[22:23]
                                        ; implicit-def: $vgpr104
                                        ; implicit-def: $vgpr103
	s_and_saveexec_b64 s[22:23], s[0:1]
	s_xor_b64 s[22:23], exec, s[22:23]
	s_cbranch_execz .LBB142_41
; %bb.40:                               ;   in Loop: Header=BB142_3 Depth=1
	global_load_ushort v86, v[8:9], off
	v_or_b32_e32 v103, v94, v93
	s_waitcnt vmcnt(0)
	v_lshrrev_b16_e32 v86, 2, v86
	v_and_b32_e32 v86, 0x3030, v86
	v_or_b32_e32 v104, v86, v92
	s_andn2_saveexec_b64 s[22:23], s[22:23]
	s_cbranch_execnz .LBB142_42
	s_branch .LBB142_43
.LBB142_41:                             ;   in Loop: Header=BB142_3 Depth=1
	s_andn2_saveexec_b64 s[22:23], s[22:23]
.LBB142_42:                             ;   in Loop: Header=BB142_3 Depth=1
	v_and_b32_e32 v104, 0x3f3f, v84
	v_and_b32_e32 v103, 0x3f3f, v82
.LBB142_43:                             ;   in Loop: Header=BB142_3 Depth=1
	s_or_b64 exec, exec, s[22:23]
	v_add_u32_e32 v86, s25, v32
	v_mad_u64_u32 v[111:112], s[22:23], v86, 36, v[4:5]
	v_add_co_u32_e32 v113, vcc, v111, v85
	v_addc_co_u32_e32 v114, vcc, 0, v112, vcc
	global_load_dword v105, v[111:112], off
	global_load_dword v109, v[113:114], off offset:4
	global_load_dword v110, v[113:114], off offset:20
	global_load_dword v107, v[113:114], off offset:40
	global_load_dword v108, v[113:114], off offset:56
	global_load_dword v106, v[111:112], off offset:36
                                        ; implicit-def: $vgpr112
                                        ; implicit-def: $vgpr111
	s_and_saveexec_b64 s[22:23], s[0:1]
	s_xor_b64 s[22:23], exec, s[22:23]
	s_cbranch_execz .LBB142_45
; %bb.44:                               ;   in Loop: Header=BB142_3 Depth=1
	global_load_ushort v79, v[6:7], off
	v_or_b32_e32 v111, v91, v90
                                        ; implicit-def: $vgpr80
	s_waitcnt vmcnt(0)
	v_lshrrev_b16_e32 v79, 2, v79
	v_and_b32_e32 v79, 0x3030, v79
	v_or_b32_e32 v112, v79, v89
                                        ; implicit-def: $vgpr79
	s_andn2_saveexec_b64 s[22:23], s[22:23]
	s_branch .LBB142_46
.LBB142_45:                             ;   in Loop: Header=BB142_3 Depth=1
	s_andn2_saveexec_b64 s[22:23], s[22:23]
.LBB142_46:                             ;   in Loop: Header=BB142_3 Depth=1
	v_and_b32_e32 v112, 0x3f3f, v80
	v_and_b32_e32 v111, 0x3f3f, v79
; %bb.47:                               ;   in Loop: Header=BB142_3 Depth=1
	s_or_b64 exec, exec, s[22:23]
                                        ; implicit-def: $vgpr114
                                        ; implicit-def: $vgpr113
	s_and_saveexec_b64 s[22:23], s[0:1]
	s_xor_b64 s[22:23], exec, s[22:23]
	s_cbranch_execz .LBB142_49
; %bb.48:                               ;   in Loop: Header=BB142_3 Depth=1
	global_load_ushort v79, v[8:9], off
	v_or_b32_e32 v113, v94, v93
                                        ; implicit-def: $vgpr84
                                        ; implicit-def: $vgpr82
	s_waitcnt vmcnt(0)
	v_lshrrev_b16_e32 v79, 2, v79
	v_and_b32_e32 v79, 0x3030, v79
	v_or_b32_e32 v114, v79, v92
	s_andn2_saveexec_b64 s[22:23], s[22:23]
	s_cbranch_execnz .LBB142_50
	s_branch .LBB142_51
.LBB142_49:                             ;   in Loop: Header=BB142_3 Depth=1
	s_andn2_saveexec_b64 s[22:23], s[22:23]
.LBB142_50:                             ;   in Loop: Header=BB142_3 Depth=1
	v_and_b32_e32 v114, 0x3f3f, v84
	v_and_b32_e32 v113, 0x3f3f, v82
.LBB142_51:                             ;   in Loop: Header=BB142_3 Depth=1
	s_or_b64 exec, exec, s[22:23]
	v_add_u32_e32 v79, s26, v32
	v_mad_u64_u32 v[115:116], s[22:23], v79, 36, v[4:5]
	v_add_co_u32_e32 v117, vcc, v115, v85
	v_addc_co_u32_e32 v118, vcc, 0, v116, vcc
	global_load_dword v79, v[115:116], off
	global_load_dword v85, v[117:118], off offset:4
	global_load_dword v86, v[117:118], off offset:20
	;; [unrolled: 1-line block ×5, first 2 shown]
	s_and_saveexec_b64 s[22:23], s[0:1]
	s_xor_b64 s[22:23], exec, s[22:23]
	s_cbranch_execz .LBB142_53
; %bb.52:                               ;   in Loop: Header=BB142_3 Depth=1
	global_load_ushort v6, v[6:7], off
	v_or_b32_e32 v83, v91, v90
	s_waitcnt vmcnt(0)
	v_lshrrev_b16_e32 v6, 2, v6
	v_and_b32_e32 v6, 0x3030, v6
	v_or_b32_e32 v81, v6, v89
.LBB142_53:                             ;   in Loop: Header=BB142_3 Depth=1
	s_andn2_saveexec_b64 s[22:23], s[22:23]
	s_or_b64 exec, exec, s[22:23]
	s_and_saveexec_b64 s[22:23], s[0:1]
	s_xor_b64 s[22:23], exec, s[22:23]
	s_cbranch_execz .LBB142_2
; %bb.54:                               ;   in Loop: Header=BB142_3 Depth=1
	global_load_ushort v6, v[8:9], off
	v_or_b32_e32 v46, v94, v93
	s_waitcnt vmcnt(0)
	v_lshrrev_b16_e32 v6, 2, v6
	v_and_b32_e32 v6, 0x3030, v6
	v_or_b32_e32 v42, v6, v92
	s_branch .LBB142_2
.LBB142_55:
	s_or_b64 exec, exec, s[16:17]
.LBB142_56:
	s_or_b64 exec, exec, s[10:11]
	s_mov_b32 s1, 0
	v_cmp_eq_u32_e32 vcc, 0, v1
	; wave barrier
	s_and_saveexec_b64 s[10:11], vcc
	s_cbranch_execz .LBB142_71
; %bb.57:
	v_mbcnt_lo_u32_b32 v1, -1, 0
	v_mbcnt_hi_u32_b32 v6, -1, v1
	v_and_b32_e32 v1, 64, v6
	v_add_u32_e32 v7, 64, v1
	v_xor_b32_e32 v1, 32, v6
	v_cmp_lt_i32_e32 vcc, v1, v7
	v_cndmask_b32_e32 v1, v6, v1, vcc
	v_lshlrev_b32_e32 v1, 2, v1
	ds_bpermute_b32 v5, v1, v25
	ds_bpermute_b32 v8, v1, v24
	v_xor_b32_e32 v2, 16, v6
	v_cmp_lt_i32_e32 vcc, v2, v7
	v_cndmask_b32_e32 v2, v6, v2, vcc
	v_lshlrev_b32_e32 v2, 2, v2
	s_waitcnt lgkmcnt(1)
	v_add_f32_e32 v5, v25, v5
	s_waitcnt lgkmcnt(0)
	v_add_f32_e32 v8, v24, v8
	ds_bpermute_b32 v10, v2, v5
	ds_bpermute_b32 v11, v2, v8
	v_xor_b32_e32 v3, 8, v6
	v_cmp_lt_i32_e32 vcc, v3, v7
	v_cndmask_b32_e32 v3, v6, v3, vcc
	v_lshlrev_b32_e32 v3, 2, v3
	s_waitcnt lgkmcnt(1)
	v_add_f32_e32 v10, v5, v10
	s_waitcnt lgkmcnt(0)
	v_add_f32_e32 v8, v8, v11
	;; [unrolled: 10-line block ×3, first 2 shown]
	ds_bpermute_b32 v24, v4, v10
	ds_bpermute_b32 v11, v4, v8
	v_xor_b32_e32 v9, 2, v6
	v_cmp_lt_i32_e32 vcc, v9, v7
	v_cndmask_b32_e32 v9, v6, v9, vcc
	v_lshlrev_b32_e32 v5, 2, v9
	v_xor_b32_e32 v9, 1, v6
	v_cmp_lt_i32_e32 vcc, v9, v7
	s_waitcnt lgkmcnt(1)
	v_add_f32_e32 v7, v10, v24
	s_waitcnt lgkmcnt(0)
	v_add_f32_e32 v10, v8, v11
	v_cndmask_b32_e32 v6, v6, v9, vcc
	ds_bpermute_b32 v9, v5, v7
	ds_bpermute_b32 v11, v5, v10
	s_load_dwordx2 s[4:5], s[4:5], 0x38
	s_mul_i32 s2, s2, s7
	v_lshlrev_b32_e32 v8, 2, v6
	s_waitcnt lgkmcnt(0)
	v_add_f32_e32 v6, v7, v9
	v_add_f32_e32 v9, v10, v11
	s_mul_i32 s0, s18, s8
	s_add_i32 s2, s2, s6
	ds_bpermute_b32 v7, v8, v6
	ds_bpermute_b32 v10, v8, v9
	s_add_i32 s0, s2, s0
	s_lshl_b64 s[0:1], s[0:1], 2
	s_add_u32 s2, s4, s0
	v_add_u32_e32 v11, s6, v0
	s_addc_u32 s3, s5, s1
	v_cmp_gt_u32_e32 vcc, 2, v0
	v_cmp_gt_u32_e64 s[0:1], s14, v11
	s_and_b64 s[0:1], vcc, s[0:1]
	s_waitcnt lgkmcnt(1)
	v_add_f32_e32 v6, v6, v7
	s_waitcnt lgkmcnt(0)
	v_add_f32_e32 v7, v9, v10
	s_and_saveexec_b64 s[4:5], s[0:1]
	s_cbranch_execz .LBB142_59
; %bb.58:
	v_cmp_eq_u32_e32 vcc, 1, v0
	v_cndmask_b32_e32 v9, v6, v7, vcc
	v_cmp_eq_u32_e32 vcc, 2, v0
	v_cndmask_b32_e32 v9, v9, v23, vcc
	;; [unrolled: 2-line block ×13, first 2 shown]
	v_lshlrev_b32_e32 v10, 2, v0
	global_store_dword v10, v9, s[2:3]
.LBB142_59:
	s_or_b64 exec, exec, s[4:5]
	ds_bpermute_b32 v9, v1, v23
	ds_bpermute_b32 v10, v1, v22
	s_waitcnt lgkmcnt(1)
	v_add_f32_e32 v9, v23, v9
	s_waitcnt lgkmcnt(0)
	v_add_f32_e32 v10, v22, v10
	ds_bpermute_b32 v11, v2, v9
	ds_bpermute_b32 v22, v2, v10
	s_waitcnt lgkmcnt(1)
	v_add_f32_e32 v9, v9, v11
	s_waitcnt lgkmcnt(0)
	v_add_f32_e32 v10, v10, v22
	;; [unrolled: 6-line block ×6, first 2 shown]
	s_and_saveexec_b64 s[4:5], s[0:1]
	s_cbranch_execz .LBB142_61
; %bb.60:
	v_add_u32_e32 v11, 2, v0
	v_cmp_eq_u32_e32 vcc, 1, v11
	v_cndmask_b32_e32 v22, v6, v7, vcc
	v_cmp_eq_u32_e32 vcc, 2, v11
	v_cndmask_b32_e32 v22, v22, v10, vcc
	;; [unrolled: 2-line block ×13, first 2 shown]
	v_add_u32_e32 v22, s14, v0
	v_mov_b32_e32 v23, 0
	v_lshlrev_b64 v[22:23], 2, v[22:23]
	v_mov_b32_e32 v24, s3
	v_add_co_u32_e32 v22, vcc, s2, v22
	v_addc_co_u32_e32 v23, vcc, v24, v23, vcc
	global_store_dword v[22:23], v11, off
.LBB142_61:
	s_or_b64 exec, exec, s[4:5]
	ds_bpermute_b32 v11, v1, v21
	ds_bpermute_b32 v22, v1, v20
	s_waitcnt lgkmcnt(1)
	v_add_f32_e32 v11, v21, v11
	s_waitcnt lgkmcnt(0)
	v_add_f32_e32 v20, v20, v22
	ds_bpermute_b32 v21, v2, v11
	ds_bpermute_b32 v22, v2, v20
	s_waitcnt lgkmcnt(1)
	v_add_f32_e32 v11, v11, v21
	s_waitcnt lgkmcnt(0)
	v_add_f32_e32 v20, v20, v22
	;; [unrolled: 6-line block ×6, first 2 shown]
	s_and_saveexec_b64 s[4:5], s[0:1]
	s_cbranch_execz .LBB142_63
; %bb.62:
	v_add_u32_e32 v21, 4, v0
	v_cmp_eq_u32_e32 vcc, 1, v21
	v_cndmask_b32_e32 v22, v6, v7, vcc
	v_cmp_eq_u32_e32 vcc, 2, v21
	v_cndmask_b32_e32 v22, v22, v10, vcc
	;; [unrolled: 2-line block ×13, first 2 shown]
	v_lshl_or_b32 v21, s14, 1, v0
	v_mov_b32_e32 v22, 0
	v_lshlrev_b64 v[21:22], 2, v[21:22]
	v_mov_b32_e32 v24, s3
	v_add_co_u32_e32 v21, vcc, s2, v21
	v_addc_co_u32_e32 v22, vcc, v24, v22, vcc
	global_store_dword v[21:22], v23, off
.LBB142_63:
	s_or_b64 exec, exec, s[4:5]
	ds_bpermute_b32 v21, v1, v19
	ds_bpermute_b32 v22, v1, v18
	s_waitcnt lgkmcnt(1)
	v_add_f32_e32 v19, v19, v21
	s_waitcnt lgkmcnt(0)
	v_add_f32_e32 v18, v18, v22
	ds_bpermute_b32 v21, v2, v19
	ds_bpermute_b32 v22, v2, v18
	s_waitcnt lgkmcnt(1)
	v_add_f32_e32 v19, v19, v21
	s_waitcnt lgkmcnt(0)
	v_add_f32_e32 v18, v18, v22
	;; [unrolled: 6-line block ×6, first 2 shown]
	s_and_saveexec_b64 s[4:5], s[0:1]
	s_cbranch_execz .LBB142_65
; %bb.64:
	v_add_u32_e32 v23, 6, v0
	v_cmp_eq_u32_e32 vcc, 1, v23
	v_cndmask_b32_e32 v21, v6, v7, vcc
	v_cmp_eq_u32_e32 vcc, 2, v23
	v_cndmask_b32_e32 v21, v21, v10, vcc
	;; [unrolled: 2-line block ×12, first 2 shown]
	v_mad_u64_u32 v[21:22], s[6:7], s14, 3, v[0:1]
	v_mov_b32_e32 v22, 0
	v_cmp_eq_u32_e32 vcc, 13, v23
	v_lshlrev_b64 v[21:22], 2, v[21:22]
	v_cndmask_b32_e32 v23, v24, v12, vcc
	v_mov_b32_e32 v24, s3
	v_add_co_u32_e32 v21, vcc, s2, v21
	v_addc_co_u32_e32 v22, vcc, v24, v22, vcc
	global_store_dword v[21:22], v23, off
.LBB142_65:
	s_or_b64 exec, exec, s[4:5]
	ds_bpermute_b32 v21, v1, v17
	ds_bpermute_b32 v22, v1, v16
	s_waitcnt lgkmcnt(1)
	v_add_f32_e32 v17, v17, v21
	s_waitcnt lgkmcnt(0)
	v_add_f32_e32 v16, v16, v22
	ds_bpermute_b32 v21, v2, v17
	ds_bpermute_b32 v22, v2, v16
	s_waitcnt lgkmcnt(1)
	v_add_f32_e32 v17, v17, v21
	s_waitcnt lgkmcnt(0)
	v_add_f32_e32 v16, v16, v22
	;; [unrolled: 6-line block ×6, first 2 shown]
	s_and_saveexec_b64 s[4:5], s[0:1]
	s_cbranch_execz .LBB142_67
; %bb.66:
	v_add_u32_e32 v21, 8, v0
	v_cmp_eq_u32_e32 vcc, 1, v21
	v_cndmask_b32_e32 v22, v6, v7, vcc
	v_cmp_eq_u32_e32 vcc, 2, v21
	v_cndmask_b32_e32 v22, v22, v10, vcc
	;; [unrolled: 2-line block ×13, first 2 shown]
	v_lshl_or_b32 v21, s14, 2, v0
	v_mov_b32_e32 v22, 0
	v_lshlrev_b64 v[21:22], 2, v[21:22]
	v_mov_b32_e32 v24, s3
	v_add_co_u32_e32 v21, vcc, s2, v21
	v_addc_co_u32_e32 v22, vcc, v24, v22, vcc
	global_store_dword v[21:22], v23, off
.LBB142_67:
	s_or_b64 exec, exec, s[4:5]
	ds_bpermute_b32 v21, v1, v14
	ds_bpermute_b32 v22, v1, v15
	s_waitcnt lgkmcnt(1)
	v_add_f32_e32 v14, v14, v21
	s_waitcnt lgkmcnt(0)
	v_add_f32_e32 v15, v15, v22
	ds_bpermute_b32 v21, v2, v14
	ds_bpermute_b32 v22, v2, v15
	s_waitcnt lgkmcnt(1)
	v_add_f32_e32 v14, v14, v21
	s_waitcnt lgkmcnt(0)
	v_add_f32_e32 v15, v15, v22
	;; [unrolled: 6-line block ×6, first 2 shown]
	s_and_saveexec_b64 s[4:5], s[0:1]
	s_cbranch_execz .LBB142_69
; %bb.68:
	v_add_u32_e32 v23, 10, v0
	v_cmp_eq_u32_e32 vcc, 1, v23
	v_cndmask_b32_e32 v21, v6, v7, vcc
	v_cmp_eq_u32_e32 vcc, 2, v23
	v_cndmask_b32_e32 v21, v21, v10, vcc
	v_cmp_eq_u32_e32 vcc, 3, v23
	v_cndmask_b32_e32 v21, v21, v9, vcc
	v_cmp_eq_u32_e32 vcc, 4, v23
	v_cndmask_b32_e32 v21, v21, v20, vcc
	v_cmp_eq_u32_e32 vcc, 5, v23
	v_cndmask_b32_e32 v21, v21, v11, vcc
	v_cmp_eq_u32_e32 vcc, 6, v23
	v_cndmask_b32_e32 v21, v21, v19, vcc
	v_cmp_eq_u32_e32 vcc, 7, v23
	v_cndmask_b32_e32 v21, v21, v18, vcc
	v_cmp_eq_u32_e32 vcc, 8, v23
	v_cndmask_b32_e32 v21, v21, v17, vcc
	v_cmp_eq_u32_e32 vcc, 9, v23
	v_cndmask_b32_e32 v21, v21, v16, vcc
	v_cmp_eq_u32_e32 vcc, 10, v23
	v_cndmask_b32_e32 v21, v21, v15, vcc
	v_cmp_eq_u32_e32 vcc, 11, v23
	v_cndmask_b32_e32 v21, v21, v14, vcc
	v_cmp_eq_u32_e32 vcc, 12, v23
	v_cndmask_b32_e32 v24, v21, v13, vcc
	v_mad_u64_u32 v[21:22], s[6:7], s14, 5, v[0:1]
	v_mov_b32_e32 v22, 0
	v_cmp_eq_u32_e32 vcc, 13, v23
	v_lshlrev_b64 v[21:22], 2, v[21:22]
	v_cndmask_b32_e32 v23, v24, v12, vcc
	v_mov_b32_e32 v24, s3
	v_add_co_u32_e32 v21, vcc, s2, v21
	v_addc_co_u32_e32 v22, vcc, v24, v22, vcc
	global_store_dword v[21:22], v23, off
.LBB142_69:
	s_or_b64 exec, exec, s[4:5]
	ds_bpermute_b32 v21, v1, v13
	ds_bpermute_b32 v1, v1, v12
	s_waitcnt lgkmcnt(1)
	v_add_f32_e32 v13, v13, v21
	s_waitcnt lgkmcnt(0)
	v_add_f32_e32 v1, v12, v1
	ds_bpermute_b32 v12, v2, v13
	ds_bpermute_b32 v2, v2, v1
	s_waitcnt lgkmcnt(1)
	v_add_f32_e32 v12, v13, v12
	s_waitcnt lgkmcnt(0)
	v_add_f32_e32 v1, v1, v2
	;; [unrolled: 6-line block ×5, first 2 shown]
	ds_bpermute_b32 v3, v8, v1
	ds_bpermute_b32 v4, v8, v2
	s_and_b64 exec, exec, s[0:1]
	s_cbranch_execz .LBB142_71
; %bb.70:
	s_waitcnt lgkmcnt(1)
	v_add_f32_e32 v1, v1, v3
	v_add_u32_e32 v3, 12, v0
	v_cmp_eq_u32_e32 vcc, 1, v3
	s_waitcnt lgkmcnt(0)
	v_add_f32_e32 v2, v2, v4
	v_cndmask_b32_e32 v4, v6, v7, vcc
	v_cmp_eq_u32_e32 vcc, 2, v3
	v_cndmask_b32_e32 v4, v4, v10, vcc
	v_cmp_eq_u32_e32 vcc, 3, v3
	;; [unrolled: 2-line block ×12, first 2 shown]
	s_mul_i32 s0, s14, 6
	v_cndmask_b32_e32 v2, v1, v2, vcc
	v_or_b32_e32 v0, s0, v0
	v_mov_b32_e32 v1, 0
	v_lshlrev_b64 v[0:1], 2, v[0:1]
	v_mov_b32_e32 v3, s3
	v_add_co_u32_e32 v0, vcc, s2, v0
	v_addc_co_u32_e32 v1, vcc, v3, v1, vcc
	global_store_dword v[0:1], v2, off
.LBB142_71:
	s_endpgm
	.section	.rodata,"a",@progbits
	.p2align	6, 0x0
	.amdhsa_kernel _ZL13mul_mat_vec_qIL9ggml_type13ELi7ELb0ELb0EEvPKvS2_PKi31ggml_cuda_mm_fusion_args_devicePfj15HIP_vector_typeIjLj3EEjjjS8_jjjS8_jjjj
		.amdhsa_group_segment_fixed_size 0
		.amdhsa_private_segment_fixed_size 0
		.amdhsa_kernarg_size 144
		.amdhsa_user_sgpr_count 6
		.amdhsa_user_sgpr_private_segment_buffer 1
		.amdhsa_user_sgpr_dispatch_ptr 0
		.amdhsa_user_sgpr_queue_ptr 0
		.amdhsa_user_sgpr_kernarg_segment_ptr 1
		.amdhsa_user_sgpr_dispatch_id 0
		.amdhsa_user_sgpr_flat_scratch_init 0
		.amdhsa_user_sgpr_private_segment_size 0
		.amdhsa_uses_dynamic_stack 0
		.amdhsa_system_sgpr_private_segment_wavefront_offset 0
		.amdhsa_system_sgpr_workgroup_id_x 1
		.amdhsa_system_sgpr_workgroup_id_y 1
		.amdhsa_system_sgpr_workgroup_id_z 1
		.amdhsa_system_sgpr_workgroup_info 0
		.amdhsa_system_vgpr_workitem_id 1
		.amdhsa_next_free_vgpr 119
		.amdhsa_next_free_sgpr 35
		.amdhsa_reserve_vcc 1
		.amdhsa_reserve_flat_scratch 0
		.amdhsa_float_round_mode_32 0
		.amdhsa_float_round_mode_16_64 0
		.amdhsa_float_denorm_mode_32 3
		.amdhsa_float_denorm_mode_16_64 3
		.amdhsa_dx10_clamp 1
		.amdhsa_ieee_mode 1
		.amdhsa_fp16_overflow 0
		.amdhsa_exception_fp_ieee_invalid_op 0
		.amdhsa_exception_fp_denorm_src 0
		.amdhsa_exception_fp_ieee_div_zero 0
		.amdhsa_exception_fp_ieee_overflow 0
		.amdhsa_exception_fp_ieee_underflow 0
		.amdhsa_exception_fp_ieee_inexact 0
		.amdhsa_exception_int_div_zero 0
	.end_amdhsa_kernel
	.section	.text._ZL13mul_mat_vec_qIL9ggml_type13ELi7ELb0ELb0EEvPKvS2_PKi31ggml_cuda_mm_fusion_args_devicePfj15HIP_vector_typeIjLj3EEjjjS8_jjjS8_jjjj,"axG",@progbits,_ZL13mul_mat_vec_qIL9ggml_type13ELi7ELb0ELb0EEvPKvS2_PKi31ggml_cuda_mm_fusion_args_devicePfj15HIP_vector_typeIjLj3EEjjjS8_jjjS8_jjjj,comdat
.Lfunc_end142:
	.size	_ZL13mul_mat_vec_qIL9ggml_type13ELi7ELb0ELb0EEvPKvS2_PKi31ggml_cuda_mm_fusion_args_devicePfj15HIP_vector_typeIjLj3EEjjjS8_jjjS8_jjjj, .Lfunc_end142-_ZL13mul_mat_vec_qIL9ggml_type13ELi7ELb0ELb0EEvPKvS2_PKi31ggml_cuda_mm_fusion_args_devicePfj15HIP_vector_typeIjLj3EEjjjS8_jjjS8_jjjj
                                        ; -- End function
	.set _ZL13mul_mat_vec_qIL9ggml_type13ELi7ELb0ELb0EEvPKvS2_PKi31ggml_cuda_mm_fusion_args_devicePfj15HIP_vector_typeIjLj3EEjjjS8_jjjS8_jjjj.num_vgpr, 119
	.set _ZL13mul_mat_vec_qIL9ggml_type13ELi7ELb0ELb0EEvPKvS2_PKi31ggml_cuda_mm_fusion_args_devicePfj15HIP_vector_typeIjLj3EEjjjS8_jjjS8_jjjj.num_agpr, 0
	.set _ZL13mul_mat_vec_qIL9ggml_type13ELi7ELb0ELb0EEvPKvS2_PKi31ggml_cuda_mm_fusion_args_devicePfj15HIP_vector_typeIjLj3EEjjjS8_jjjS8_jjjj.numbered_sgpr, 35
	.set _ZL13mul_mat_vec_qIL9ggml_type13ELi7ELb0ELb0EEvPKvS2_PKi31ggml_cuda_mm_fusion_args_devicePfj15HIP_vector_typeIjLj3EEjjjS8_jjjS8_jjjj.num_named_barrier, 0
	.set _ZL13mul_mat_vec_qIL9ggml_type13ELi7ELb0ELb0EEvPKvS2_PKi31ggml_cuda_mm_fusion_args_devicePfj15HIP_vector_typeIjLj3EEjjjS8_jjjS8_jjjj.private_seg_size, 0
	.set _ZL13mul_mat_vec_qIL9ggml_type13ELi7ELb0ELb0EEvPKvS2_PKi31ggml_cuda_mm_fusion_args_devicePfj15HIP_vector_typeIjLj3EEjjjS8_jjjS8_jjjj.uses_vcc, 1
	.set _ZL13mul_mat_vec_qIL9ggml_type13ELi7ELb0ELb0EEvPKvS2_PKi31ggml_cuda_mm_fusion_args_devicePfj15HIP_vector_typeIjLj3EEjjjS8_jjjS8_jjjj.uses_flat_scratch, 0
	.set _ZL13mul_mat_vec_qIL9ggml_type13ELi7ELb0ELb0EEvPKvS2_PKi31ggml_cuda_mm_fusion_args_devicePfj15HIP_vector_typeIjLj3EEjjjS8_jjjS8_jjjj.has_dyn_sized_stack, 0
	.set _ZL13mul_mat_vec_qIL9ggml_type13ELi7ELb0ELb0EEvPKvS2_PKi31ggml_cuda_mm_fusion_args_devicePfj15HIP_vector_typeIjLj3EEjjjS8_jjjS8_jjjj.has_recursion, 0
	.set _ZL13mul_mat_vec_qIL9ggml_type13ELi7ELb0ELb0EEvPKvS2_PKi31ggml_cuda_mm_fusion_args_devicePfj15HIP_vector_typeIjLj3EEjjjS8_jjjS8_jjjj.has_indirect_call, 0
	.section	.AMDGPU.csdata,"",@progbits
; Kernel info:
; codeLenInByte = 7636
; TotalNumSgprs: 39
; NumVgprs: 119
; ScratchSize: 0
; MemoryBound: 0
; FloatMode: 240
; IeeeMode: 1
; LDSByteSize: 0 bytes/workgroup (compile time only)
; SGPRBlocks: 4
; VGPRBlocks: 29
; NumSGPRsForWavesPerEU: 39
; NumVGPRsForWavesPerEU: 119
; Occupancy: 2
; WaveLimiterHint : 0
; COMPUTE_PGM_RSRC2:SCRATCH_EN: 0
; COMPUTE_PGM_RSRC2:USER_SGPR: 6
; COMPUTE_PGM_RSRC2:TRAP_HANDLER: 0
; COMPUTE_PGM_RSRC2:TGID_X_EN: 1
; COMPUTE_PGM_RSRC2:TGID_Y_EN: 1
; COMPUTE_PGM_RSRC2:TGID_Z_EN: 1
; COMPUTE_PGM_RSRC2:TIDIG_COMP_CNT: 1
	.section	.text._ZL13mul_mat_vec_qIL9ggml_type13ELi8ELb0ELb0EEvPKvS2_PKi31ggml_cuda_mm_fusion_args_devicePfj15HIP_vector_typeIjLj3EEjjjS8_jjjS8_jjjj,"axG",@progbits,_ZL13mul_mat_vec_qIL9ggml_type13ELi8ELb0ELb0EEvPKvS2_PKi31ggml_cuda_mm_fusion_args_devicePfj15HIP_vector_typeIjLj3EEjjjS8_jjjS8_jjjj,comdat
	.globl	_ZL13mul_mat_vec_qIL9ggml_type13ELi8ELb0ELb0EEvPKvS2_PKi31ggml_cuda_mm_fusion_args_devicePfj15HIP_vector_typeIjLj3EEjjjS8_jjjS8_jjjj ; -- Begin function _ZL13mul_mat_vec_qIL9ggml_type13ELi8ELb0ELb0EEvPKvS2_PKi31ggml_cuda_mm_fusion_args_devicePfj15HIP_vector_typeIjLj3EEjjjS8_jjjS8_jjjj
	.p2align	8
	.type	_ZL13mul_mat_vec_qIL9ggml_type13ELi8ELb0ELb0EEvPKvS2_PKi31ggml_cuda_mm_fusion_args_devicePfj15HIP_vector_typeIjLj3EEjjjS8_jjjS8_jjjj,@function
_ZL13mul_mat_vec_qIL9ggml_type13ELi8ELb0ELb0EEvPKvS2_PKi31ggml_cuda_mm_fusion_args_devicePfj15HIP_vector_typeIjLj3EEjjjS8_jjjS8_jjjj: ; @_ZL13mul_mat_vec_qIL9ggml_type13ELi8ELb0ELb0EEvPKvS2_PKi31ggml_cuda_mm_fusion_args_devicePfj15HIP_vector_typeIjLj3EEjjjS8_jjjS8_jjjj
; %bb.0:
	s_load_dword s9, s[4:5], 0x40
	s_load_dwordx4 s[12:15], s[4:5], 0x50
	s_load_dword s25, s[4:5], 0x60
	s_load_dwordx4 s[0:3], s[4:5], 0x68
	;; [unrolled: 2-line block ×3, first 2 shown]
	v_lshl_or_b32 v2, v1, 6, v0
	s_waitcnt lgkmcnt(0)
	s_lshr_b32 s9, s9, 8
	v_lshrrev_b32_e32 v28, 4, v2
	v_mov_b32_e32 v12, 0
	s_lshl_b32 s6, s6, 1
	v_cmp_gt_u32_e32 vcc, s9, v28
	v_mov_b32_e32 v13, v12
	v_mov_b32_e32 v15, v12
	;; [unrolled: 1-line block ×15, first 2 shown]
	s_and_saveexec_b64 s[10:11], vcc
	s_cbranch_execz .LBB143_64
; %bb.1:
	s_mul_hi_u32 s15, s15, s7
	s_add_i32 s15, s7, s15
	s_load_dwordx4 s[20:23], s[4:5], 0x0
	s_lshr_b32 s15, s15, s25
	s_mul_i32 s15, s15, s0
	s_mul_hi_u32 s0, s3, s8
	s_add_i32 s0, s8, s0
	s_lshr_b32 s0, s0, s24
	s_mul_i32 s3, s17, s8
	s_mul_i32 s0, s0, s16
	s_mul_hi_u32 s16, s3, 36
	s_mul_i32 s3, s3, 36
	s_waitcnt lgkmcnt(0)
	s_add_u32 s3, s22, s3
	s_mul_i32 s1, s1, s7
	s_addc_u32 s16, s23, s16
	s_mul_hi_u32 s17, s1, 36
	s_mul_i32 s1, s1, 36
	s_add_u32 s22, s3, s1
	v_lshlrev_b32_e32 v2, 1, v0
	s_addc_u32 s23, s16, s17
	v_and_b32_e32 v3, 30, v2
	v_bfe_u32 v29, v2, 3, 2
	s_add_i32 s16, s6, 1
	v_bfe_u32 v2, v0, 2, 2
	s_add_i32 s15, s0, s15
	v_cmp_lt_u32_e64 s[0:1], 15, v3
	s_mul_i32 s3, s6, s12
	s_mul_i32 s12, s12, s16
	v_mul_hi_u32_u24_e32 v3, 0x48, v2
	v_mul_u32_u24_e32 v2, 0x48, v2
	s_movk_i32 s16, 0x120
	v_mad_u64_u32 v[2:3], s[16:17], v28, s16, v[2:3]
	v_lshlrev_b32_e32 v33, 1, v29
	v_mov_b32_e32 v4, s23
	v_add_co_u32_e32 v2, vcc, s22, v2
	v_addc_co_u32_e32 v3, vcc, v4, v3, vcc
	v_mad_u64_u32 v[4:5], s[22:23], v33, 36, s[22:23]
	v_mov_b32_e32 v14, 0
	v_and_b32_e32 v31, 3, v0
	v_add_co_u32_e32 v2, vcc, 36, v2
	v_lshlrev_b32_e32 v30, 5, v29
	v_lshlrev_b32_e32 v32, 2, v31
	s_add_i32 s3, s15, s3
	s_add_i32 s12, s15, s12
	v_addc_co_u32_e32 v3, vcc, 0, v3, vcc
	s_lshl_b32 s15, s13, 1
	v_lshlrev_b32_e32 v34, 3, v28
	s_mul_i32 s19, s13, 3
	s_lshl_b32 s24, s13, 2
	s_mul_i32 s25, s13, 5
	s_mul_i32 s26, s13, 6
	;; [unrolled: 1-line block ×3, first 2 shown]
	s_mov_b64 s[16:17], 0
	s_movk_i32 s28, 0xb0
	s_mov_b32 s29, 0x5040100
	s_mov_b32 s30, 0x20004
	;; [unrolled: 1-line block ×6, first 2 shown]
	v_mov_b32_e32 v16, v14
	v_mov_b32_e32 v17, v14
	;; [unrolled: 1-line block ×15, first 2 shown]
	s_branch .LBB143_3
.LBB143_2:                              ;   in Loop: Header=BB143_3 Depth=1
	s_andn2_saveexec_b64 s[22:23], s[22:23]
	s_or_b64 exec, exec, s[22:23]
	s_waitcnt vmcnt(48)
	v_ashrrev_i32_e32 v8, v33, v68
	v_ashrrev_i32_e32 v9, v33, v67
	v_and_b32_e32 v68, 0xf0f0f0f, v65
	v_lshlrev_b32_e32 v100, 4, v8
	v_and_b32_e32 v67, 0xf0f0f0f, v66
	v_lshlrev_b32_e32 v99, 4, v9
	v_and_or_b32 v68, v100, s34, v68
	v_lshrrev_b32_e32 v65, 4, v65
	v_and_or_b32 v67, v99, s34, v67
	v_lshrrev_b32_e32 v66, 4, v66
	v_and_b32_e32 v65, 0xf0f0f0f, v65
	v_lshlrev_b32_e32 v8, 3, v8
	s_waitcnt vmcnt(3)
	v_dot4_i32_i8 v100, v68, v94, 0
	v_dot4_i32_i8 v6, s33, v94, 0
	v_and_b32_e32 v66, 0xf0f0f0f, v66
	v_lshlrev_b32_e32 v9, 3, v9
	v_and_or_b32 v8, v8, s34, v65
	v_lshrrev_b16_e32 v99, 8, v83
	v_dot4_i32_i8 v100, v67, v92, v100
	v_and_b32_sdwa v83, s35, v83 dst_sel:DWORD dst_unused:UNUSED_PAD src0_sel:DWORD src1_sel:BYTE_0
	v_dot4_i32_i8 v7, s33, v92, v6
	s_waitcnt vmcnt(1)
	v_dot4_i32_i8 v6, s33, v91, 0
	v_and_or_b32 v9, v9, s34, v66
	v_lshrrev_b16_e32 v66, 8, v84
	v_mul_lo_u32 v83, v100, v83
	v_and_b32_sdwa v84, s35, v84 dst_sel:DWORD dst_unused:UNUSED_PAD src0_sel:DWORD src1_sel:BYTE_0
	v_dot4_i32_i8 v100, v8, v91, 0
	v_dot4_i32_i8 v6, s33, v89, v6
	v_mul_lo_u32 v84, v7, v84
	v_dot4_i32_i8 v100, v9, v89, v100
	v_mul_lo_u32 v99, v100, v99
	v_mul_lo_u32 v66, v6, v66
	v_cvt_f32_i32_e32 v83, v83
	v_cvt_f32_i32_e32 v84, v84
	;; [unrolled: 1-line block ×4, first 2 shown]
	v_cvt_f32_f16_sdwa v65, v42 dst_sel:DWORD dst_unused:UNUSED_PAD src0_sel:WORD_1
	v_fma_mix_f32 v83, v85, v83, 0 op_sel_hi:[1,0,0]
	v_fma_mix_f32 v84, v85, v84, 0 op_sel_hi:[1,0,0]
	v_ashrrev_i32_e32 v72, v33, v72
	s_waitcnt vmcnt(0)
	v_fma_mix_f32 v83, v86, v99, v83 op_sel_hi:[1,0,0]
	v_fma_mix_f32 v66, v86, v66, v84 op_sel_hi:[1,0,0]
	v_ashrrev_i32_e32 v71, v33, v71
	v_and_b32_e32 v99, 0xf0f0f0f, v69
	v_lshlrev_b32_e32 v101, 4, v72
	v_mul_f32_e32 v66, v66, v65
	v_and_b32_e32 v84, 0xf0f0f0f, v70
	v_lshlrev_b32_e32 v100, 4, v71
	v_and_or_b32 v99, v101, s34, v99
	v_lshrrev_b32_e32 v69, 4, v69
	v_fma_mix_f32 v66, v83, v42, -v66 op_sel_hi:[0,1,0]
	v_and_or_b32 v84, v100, s34, v84
	v_lshrrev_b32_e32 v70, 4, v70
	v_and_b32_e32 v69, 0xf0f0f0f, v69
	v_lshlrev_b32_e32 v72, 3, v72
	v_dot4_i32_i8 v101, v99, v122, 0
	v_add_f32_e32 v13, v13, v66
	v_dot4_i32_i8 v66, s33, v122, 0
	v_and_b32_e32 v70, 0xf0f0f0f, v70
	v_lshlrev_b32_e32 v71, 3, v71
	v_and_or_b32 v69, v72, s34, v69
	v_dot4_i32_i8 v101, v84, v121, v101
	v_and_b32_sdwa v102, s35, v126 dst_sel:DWORD dst_unused:UNUSED_PAD src0_sel:DWORD src1_sel:BYTE_0
	v_dot4_i32_i8 v66, s33, v121, v66
	v_dot4_i32_i8 v83, s33, v120, 0
	v_and_or_b32 v70, v71, s34, v70
	v_mul_lo_u32 v101, v101, v102
	v_and_b32_sdwa v102, s35, v125 dst_sel:DWORD dst_unused:UNUSED_PAD src0_sel:DWORD src1_sel:BYTE_0
	v_dot4_i32_i8 v103, v69, v120, 0
	v_dot4_i32_i8 v83, s33, v119, v83
	v_lshrrev_b16_e32 v72, 8, v125
	v_lshrrev_b16_e32 v100, 8, v126
	v_mul_lo_u32 v102, v66, v102
	v_dot4_i32_i8 v103, v70, v119, v103
	v_mul_lo_u32 v100, v103, v100
	v_mul_lo_u32 v72, v83, v72
	v_cvt_f32_i32_e32 v101, v101
	v_cvt_f32_i32_e32 v102, v102
	;; [unrolled: 1-line block ×4, first 2 shown]
	v_cvt_f32_f16_sdwa v71, v10 dst_sel:DWORD dst_unused:UNUSED_PAD src0_sel:WORD_1
	v_fma_mix_f32 v101, v117, v101, 0 op_sel_hi:[1,0,0]
	v_fma_mix_f32 v102, v117, v102, 0 op_sel_hi:[1,0,0]
	;; [unrolled: 1-line block ×4, first 2 shown]
	v_dot4_i32_i8 v101, v68, v122, 0
	v_mul_f32_e32 v72, v72, v71
	v_dot4_i32_i8 v101, v67, v121, v101
	v_and_b32_sdwa v102, s35, v124 dst_sel:DWORD dst_unused:UNUSED_PAD src0_sel:DWORD src1_sel:BYTE_0
	v_fma_mix_f32 v72, v100, v10, -v72 op_sel_hi:[0,1,0]
	v_mul_lo_u32 v101, v101, v102
	v_and_b32_sdwa v102, s35, v123 dst_sel:DWORD dst_unused:UNUSED_PAD src0_sel:DWORD src1_sel:BYTE_0
	v_add_f32_e32 v15, v15, v72
	v_lshrrev_b16_e32 v72, 8, v123
	v_mul_lo_u32 v66, v66, v102
	v_dot4_i32_i8 v102, v8, v120, 0
	v_lshrrev_b16_e32 v100, 8, v124
	v_dot4_i32_i8 v102, v9, v119, v102
	v_mul_lo_u32 v72, v83, v72
	v_mul_lo_u32 v100, v102, v100
	v_cvt_f32_i32_e32 v66, v66
	v_cvt_f32_i32_e32 v83, v101
	;; [unrolled: 1-line block ×4, first 2 shown]
	v_fma_mix_f32 v66, v117, v66, 0 op_sel_hi:[1,0,0]
	v_fma_mix_f32 v83, v117, v83, 0 op_sel_hi:[1,0,0]
	;; [unrolled: 1-line block ×4, first 2 shown]
	v_mul_f32_e32 v66, v66, v65
	v_fma_mix_f32 v66, v83, v42, -v66 op_sel_hi:[0,1,0]
	v_dot4_i32_i8 v101, v99, v112, 0
	v_add_f32_e32 v14, v14, v66
	v_dot4_i32_i8 v66, s33, v112, 0
	v_dot4_i32_i8 v101, v84, v111, v101
	v_and_b32_sdwa v102, s35, v116 dst_sel:DWORD dst_unused:UNUSED_PAD src0_sel:DWORD src1_sel:BYTE_0
	v_dot4_i32_i8 v66, s33, v111, v66
	v_dot4_i32_i8 v72, s33, v110, 0
	v_mul_lo_u32 v101, v101, v102
	v_and_b32_sdwa v102, s35, v115 dst_sel:DWORD dst_unused:UNUSED_PAD src0_sel:DWORD src1_sel:BYTE_0
	v_dot4_i32_i8 v103, v69, v110, 0
	v_dot4_i32_i8 v72, s33, v109, v72
	v_lshrrev_b16_e32 v83, 8, v115
	v_lshrrev_b16_e32 v100, 8, v116
	v_mul_lo_u32 v102, v66, v102
	v_dot4_i32_i8 v103, v70, v109, v103
	v_mul_lo_u32 v100, v103, v100
	v_mul_lo_u32 v83, v72, v83
	v_cvt_f32_i32_e32 v101, v101
	v_cvt_f32_i32_e32 v102, v102
	v_cvt_f32_i32_e32 v100, v100
	v_cvt_f32_i32_e32 v83, v83
	v_fma_mix_f32 v101, v107, v101, 0 op_sel_hi:[1,0,0]
	v_fma_mix_f32 v102, v107, v102, 0 op_sel_hi:[1,0,0]
	;; [unrolled: 1-line block ×4, first 2 shown]
	v_dot4_i32_i8 v101, v68, v112, 0
	v_mul_f32_e32 v83, v83, v71
	v_dot4_i32_i8 v101, v67, v111, v101
	v_and_b32_sdwa v102, s35, v114 dst_sel:DWORD dst_unused:UNUSED_PAD src0_sel:DWORD src1_sel:BYTE_0
	v_fma_mix_f32 v83, v100, v10, -v83 op_sel_hi:[0,1,0]
	v_mul_lo_u32 v101, v101, v102
	v_and_b32_sdwa v102, s35, v113 dst_sel:DWORD dst_unused:UNUSED_PAD src0_sel:DWORD src1_sel:BYTE_0
	v_add_f32_e32 v16, v16, v83
	v_lshrrev_b16_e32 v83, 8, v113
	v_mul_lo_u32 v66, v66, v102
	v_dot4_i32_i8 v102, v8, v110, 0
	v_lshrrev_b16_e32 v100, 8, v114
	v_dot4_i32_i8 v102, v9, v109, v102
	v_mul_lo_u32 v72, v72, v83
	v_mul_lo_u32 v100, v102, v100
	v_cvt_f32_i32_e32 v66, v66
	v_cvt_f32_i32_e32 v83, v101
	;; [unrolled: 1-line block ×4, first 2 shown]
	v_fma_mix_f32 v66, v107, v66, 0 op_sel_hi:[1,0,0]
	v_fma_mix_f32 v83, v107, v83, 0 op_sel_hi:[1,0,0]
	;; [unrolled: 1-line block ×4, first 2 shown]
	v_mul_f32_e32 v66, v66, v65
	v_fma_mix_f32 v66, v83, v42, -v66 op_sel_hi:[0,1,0]
	v_dot4_i32_i8 v101, v99, v96, 0
	v_add_f32_e32 v17, v17, v66
	v_dot4_i32_i8 v66, s33, v96, 0
	v_dot4_i32_i8 v101, v84, v95, v101
	v_and_b32_sdwa v102, s35, v106 dst_sel:DWORD dst_unused:UNUSED_PAD src0_sel:DWORD src1_sel:BYTE_0
	v_dot4_i32_i8 v66, s33, v95, v66
	v_dot4_i32_i8 v72, s33, v93, 0
	v_mul_lo_u32 v101, v101, v102
	v_and_b32_sdwa v102, s35, v105 dst_sel:DWORD dst_unused:UNUSED_PAD src0_sel:DWORD src1_sel:BYTE_0
	v_dot4_i32_i8 v72, s33, v90, v72
	v_lshrrev_b16_e32 v83, 8, v105
	v_mul_lo_u32 v102, v66, v102
	v_dot4_i32_i8 v103, v69, v93, 0
	v_lshrrev_b16_e32 v100, 8, v106
	v_dot4_i32_i8 v103, v70, v90, v103
	v_mul_lo_u32 v83, v72, v83
	v_mul_lo_u32 v100, v103, v100
	v_cvt_f32_i32_e32 v102, v102
	v_cvt_f32_i32_e32 v101, v101
	v_cvt_f32_i32_e32 v83, v83
	v_cvt_f32_i32_e32 v100, v100
	v_fma_mix_f32 v102, v87, v102, 0 op_sel_hi:[1,0,0]
	v_fma_mix_f32 v101, v87, v101, 0 op_sel_hi:[1,0,0]
	v_fma_mix_f32 v83, v88, v83, v102 op_sel_hi:[1,0,0]
	v_dot4_i32_i8 v96, v68, v96, 0
	v_fma_mix_f32 v100, v88, v100, v101 op_sel_hi:[1,0,0]
	v_mul_f32_e32 v83, v83, v71
	v_dot4_i32_i8 v95, v67, v95, v96
	v_and_b32_sdwa v96, s35, v98 dst_sel:DWORD dst_unused:UNUSED_PAD src0_sel:DWORD src1_sel:BYTE_0
	v_fma_mix_f32 v83, v100, v10, -v83 op_sel_hi:[0,1,0]
	v_mul_lo_u32 v95, v95, v96
	v_and_b32_sdwa v96, s35, v97 dst_sel:DWORD dst_unused:UNUSED_PAD src0_sel:DWORD src1_sel:BYTE_0
	v_add_f32_e32 v18, v18, v83
	v_lshrrev_b16_e32 v83, 8, v97
	v_mul_lo_u32 v66, v66, v96
	v_dot4_i32_i8 v93, v8, v93, 0
	v_lshrrev_b16_e32 v100, 8, v98
	v_dot4_i32_i8 v90, v9, v90, v93
	v_mul_lo_u32 v72, v72, v83
	v_mul_lo_u32 v90, v90, v100
	v_cvt_f32_i32_e32 v66, v66
	v_cvt_f32_i32_e32 v83, v95
	v_cvt_f32_i32_e32 v72, v72
	v_cvt_f32_i32_e32 v90, v90
	v_fma_mix_f32 v66, v87, v66, 0 op_sel_hi:[1,0,0]
	v_fma_mix_f32 v83, v87, v83, 0 op_sel_hi:[1,0,0]
	v_fma_mix_f32 v66, v88, v72, v66 op_sel_hi:[1,0,0]
	v_fma_mix_f32 v83, v88, v90, v83 op_sel_hi:[1,0,0]
	v_mul_f32_e32 v66, v66, v65
	v_fma_mix_f32 v66, v83, v42, -v66 op_sel_hi:[0,1,0]
	v_add_f32_e32 v19, v19, v66
	v_dot4_i32_i8 v66, s33, v78, 0
	v_dot4_i32_i8 v88, v99, v78, 0
	v_dot4_i32_i8 v66, s33, v77, v66
	v_dot4_i32_i8 v72, s33, v76, 0
	v_lshrrev_b16_e32 v83, 8, v81
	v_lshrrev_b16_e32 v87, 8, v82
	v_dot4_i32_i8 v88, v84, v77, v88
	v_and_b32_sdwa v82, s35, v82 dst_sel:DWORD dst_unused:UNUSED_PAD src0_sel:DWORD src1_sel:BYTE_0
	v_and_b32_sdwa v81, s35, v81 dst_sel:DWORD dst_unused:UNUSED_PAD src0_sel:DWORD src1_sel:BYTE_0
	v_dot4_i32_i8 v72, s33, v75, v72
	v_mul_lo_u32 v82, v88, v82
	v_mul_lo_u32 v81, v66, v81
	v_dot4_i32_i8 v88, v69, v76, 0
	v_dot4_i32_i8 v88, v70, v75, v88
	v_mul_lo_u32 v83, v72, v83
	v_mul_lo_u32 v87, v88, v87
	v_cvt_f32_i32_e32 v81, v81
	v_cvt_f32_i32_e32 v82, v82
	v_cvt_f32_i32_e32 v83, v83
	v_cvt_f32_i32_e32 v87, v87
	v_fma_mix_f32 v81, v73, v81, 0 op_sel_hi:[1,0,0]
	v_fma_mix_f32 v82, v73, v82, 0 op_sel_hi:[1,0,0]
	v_fma_mix_f32 v81, v74, v83, v81 op_sel_hi:[1,0,0]
	v_dot4_i32_i8 v78, v68, v78, 0
	v_fma_mix_f32 v82, v74, v87, v82 op_sel_hi:[1,0,0]
	v_mul_f32_e32 v81, v81, v71
	v_dot4_i32_i8 v77, v67, v77, v78
	v_and_b32_sdwa v78, s35, v80 dst_sel:DWORD dst_unused:UNUSED_PAD src0_sel:DWORD src1_sel:BYTE_0
	v_fma_mix_f32 v81, v82, v10, -v81 op_sel_hi:[0,1,0]
	v_mul_lo_u32 v77, v77, v78
	v_and_b32_sdwa v78, s35, v79 dst_sel:DWORD dst_unused:UNUSED_PAD src0_sel:DWORD src1_sel:BYTE_0
	v_add_f32_e32 v20, v20, v81
	v_lshrrev_b16_e32 v81, 8, v79
	v_mul_lo_u32 v66, v66, v78
	v_dot4_i32_i8 v76, v8, v76, 0
	v_lshrrev_b16_e32 v82, 8, v80
	v_dot4_i32_i8 v75, v9, v75, v76
	v_mul_lo_u32 v72, v72, v81
	v_mul_lo_u32 v75, v75, v82
	v_cvt_f32_i32_e32 v66, v66
	v_cvt_f32_i32_e32 v76, v77
	v_cvt_f32_i32_e32 v72, v72
	v_cvt_f32_i32_e32 v75, v75
	v_fma_mix_f32 v66, v73, v66, 0 op_sel_hi:[1,0,0]
	v_fma_mix_f32 v76, v73, v76, 0 op_sel_hi:[1,0,0]
	v_fma_mix_f32 v66, v74, v72, v66 op_sel_hi:[1,0,0]
	v_fma_mix_f32 v73, v74, v75, v76 op_sel_hi:[1,0,0]
	v_mul_f32_e32 v66, v66, v65
	v_fma_mix_f32 v66, v73, v42, -v66 op_sel_hi:[0,1,0]
	v_add_f32_e32 v21, v21, v66
	v_dot4_i32_i8 v66, s33, v60, 0
	v_dot4_i32_i8 v75, v99, v60, 0
	v_dot4_i32_i8 v66, s33, v59, v66
	v_dot4_i32_i8 v72, s33, v58, 0
	v_lshrrev_b16_e32 v73, 8, v63
	v_lshrrev_b16_e32 v74, 8, v64
	v_dot4_i32_i8 v75, v84, v59, v75
	v_and_b32_sdwa v64, s35, v64 dst_sel:DWORD dst_unused:UNUSED_PAD src0_sel:DWORD src1_sel:BYTE_0
	v_and_b32_sdwa v63, s35, v63 dst_sel:DWORD dst_unused:UNUSED_PAD src0_sel:DWORD src1_sel:BYTE_0
	v_dot4_i32_i8 v72, s33, v57, v72
	v_mul_lo_u32 v64, v75, v64
	v_mul_lo_u32 v63, v66, v63
	v_dot4_i32_i8 v75, v69, v58, 0
	;; [unrolled: 50-line block ×3, first 2 shown]
	v_dot4_i32_i8 v59, v70, v46, v59
	v_mul_lo_u32 v57, v56, v57
	v_mul_lo_u32 v58, v59, v58
	v_cvt_f32_i32_e32 v53, v53
	v_cvt_f32_i32_e32 v54, v54
	;; [unrolled: 1-line block ×4, first 2 shown]
	v_fma_mix_f32 v53, v11, v53, 0 op_sel_hi:[1,0,0]
	v_fma_mix_f32 v54, v11, v54, 0 op_sel_hi:[1,0,0]
	;; [unrolled: 1-line block ×3, first 2 shown]
	v_dot4_i32_i8 v50, v68, v50, 0
	v_fma_mix_f32 v54, v45, v58, v54 op_sel_hi:[1,0,0]
	v_mul_f32_e32 v53, v53, v71
	v_dot4_i32_i8 v49, v67, v49, v50
	v_and_b32_sdwa v50, s35, v52 dst_sel:DWORD dst_unused:UNUSED_PAD src0_sel:DWORD src1_sel:BYTE_0
	v_fma_mix_f32 v53, v54, v10, -v53 op_sel_hi:[0,1,0]
	v_mul_lo_u32 v49, v49, v50
	v_and_b32_sdwa v50, s35, v51 dst_sel:DWORD dst_unused:UNUSED_PAD src0_sel:DWORD src1_sel:BYTE_0
	v_add_f32_e32 v24, v24, v53
	v_lshrrev_b16_e32 v53, 8, v51
	v_mul_lo_u32 v50, v55, v50
	v_dot4_i32_i8 v47, v8, v47, 0
	v_lshrrev_b16_e32 v54, 8, v52
	v_dot4_i32_i8 v46, v9, v46, v47
	v_mul_lo_u32 v47, v56, v53
	v_mul_lo_u32 v46, v46, v54
	v_cvt_f32_i32_e32 v49, v49
	v_cvt_f32_i32_e32 v50, v50
	;; [unrolled: 1-line block ×4, first 2 shown]
	v_fma_mix_f32 v49, v11, v49, 0 op_sel_hi:[1,0,0]
	v_fma_mix_f32 v11, v11, v50, 0 op_sel_hi:[1,0,0]
	;; [unrolled: 1-line block ×4, first 2 shown]
	v_mul_f32_e32 v11, v11, v65
	v_fma_mix_f32 v11, v46, v42, -v11 op_sel_hi:[0,1,0]
	v_add_f32_e32 v25, v25, v11
	v_dot4_i32_i8 v11, s33, v40, 0
	v_dot4_i32_i8 v49, v99, v40, 0
	;; [unrolled: 1-line block ×4, first 2 shown]
	v_lshrrev_b16_e32 v46, 8, v43
	v_lshrrev_b32_e32 v47, 24, v43
	v_dot4_i32_i8 v49, v84, v39, v49
	v_bfe_u32 v50, v43, 16, 8
	v_and_b32_e32 v43, 0xff, v43
	v_dot4_i32_i8 v45, s33, v37, v45
	v_mul_lo_u32 v49, v49, v50
	v_mul_lo_u32 v43, v11, v43
	v_dot4_i32_i8 v50, v69, v38, 0
	v_dot4_i32_i8 v50, v70, v37, v50
	v_mul_lo_u32 v46, v45, v46
	v_mul_lo_u32 v47, v50, v47
	v_cvt_f32_i32_e32 v43, v43
	v_cvt_f32_i32_e32 v49, v49
	;; [unrolled: 1-line block ×4, first 2 shown]
	v_fma_mix_f32 v43, v35, v43, 0 op_sel_hi:[1,0,0]
	v_fma_mix_f32 v49, v35, v49, 0 op_sel_hi:[1,0,0]
	;; [unrolled: 1-line block ×3, first 2 shown]
	v_dot4_i32_i8 v40, v68, v40, 0
	v_fma_mix_f32 v47, v36, v47, v49 op_sel_hi:[1,0,0]
	v_mul_f32_e32 v43, v43, v71
	v_dot4_i32_i8 v39, v67, v39, v40
	v_bfe_u32 v40, v41, 16, 8
	v_fma_mix_f32 v43, v47, v10, -v43 op_sel_hi:[0,1,0]
	v_mul_lo_u32 v39, v39, v40
	v_and_b32_e32 v40, 0xff, v41
	v_add_f32_e32 v26, v26, v43
	v_lshrrev_b16_e32 v43, 8, v41
	v_mul_lo_u32 v11, v11, v40
	v_dot4_i32_i8 v8, v8, v38, 0
	v_lshrrev_b32_e32 v46, 24, v41
	v_dot4_i32_i8 v8, v9, v37, v8
	v_mul_lo_u32 v9, v45, v43
	v_mul_lo_u32 v8, v8, v46
	v_cvt_f32_i32_e32 v11, v11
	v_cvt_f32_i32_e32 v37, v39
	;; [unrolled: 1-line block ×4, first 2 shown]
	v_fma_mix_f32 v11, v35, v11, 0 op_sel_hi:[1,0,0]
	v_fma_mix_f32 v37, v35, v37, 0 op_sel_hi:[1,0,0]
	;; [unrolled: 1-line block ×4, first 2 shown]
	v_mul_f32_e32 v9, v9, v65
	v_fma_mix_f32 v8, v8, v42, -v9 op_sel_hi:[0,1,0]
	v_dot4_i32_i8 v9, v99, v94, 0
	v_and_b32_sdwa v11, s35, v48 dst_sel:DWORD dst_unused:UNUSED_PAD src0_sel:DWORD src1_sel:BYTE_0
	v_add_f32_e32 v27, v27, v8
	v_lshrrev_b16_e32 v8, 8, v48
	v_dot4_i32_i8 v9, v84, v92, v9
	v_mul_lo_u32 v7, v7, v11
	v_dot4_i32_i8 v11, v69, v91, 0
	v_and_b32_sdwa v36, s35, v44 dst_sel:DWORD dst_unused:UNUSED_PAD src0_sel:DWORD src1_sel:BYTE_0
	v_dot4_i32_i8 v11, v70, v89, v11
	v_lshrrev_b16_e32 v35, 8, v44
	v_mul_lo_u32 v9, v9, v36
	v_mul_lo_u32 v6, v6, v8
	v_mul_lo_u32 v11, v11, v35
	v_cvt_f32_i32_e32 v7, v7
	v_cvt_f32_i32_e32 v8, v9
	;; [unrolled: 1-line block ×4, first 2 shown]
	v_fma_mix_f32 v7, v85, v7, 0 op_sel_hi:[1,0,0]
	v_fma_mix_f32 v8, v85, v8, 0 op_sel_hi:[1,0,0]
	;; [unrolled: 1-line block ×3, first 2 shown]
	v_add_co_u32_e32 v2, vcc, 0x480, v2
	v_fma_mix_f32 v8, v86, v9, v8 op_sel_hi:[1,0,0]
	v_mul_f32_e32 v6, v6, v71
	v_add_u32_e32 v28, 4, v28
	v_addc_co_u32_e32 v3, vcc, 0, v3, vcc
	v_fma_mix_f32 v6, v8, v10, -v6 op_sel_hi:[0,1,0]
	v_cmp_le_u32_e32 vcc, s9, v28
	v_add_f32_e32 v12, v12, v6
	s_or_b64 s[16:17], vcc, s[16:17]
	v_add_u32_e32 v34, 32, v34
	s_andn2_b64 exec, exec, s[16:17]
	s_cbranch_execz .LBB143_63
.LBB143_3:                              ; =>This Inner Loop Header: Depth=1
	v_mov_b32_e32 v8, s20
	v_add_u32_e32 v10, s3, v28
	v_mov_b32_e32 v9, s21
	v_mad_i64_i32 v[8:9], s[22:23], v10, s28, v[8:9]
	v_add_co_u32_e32 v6, vcc, v2, v32
	v_addc_co_u32_e32 v7, vcc, 0, v3, vcc
	global_load_dword v35, v[2:3], off offset:-36
	global_load_dword v36, v[2:3], off
	global_load_dword v39, v[6:7], off offset:-32
	global_load_dword v40, v[6:7], off offset:-16
	global_load_dword v37, v[6:7], off offset:4
	global_load_dword v38, v[6:7], off offset:20
	v_add_co_u32_e32 v6, vcc, v8, v30
	v_addc_co_u32_e32 v7, vcc, 0, v9, vcc
	v_add_co_u32_e32 v6, vcc, v6, v32
	v_addc_co_u32_e32 v7, vcc, 0, v7, vcc
	;; [unrolled: 2-line block ×3, first 2 shown]
	global_load_dword v66, v[6:7], off offset:48
	global_load_dword v65, v[6:7], off offset:64
	;; [unrolled: 1-line block ×4, first 2 shown]
	v_lshlrev_b32_e32 v43, 1, v29
	v_add_co_u32_e32 v6, vcc, v8, v43
	v_addc_co_u32_e32 v7, vcc, 0, v9, vcc
                                        ; implicit-def: $vgpr41
                                        ; implicit-def: $vgpr85
                                        ; implicit-def: $vgpr86
	s_and_saveexec_b64 s[22:23], s[0:1]
	s_xor_b64 s[22:23], exec, s[22:23]
	s_cbranch_execz .LBB143_5
; %bb.4:                                ;   in Loop: Header=BB143_3 Depth=1
	global_load_ushort v10, v[6:7], off
	global_load_ushort v85, v[6:7], off offset:8
	global_load_ushort v86, v[6:7], off offset:4
	s_waitcnt vmcnt(1)
	v_perm_b32 v10, v10, v85, s29
	s_waitcnt vmcnt(0)
	v_perm_b32 v11, v85, v86, s29
	v_pk_lshrrev_b16 v11, 2, v11
	v_pk_lshrrev_b16 v10, s30, v10
	v_and_b32_e32 v11, 0xf0f3030, v11
	v_and_or_b32 v41, v10, s31, v11
.LBB143_5:                              ;   in Loop: Header=BB143_3 Depth=1
	s_andn2_saveexec_b64 s[22:23], s[22:23]
	s_cbranch_execz .LBB143_7
; %bb.6:                                ;   in Loop: Header=BB143_3 Depth=1
	global_load_ushort v86, v[6:7], off offset:4
	global_load_ushort v85, v[6:7], off offset:8
	s_waitcnt vmcnt(0)
	v_perm_b32 v10, v86, v85, s29
	v_and_b32_e32 v41, 0x3f3f3f3f, v10
.LBB143_7:                              ;   in Loop: Header=BB143_3 Depth=1
	s_or_b64 exec, exec, s[22:23]
	v_mov_b32_e32 v10, s20
	v_add_u32_e32 v42, s12, v28
	v_mov_b32_e32 v11, s21
	v_mad_i64_i32 v[10:11], s[22:23], v42, s28, v[10:11]
                                        ; implicit-def: $vgpr89
                                        ; implicit-def: $vgpr91
	v_add_co_u32_e32 v42, vcc, v10, v30
	v_addc_co_u32_e32 v45, vcc, 0, v11, vcc
	v_add_co_u32_e32 v44, vcc, v42, v32
	v_addc_co_u32_e32 v45, vcc, 0, v45, vcc
	;; [unrolled: 2-line block ×3, first 2 shown]
	global_load_dword v42, v[8:9], off
	global_load_dword v70, v[44:45], off offset:48
	global_load_dword v69, v[44:45], off offset:64
	;; [unrolled: 1-line block ×4, first 2 shown]
	v_add_co_u32_e32 v8, vcc, v10, v43
	v_addc_co_u32_e32 v9, vcc, 0, v11, vcc
                                        ; implicit-def: $vgpr43
	s_and_saveexec_b64 s[22:23], s[0:1]
	s_xor_b64 s[22:23], exec, s[22:23]
	s_cbranch_execz .LBB143_9
; %bb.8:                                ;   in Loop: Header=BB143_3 Depth=1
	global_load_ushort v43, v[8:9], off
	global_load_ushort v89, v[8:9], off offset:8
	global_load_ushort v91, v[8:9], off offset:4
	s_waitcnt vmcnt(1)
	v_perm_b32 v43, v43, v89, s29
	s_waitcnt vmcnt(0)
	v_perm_b32 v44, v89, v91, s29
	v_pk_lshrrev_b16 v44, 2, v44
	v_pk_lshrrev_b16 v43, s30, v43
	v_and_b32_e32 v44, 0xf0f3030, v44
	v_and_or_b32 v43, v43, s31, v44
.LBB143_9:                              ;   in Loop: Header=BB143_3 Depth=1
	s_andn2_saveexec_b64 s[22:23], s[22:23]
	s_cbranch_execz .LBB143_11
; %bb.10:                               ;   in Loop: Header=BB143_3 Depth=1
	global_load_ushort v91, v[8:9], off offset:4
	global_load_ushort v89, v[8:9], off offset:8
	s_waitcnt vmcnt(0)
	v_perm_b32 v43, v91, v89, s29
	v_and_b32_e32 v43, 0x3f3f3f3f, v43
.LBB143_11:                             ;   in Loop: Header=BB143_3 Depth=1
	s_or_b64 exec, exec, s[22:23]
	v_add_u32_e32 v44, s13, v34
	v_mad_u64_u32 v[51:52], s[22:23], v44, 36, v[4:5]
	v_lshlrev_b32_e32 v92, 2, v31
	global_load_dword v10, v[10:11], off
	v_add_co_u32_e32 v53, vcc, v51, v92
	v_addc_co_u32_e32 v54, vcc, 0, v52, vcc
	global_load_dword v11, v[51:52], off
	global_load_dword v49, v[53:54], off offset:4
	global_load_dword v50, v[53:54], off offset:20
	;; [unrolled: 1-line block ×5, first 2 shown]
	v_lshrrev_b16_e32 v44, 4, v85
	v_lshrrev_b16_e32 v48, 2, v86
	v_and_b32_e32 v99, 0xf0f, v85
	v_and_b32_e32 v100, 0xf0f, v44
	;; [unrolled: 1-line block ×3, first 2 shown]
                                        ; implicit-def: $vgpr52
                                        ; implicit-def: $vgpr51
	s_and_saveexec_b64 s[22:23], s[0:1]
	s_xor_b64 s[22:23], exec, s[22:23]
	s_cbranch_execz .LBB143_13
; %bb.12:                               ;   in Loop: Header=BB143_3 Depth=1
	global_load_ushort v44, v[6:7], off
	v_or_b32_e32 v51, v101, v100
	s_waitcnt vmcnt(0)
	v_lshrrev_b16_e32 v44, 2, v44
	v_and_b32_e32 v44, 0x3030, v44
	v_or_b32_e32 v52, v44, v99
.LBB143_13:                             ;   in Loop: Header=BB143_3 Depth=1
	s_or_saveexec_b64 s[22:23], s[22:23]
	v_and_b32_e32 v83, 0x3f3f, v86
	v_and_b32_e32 v84, 0x3f3f, v85
	s_xor_b64 exec, exec, s[22:23]
; %bb.14:                               ;   in Loop: Header=BB143_3 Depth=1
	v_and_b32_e32 v52, 0x3f3f, v86
	v_and_b32_e32 v51, 0x3f3f, v85
; %bb.15:                               ;   in Loop: Header=BB143_3 Depth=1
	s_or_b64 exec, exec, s[22:23]
	v_lshrrev_b16_e32 v44, 4, v89
	v_lshrrev_b16_e32 v48, 2, v91
	v_and_b32_e32 v102, 0xf0f, v89
	v_and_b32_e32 v103, 0xf0f, v44
	;; [unrolled: 1-line block ×3, first 2 shown]
                                        ; implicit-def: $vgpr54
                                        ; implicit-def: $vgpr53
	s_and_saveexec_b64 s[22:23], s[0:1]
	s_xor_b64 s[22:23], exec, s[22:23]
	s_cbranch_execz .LBB143_17
; %bb.16:                               ;   in Loop: Header=BB143_3 Depth=1
	global_load_ushort v44, v[8:9], off
	v_or_b32_e32 v53, v104, v103
	s_waitcnt vmcnt(0)
	v_lshrrev_b16_e32 v44, 2, v44
	v_and_b32_e32 v44, 0x3030, v44
	v_or_b32_e32 v54, v44, v102
.LBB143_17:                             ;   in Loop: Header=BB143_3 Depth=1
	s_or_saveexec_b64 s[22:23], s[22:23]
	v_and_b32_e32 v44, 0x3f3f, v91
	v_and_b32_e32 v48, 0x3f3f, v89
	s_xor_b64 exec, exec, s[22:23]
; %bb.18:                               ;   in Loop: Header=BB143_3 Depth=1
	v_and_b32_e32 v54, 0x3f3f, v91
	v_and_b32_e32 v53, 0x3f3f, v89
; %bb.19:                               ;   in Loop: Header=BB143_3 Depth=1
	s_or_b64 exec, exec, s[22:23]
	v_add_u32_e32 v55, s15, v34
	v_mad_u64_u32 v[61:62], s[22:23], v55, 36, v[4:5]
	v_add_co_u32_e32 v63, vcc, v61, v92
	v_addc_co_u32_e32 v64, vcc, 0, v62, vcc
	global_load_dword v55, v[61:62], off
	global_load_dword v59, v[63:64], off offset:4
	global_load_dword v60, v[63:64], off offset:20
	;; [unrolled: 1-line block ×5, first 2 shown]
                                        ; implicit-def: $vgpr62
                                        ; implicit-def: $vgpr61
	s_and_saveexec_b64 s[22:23], s[0:1]
	s_xor_b64 s[22:23], exec, s[22:23]
	s_cbranch_execz .LBB143_21
; %bb.20:                               ;   in Loop: Header=BB143_3 Depth=1
	global_load_ushort v61, v[6:7], off
	s_waitcnt vmcnt(0)
	v_lshrrev_b16_e32 v61, 2, v61
	v_and_b32_e32 v61, 0x3030, v61
	v_or_b32_e32 v62, v61, v99
	v_or_b32_e32 v61, v101, v100
	s_andn2_saveexec_b64 s[22:23], s[22:23]
	s_branch .LBB143_22
.LBB143_21:                             ;   in Loop: Header=BB143_3 Depth=1
	s_andn2_saveexec_b64 s[22:23], s[22:23]
.LBB143_22:                             ;   in Loop: Header=BB143_3 Depth=1
	v_and_b32_e32 v62, 0x3f3f, v86
	v_and_b32_e32 v61, 0x3f3f, v85
; %bb.23:                               ;   in Loop: Header=BB143_3 Depth=1
	s_or_b64 exec, exec, s[22:23]
                                        ; implicit-def: $vgpr64
                                        ; implicit-def: $vgpr63
	s_and_saveexec_b64 s[22:23], s[0:1]
	s_xor_b64 s[22:23], exec, s[22:23]
	s_cbranch_execz .LBB143_25
; %bb.24:                               ;   in Loop: Header=BB143_3 Depth=1
	global_load_ushort v63, v[8:9], off
	s_waitcnt vmcnt(0)
	v_lshrrev_b16_e32 v63, 2, v63
	v_and_b32_e32 v63, 0x3030, v63
	v_or_b32_e32 v64, v63, v102
	v_or_b32_e32 v63, v104, v103
	s_andn2_saveexec_b64 s[22:23], s[22:23]
	s_cbranch_execnz .LBB143_26
	s_branch .LBB143_27
.LBB143_25:                             ;   in Loop: Header=BB143_3 Depth=1
	s_andn2_saveexec_b64 s[22:23], s[22:23]
.LBB143_26:                             ;   in Loop: Header=BB143_3 Depth=1
	v_and_b32_e32 v64, 0x3f3f, v91
	v_and_b32_e32 v63, 0x3f3f, v89
.LBB143_27:                             ;   in Loop: Header=BB143_3 Depth=1
	s_or_b64 exec, exec, s[22:23]
	v_add_u32_e32 v73, s19, v34
	v_mad_u64_u32 v[79:80], s[22:23], v73, 36, v[4:5]
	v_add_co_u32_e32 v81, vcc, v79, v92
	v_addc_co_u32_e32 v82, vcc, 0, v80, vcc
	global_load_dword v73, v[79:80], off
	global_load_dword v77, v[81:82], off offset:4
	global_load_dword v78, v[81:82], off offset:20
	;; [unrolled: 1-line block ×5, first 2 shown]
                                        ; implicit-def: $vgpr80
                                        ; implicit-def: $vgpr79
	s_and_saveexec_b64 s[22:23], s[0:1]
	s_xor_b64 s[22:23], exec, s[22:23]
	s_cbranch_execz .LBB143_29
; %bb.28:                               ;   in Loop: Header=BB143_3 Depth=1
	global_load_ushort v79, v[6:7], off
	s_waitcnt vmcnt(0)
	v_lshrrev_b16_e32 v79, 2, v79
	v_and_b32_e32 v79, 0x3030, v79
	v_or_b32_e32 v80, v79, v99
	v_or_b32_e32 v79, v101, v100
	s_andn2_saveexec_b64 s[22:23], s[22:23]
	s_branch .LBB143_30
.LBB143_29:                             ;   in Loop: Header=BB143_3 Depth=1
	s_andn2_saveexec_b64 s[22:23], s[22:23]
.LBB143_30:                             ;   in Loop: Header=BB143_3 Depth=1
	v_and_b32_e32 v80, 0x3f3f, v86
	v_and_b32_e32 v79, 0x3f3f, v85
; %bb.31:                               ;   in Loop: Header=BB143_3 Depth=1
	s_or_b64 exec, exec, s[22:23]
                                        ; implicit-def: $vgpr82
                                        ; implicit-def: $vgpr81
	s_and_saveexec_b64 s[22:23], s[0:1]
	s_xor_b64 s[22:23], exec, s[22:23]
	s_cbranch_execz .LBB143_33
; %bb.32:                               ;   in Loop: Header=BB143_3 Depth=1
	global_load_ushort v81, v[8:9], off
	s_waitcnt vmcnt(0)
	v_lshrrev_b16_e32 v81, 2, v81
	v_and_b32_e32 v81, 0x3030, v81
	v_or_b32_e32 v82, v81, v102
	v_or_b32_e32 v81, v104, v103
	s_andn2_saveexec_b64 s[22:23], s[22:23]
	s_cbranch_execnz .LBB143_34
	s_branch .LBB143_35
.LBB143_33:                             ;   in Loop: Header=BB143_3 Depth=1
	s_andn2_saveexec_b64 s[22:23], s[22:23]
.LBB143_34:                             ;   in Loop: Header=BB143_3 Depth=1
	v_and_b32_e32 v82, 0x3f3f, v91
	v_and_b32_e32 v81, 0x3f3f, v89
.LBB143_35:                             ;   in Loop: Header=BB143_3 Depth=1
	s_or_b64 exec, exec, s[22:23]
	v_add_u32_e32 v87, s24, v34
	v_mad_u64_u32 v[97:98], s[22:23], v87, 36, v[4:5]
	v_add_co_u32_e32 v105, vcc, v97, v92
	v_addc_co_u32_e32 v106, vcc, 0, v98, vcc
	global_load_dword v87, v[97:98], off
	global_load_dword v95, v[105:106], off offset:4
	global_load_dword v96, v[105:106], off offset:20
	;; [unrolled: 1-line block ×5, first 2 shown]
                                        ; implicit-def: $vgpr98
                                        ; implicit-def: $vgpr97
	s_and_saveexec_b64 s[22:23], s[0:1]
	s_xor_b64 s[22:23], exec, s[22:23]
	s_cbranch_execz .LBB143_37
; %bb.36:                               ;   in Loop: Header=BB143_3 Depth=1
	global_load_ushort v94, v[6:7], off
	v_or_b32_e32 v97, v101, v100
	s_waitcnt vmcnt(0)
	v_lshrrev_b16_e32 v94, 2, v94
	v_and_b32_e32 v94, 0x3030, v94
	v_or_b32_e32 v98, v94, v99
	s_andn2_saveexec_b64 s[22:23], s[22:23]
	s_branch .LBB143_38
.LBB143_37:                             ;   in Loop: Header=BB143_3 Depth=1
	s_andn2_saveexec_b64 s[22:23], s[22:23]
.LBB143_38:                             ;   in Loop: Header=BB143_3 Depth=1
	v_and_b32_e32 v98, 0x3f3f, v86
	v_and_b32_e32 v97, 0x3f3f, v85
; %bb.39:                               ;   in Loop: Header=BB143_3 Depth=1
	s_or_b64 exec, exec, s[22:23]
                                        ; implicit-def: $vgpr106
                                        ; implicit-def: $vgpr105
	s_and_saveexec_b64 s[22:23], s[0:1]
	s_xor_b64 s[22:23], exec, s[22:23]
	s_cbranch_execz .LBB143_41
; %bb.40:                               ;   in Loop: Header=BB143_3 Depth=1
	global_load_ushort v94, v[8:9], off
	v_or_b32_e32 v105, v104, v103
	s_waitcnt vmcnt(0)
	v_lshrrev_b16_e32 v94, 2, v94
	v_and_b32_e32 v94, 0x3030, v94
	v_or_b32_e32 v106, v94, v102
	s_andn2_saveexec_b64 s[22:23], s[22:23]
	s_cbranch_execnz .LBB143_42
	s_branch .LBB143_43
.LBB143_41:                             ;   in Loop: Header=BB143_3 Depth=1
	s_andn2_saveexec_b64 s[22:23], s[22:23]
.LBB143_42:                             ;   in Loop: Header=BB143_3 Depth=1
	v_and_b32_e32 v106, 0x3f3f, v91
	v_and_b32_e32 v105, 0x3f3f, v89
.LBB143_43:                             ;   in Loop: Header=BB143_3 Depth=1
	s_or_b64 exec, exec, s[22:23]
	v_add_u32_e32 v94, s25, v34
	v_mad_u64_u32 v[113:114], s[22:23], v94, 36, v[4:5]
	v_add_co_u32_e32 v115, vcc, v113, v92
	v_addc_co_u32_e32 v116, vcc, 0, v114, vcc
	global_load_dword v107, v[113:114], off
	global_load_dword v111, v[115:116], off offset:4
	global_load_dword v112, v[115:116], off offset:20
	;; [unrolled: 1-line block ×5, first 2 shown]
                                        ; implicit-def: $vgpr114
                                        ; implicit-def: $vgpr113
	s_and_saveexec_b64 s[22:23], s[0:1]
	s_xor_b64 s[22:23], exec, s[22:23]
	s_cbranch_execz .LBB143_45
; %bb.44:                               ;   in Loop: Header=BB143_3 Depth=1
	global_load_ushort v94, v[6:7], off
	v_or_b32_e32 v113, v101, v100
	s_waitcnt vmcnt(0)
	v_lshrrev_b16_e32 v94, 2, v94
	v_and_b32_e32 v94, 0x3030, v94
	v_or_b32_e32 v114, v94, v99
	s_andn2_saveexec_b64 s[22:23], s[22:23]
	s_branch .LBB143_46
.LBB143_45:                             ;   in Loop: Header=BB143_3 Depth=1
	s_andn2_saveexec_b64 s[22:23], s[22:23]
.LBB143_46:                             ;   in Loop: Header=BB143_3 Depth=1
	v_and_b32_e32 v114, 0x3f3f, v86
	v_and_b32_e32 v113, 0x3f3f, v85
; %bb.47:                               ;   in Loop: Header=BB143_3 Depth=1
	s_or_b64 exec, exec, s[22:23]
                                        ; implicit-def: $vgpr116
                                        ; implicit-def: $vgpr115
	s_and_saveexec_b64 s[22:23], s[0:1]
	s_xor_b64 s[22:23], exec, s[22:23]
	s_cbranch_execz .LBB143_49
; %bb.48:                               ;   in Loop: Header=BB143_3 Depth=1
	global_load_ushort v94, v[8:9], off
	v_or_b32_e32 v115, v104, v103
	s_waitcnt vmcnt(0)
	v_lshrrev_b16_e32 v94, 2, v94
	v_and_b32_e32 v94, 0x3030, v94
	v_or_b32_e32 v116, v94, v102
	s_andn2_saveexec_b64 s[22:23], s[22:23]
	s_cbranch_execnz .LBB143_50
	s_branch .LBB143_51
.LBB143_49:                             ;   in Loop: Header=BB143_3 Depth=1
	s_andn2_saveexec_b64 s[22:23], s[22:23]
.LBB143_50:                             ;   in Loop: Header=BB143_3 Depth=1
	v_and_b32_e32 v116, 0x3f3f, v91
	v_and_b32_e32 v115, 0x3f3f, v89
.LBB143_51:                             ;   in Loop: Header=BB143_3 Depth=1
	s_or_b64 exec, exec, s[22:23]
	v_add_u32_e32 v94, s26, v34
	v_mad_u64_u32 v[123:124], s[22:23], v94, 36, v[4:5]
	v_add_co_u32_e32 v125, vcc, v123, v92
	v_addc_co_u32_e32 v126, vcc, 0, v124, vcc
	global_load_dword v117, v[123:124], off
	global_load_dword v121, v[125:126], off offset:4
	global_load_dword v122, v[125:126], off offset:20
	;; [unrolled: 1-line block ×5, first 2 shown]
                                        ; implicit-def: $vgpr124
                                        ; implicit-def: $vgpr123
	s_and_saveexec_b64 s[22:23], s[0:1]
	s_xor_b64 s[22:23], exec, s[22:23]
	s_cbranch_execz .LBB143_53
; %bb.52:                               ;   in Loop: Header=BB143_3 Depth=1
	global_load_ushort v85, v[6:7], off
	v_or_b32_e32 v123, v101, v100
                                        ; implicit-def: $vgpr86
	s_waitcnt vmcnt(0)
	v_lshrrev_b16_e32 v85, 2, v85
	v_and_b32_e32 v85, 0x3030, v85
	v_or_b32_e32 v124, v85, v99
                                        ; implicit-def: $vgpr85
	s_andn2_saveexec_b64 s[22:23], s[22:23]
	s_branch .LBB143_54
.LBB143_53:                             ;   in Loop: Header=BB143_3 Depth=1
	s_andn2_saveexec_b64 s[22:23], s[22:23]
.LBB143_54:                             ;   in Loop: Header=BB143_3 Depth=1
	v_and_b32_e32 v124, 0x3f3f, v86
	v_and_b32_e32 v123, 0x3f3f, v85
; %bb.55:                               ;   in Loop: Header=BB143_3 Depth=1
	s_or_b64 exec, exec, s[22:23]
                                        ; implicit-def: $vgpr126
                                        ; implicit-def: $vgpr125
	s_and_saveexec_b64 s[22:23], s[0:1]
	s_xor_b64 s[22:23], exec, s[22:23]
	s_cbranch_execz .LBB143_57
; %bb.56:                               ;   in Loop: Header=BB143_3 Depth=1
	global_load_ushort v85, v[8:9], off
	v_or_b32_e32 v125, v104, v103
                                        ; implicit-def: $vgpr91
                                        ; implicit-def: $vgpr89
	s_waitcnt vmcnt(0)
	v_lshrrev_b16_e32 v85, 2, v85
	v_and_b32_e32 v85, 0x3030, v85
	v_or_b32_e32 v126, v85, v102
	s_andn2_saveexec_b64 s[22:23], s[22:23]
	s_cbranch_execnz .LBB143_58
	s_branch .LBB143_59
.LBB143_57:                             ;   in Loop: Header=BB143_3 Depth=1
	s_andn2_saveexec_b64 s[22:23], s[22:23]
.LBB143_58:                             ;   in Loop: Header=BB143_3 Depth=1
	v_and_b32_e32 v126, 0x3f3f, v91
	v_and_b32_e32 v125, 0x3f3f, v89
.LBB143_59:                             ;   in Loop: Header=BB143_3 Depth=1
	s_or_b64 exec, exec, s[22:23]
	v_add_u32_e32 v85, s27, v34
	v_mad_u64_u32 v[127:128], s[22:23], v85, 36, v[4:5]
	v_add_co_u32_e32 v129, vcc, v127, v92
	v_addc_co_u32_e32 v130, vcc, 0, v128, vcc
	global_load_dword v85, v[127:128], off
	global_load_dword v92, v[129:130], off offset:4
	global_load_dword v94, v[129:130], off offset:20
	global_load_dword v89, v[129:130], off offset:40
	global_load_dword v91, v[129:130], off offset:56
	global_load_dword v86, v[127:128], off offset:36
	s_and_saveexec_b64 s[22:23], s[0:1]
	s_xor_b64 s[22:23], exec, s[22:23]
	s_cbranch_execz .LBB143_61
; %bb.60:                               ;   in Loop: Header=BB143_3 Depth=1
	global_load_ushort v6, v[6:7], off
	v_or_b32_e32 v84, v101, v100
	s_waitcnt vmcnt(0)
	v_lshrrev_b16_e32 v6, 2, v6
	v_and_b32_e32 v6, 0x3030, v6
	v_or_b32_e32 v83, v6, v99
.LBB143_61:                             ;   in Loop: Header=BB143_3 Depth=1
	s_andn2_saveexec_b64 s[22:23], s[22:23]
	s_or_b64 exec, exec, s[22:23]
	s_and_saveexec_b64 s[22:23], s[0:1]
	s_xor_b64 s[22:23], exec, s[22:23]
	s_cbranch_execz .LBB143_2
; %bb.62:                               ;   in Loop: Header=BB143_3 Depth=1
	global_load_ushort v6, v[8:9], off
	v_or_b32_e32 v48, v104, v103
	s_waitcnt vmcnt(0)
	v_lshrrev_b16_e32 v6, 2, v6
	v_and_b32_e32 v6, 0x3030, v6
	v_or_b32_e32 v44, v6, v102
	s_branch .LBB143_2
.LBB143_63:
	s_or_b64 exec, exec, s[16:17]
.LBB143_64:
	s_or_b64 exec, exec, s[10:11]
	s_mov_b32 s1, 0
	v_cmp_eq_u32_e32 vcc, 0, v1
	; wave barrier
	s_and_saveexec_b64 s[10:11], vcc
	s_cbranch_execz .LBB143_81
; %bb.65:
	v_mbcnt_lo_u32_b32 v1, -1, 0
	v_mbcnt_hi_u32_b32 v6, -1, v1
	v_and_b32_e32 v1, 64, v6
	v_add_u32_e32 v7, 64, v1
	v_xor_b32_e32 v1, 32, v6
	v_cmp_lt_i32_e32 vcc, v1, v7
	v_cndmask_b32_e32 v1, v6, v1, vcc
	v_lshlrev_b32_e32 v1, 2, v1
	ds_bpermute_b32 v5, v1, v27
	ds_bpermute_b32 v8, v1, v26
	v_xor_b32_e32 v2, 16, v6
	v_cmp_lt_i32_e32 vcc, v2, v7
	v_cndmask_b32_e32 v2, v6, v2, vcc
	v_lshlrev_b32_e32 v2, 2, v2
	s_waitcnt lgkmcnt(1)
	v_add_f32_e32 v5, v27, v5
	s_waitcnt lgkmcnt(0)
	v_add_f32_e32 v8, v26, v8
	ds_bpermute_b32 v10, v2, v5
	ds_bpermute_b32 v11, v2, v8
	v_xor_b32_e32 v3, 8, v6
	v_cmp_lt_i32_e32 vcc, v3, v7
	v_cndmask_b32_e32 v3, v6, v3, vcc
	v_lshlrev_b32_e32 v3, 2, v3
	s_waitcnt lgkmcnt(1)
	v_add_f32_e32 v10, v5, v10
	s_waitcnt lgkmcnt(0)
	v_add_f32_e32 v8, v8, v11
	;; [unrolled: 10-line block ×3, first 2 shown]
	ds_bpermute_b32 v26, v4, v10
	ds_bpermute_b32 v11, v4, v8
	v_xor_b32_e32 v9, 2, v6
	v_cmp_lt_i32_e32 vcc, v9, v7
	v_cndmask_b32_e32 v9, v6, v9, vcc
	v_lshlrev_b32_e32 v5, 2, v9
	v_xor_b32_e32 v9, 1, v6
	v_cmp_lt_i32_e32 vcc, v9, v7
	s_waitcnt lgkmcnt(1)
	v_add_f32_e32 v7, v10, v26
	s_waitcnt lgkmcnt(0)
	v_add_f32_e32 v10, v8, v11
	v_cndmask_b32_e32 v6, v6, v9, vcc
	ds_bpermute_b32 v9, v5, v7
	ds_bpermute_b32 v11, v5, v10
	s_load_dwordx2 s[4:5], s[4:5], 0x38
	s_mul_i32 s2, s2, s7
	v_lshlrev_b32_e32 v8, 2, v6
	s_waitcnt lgkmcnt(0)
	v_add_f32_e32 v6, v7, v9
	v_add_f32_e32 v9, v10, v11
	s_mul_i32 s0, s18, s8
	s_add_i32 s2, s2, s6
	ds_bpermute_b32 v7, v8, v6
	ds_bpermute_b32 v10, v8, v9
	s_add_i32 s0, s2, s0
	s_lshl_b64 s[0:1], s[0:1], 2
	s_add_u32 s2, s4, s0
	v_add_u32_e32 v11, s6, v0
	s_addc_u32 s3, s5, s1
	v_cmp_gt_u32_e32 vcc, 2, v0
	v_cmp_gt_u32_e64 s[0:1], s14, v11
	s_and_b64 s[0:1], vcc, s[0:1]
	s_waitcnt lgkmcnt(1)
	v_add_f32_e32 v6, v6, v7
	s_waitcnt lgkmcnt(0)
	v_add_f32_e32 v7, v9, v10
	s_and_saveexec_b64 s[4:5], s[0:1]
	s_cbranch_execz .LBB143_67
; %bb.66:
	v_cmp_eq_u32_e32 vcc, 1, v0
	v_cndmask_b32_e32 v9, v6, v7, vcc
	v_cmp_eq_u32_e32 vcc, 2, v0
	v_cndmask_b32_e32 v9, v9, v25, vcc
	;; [unrolled: 2-line block ×15, first 2 shown]
	v_lshlrev_b32_e32 v10, 2, v0
	global_store_dword v10, v9, s[2:3]
.LBB143_67:
	s_or_b64 exec, exec, s[4:5]
	ds_bpermute_b32 v9, v1, v25
	ds_bpermute_b32 v10, v1, v24
	s_waitcnt lgkmcnt(1)
	v_add_f32_e32 v9, v25, v9
	s_waitcnt lgkmcnt(0)
	v_add_f32_e32 v10, v24, v10
	ds_bpermute_b32 v11, v2, v9
	ds_bpermute_b32 v24, v2, v10
	s_waitcnt lgkmcnt(1)
	v_add_f32_e32 v9, v9, v11
	s_waitcnt lgkmcnt(0)
	v_add_f32_e32 v10, v10, v24
	ds_bpermute_b32 v11, v3, v9
	ds_bpermute_b32 v24, v3, v10
	s_waitcnt lgkmcnt(1)
	v_add_f32_e32 v9, v9, v11
	s_waitcnt lgkmcnt(0)
	v_add_f32_e32 v10, v10, v24
	ds_bpermute_b32 v11, v4, v9
	ds_bpermute_b32 v24, v4, v10
	s_waitcnt lgkmcnt(1)
	v_add_f32_e32 v9, v9, v11
	s_waitcnt lgkmcnt(0)
	v_add_f32_e32 v10, v10, v24
	ds_bpermute_b32 v11, v5, v9
	ds_bpermute_b32 v24, v5, v10
	s_waitcnt lgkmcnt(1)
	v_add_f32_e32 v9, v9, v11
	s_waitcnt lgkmcnt(0)
	v_add_f32_e32 v11, v10, v24
	ds_bpermute_b32 v10, v8, v9
	ds_bpermute_b32 v24, v8, v11
	s_waitcnt lgkmcnt(1)
	v_add_f32_e32 v10, v9, v10
	s_waitcnt lgkmcnt(0)
	v_add_f32_e32 v9, v11, v24
	s_and_saveexec_b64 s[4:5], s[0:1]
	s_cbranch_execz .LBB143_69
; %bb.68:
	v_add_u32_e32 v11, 2, v0
	v_cmp_eq_u32_e32 vcc, 1, v11
	v_cndmask_b32_e32 v24, v6, v7, vcc
	v_cmp_eq_u32_e32 vcc, 2, v11
	v_cndmask_b32_e32 v24, v24, v10, vcc
	;; [unrolled: 2-line block ×15, first 2 shown]
	v_add_u32_e32 v24, s14, v0
	v_mov_b32_e32 v25, 0
	v_lshlrev_b64 v[24:25], 2, v[24:25]
	v_mov_b32_e32 v26, s3
	v_add_co_u32_e32 v24, vcc, s2, v24
	v_addc_co_u32_e32 v25, vcc, v26, v25, vcc
	global_store_dword v[24:25], v11, off
.LBB143_69:
	s_or_b64 exec, exec, s[4:5]
	ds_bpermute_b32 v11, v1, v23
	ds_bpermute_b32 v24, v1, v22
	s_waitcnt lgkmcnt(1)
	v_add_f32_e32 v11, v23, v11
	s_waitcnt lgkmcnt(0)
	v_add_f32_e32 v22, v22, v24
	ds_bpermute_b32 v23, v2, v11
	ds_bpermute_b32 v24, v2, v22
	s_waitcnt lgkmcnt(1)
	v_add_f32_e32 v11, v11, v23
	s_waitcnt lgkmcnt(0)
	v_add_f32_e32 v22, v22, v24
	;; [unrolled: 6-line block ×6, first 2 shown]
	s_and_saveexec_b64 s[4:5], s[0:1]
	s_cbranch_execz .LBB143_71
; %bb.70:
	v_add_u32_e32 v23, 4, v0
	v_cmp_eq_u32_e32 vcc, 1, v23
	v_cndmask_b32_e32 v24, v6, v7, vcc
	v_cmp_eq_u32_e32 vcc, 2, v23
	v_cndmask_b32_e32 v24, v24, v10, vcc
	;; [unrolled: 2-line block ×15, first 2 shown]
	v_lshl_or_b32 v23, s14, 1, v0
	v_mov_b32_e32 v24, 0
	v_lshlrev_b64 v[23:24], 2, v[23:24]
	v_mov_b32_e32 v26, s3
	v_add_co_u32_e32 v23, vcc, s2, v23
	v_addc_co_u32_e32 v24, vcc, v26, v24, vcc
	global_store_dword v[23:24], v25, off
.LBB143_71:
	s_or_b64 exec, exec, s[4:5]
	ds_bpermute_b32 v23, v1, v21
	ds_bpermute_b32 v24, v1, v20
	s_waitcnt lgkmcnt(1)
	v_add_f32_e32 v21, v21, v23
	s_waitcnt lgkmcnt(0)
	v_add_f32_e32 v20, v20, v24
	ds_bpermute_b32 v23, v2, v21
	ds_bpermute_b32 v24, v2, v20
	s_waitcnt lgkmcnt(1)
	v_add_f32_e32 v21, v21, v23
	s_waitcnt lgkmcnt(0)
	v_add_f32_e32 v20, v20, v24
	ds_bpermute_b32 v23, v3, v21
	ds_bpermute_b32 v24, v3, v20
	s_waitcnt lgkmcnt(1)
	v_add_f32_e32 v21, v21, v23
	s_waitcnt lgkmcnt(0)
	v_add_f32_e32 v20, v20, v24
	ds_bpermute_b32 v23, v4, v21
	ds_bpermute_b32 v24, v4, v20
	s_waitcnt lgkmcnt(1)
	v_add_f32_e32 v21, v21, v23
	s_waitcnt lgkmcnt(0)
	v_add_f32_e32 v20, v20, v24
	ds_bpermute_b32 v23, v5, v21
	ds_bpermute_b32 v24, v5, v20
	s_waitcnt lgkmcnt(1)
	v_add_f32_e32 v21, v21, v23
	s_waitcnt lgkmcnt(0)
	v_add_f32_e32 v20, v20, v24
	ds_bpermute_b32 v23, v8, v21
	ds_bpermute_b32 v24, v8, v20
	s_waitcnt lgkmcnt(1)
	v_add_f32_e32 v21, v21, v23
	s_waitcnt lgkmcnt(0)
	v_add_f32_e32 v20, v20, v24
	s_and_saveexec_b64 s[4:5], s[0:1]
	s_cbranch_execz .LBB143_73
; %bb.72:
	v_add_u32_e32 v25, 6, v0
	v_cmp_eq_u32_e32 vcc, 1, v25
	v_cndmask_b32_e32 v23, v6, v7, vcc
	v_cmp_eq_u32_e32 vcc, 2, v25
	v_cndmask_b32_e32 v23, v23, v10, vcc
	;; [unrolled: 2-line block ×14, first 2 shown]
	v_mad_u64_u32 v[23:24], s[6:7], s14, 3, v[0:1]
	v_mov_b32_e32 v24, 0
	v_cmp_eq_u32_e32 vcc, 15, v25
	v_lshlrev_b64 v[23:24], 2, v[23:24]
	v_cndmask_b32_e32 v25, v26, v12, vcc
	v_mov_b32_e32 v26, s3
	v_add_co_u32_e32 v23, vcc, s2, v23
	v_addc_co_u32_e32 v24, vcc, v26, v24, vcc
	global_store_dword v[23:24], v25, off
.LBB143_73:
	s_or_b64 exec, exec, s[4:5]
	ds_bpermute_b32 v23, v1, v19
	ds_bpermute_b32 v24, v1, v18
	s_waitcnt lgkmcnt(1)
	v_add_f32_e32 v19, v19, v23
	s_waitcnt lgkmcnt(0)
	v_add_f32_e32 v18, v18, v24
	ds_bpermute_b32 v23, v2, v19
	ds_bpermute_b32 v24, v2, v18
	s_waitcnt lgkmcnt(1)
	v_add_f32_e32 v19, v19, v23
	s_waitcnt lgkmcnt(0)
	v_add_f32_e32 v18, v18, v24
	;; [unrolled: 6-line block ×6, first 2 shown]
	s_and_saveexec_b64 s[4:5], s[0:1]
	s_cbranch_execz .LBB143_75
; %bb.74:
	v_add_u32_e32 v23, 8, v0
	v_cmp_eq_u32_e32 vcc, 1, v23
	v_cndmask_b32_e32 v24, v6, v7, vcc
	v_cmp_eq_u32_e32 vcc, 2, v23
	v_cndmask_b32_e32 v24, v24, v10, vcc
	;; [unrolled: 2-line block ×15, first 2 shown]
	v_lshl_or_b32 v23, s14, 2, v0
	v_mov_b32_e32 v24, 0
	v_lshlrev_b64 v[23:24], 2, v[23:24]
	v_mov_b32_e32 v26, s3
	v_add_co_u32_e32 v23, vcc, s2, v23
	v_addc_co_u32_e32 v24, vcc, v26, v24, vcc
	global_store_dword v[23:24], v25, off
.LBB143_75:
	s_or_b64 exec, exec, s[4:5]
	ds_bpermute_b32 v23, v1, v17
	ds_bpermute_b32 v24, v1, v16
	s_waitcnt lgkmcnt(1)
	v_add_f32_e32 v17, v17, v23
	s_waitcnt lgkmcnt(0)
	v_add_f32_e32 v16, v16, v24
	ds_bpermute_b32 v23, v2, v17
	ds_bpermute_b32 v24, v2, v16
	s_waitcnt lgkmcnt(1)
	v_add_f32_e32 v17, v17, v23
	s_waitcnt lgkmcnt(0)
	v_add_f32_e32 v16, v16, v24
	;; [unrolled: 6-line block ×6, first 2 shown]
	s_and_saveexec_b64 s[4:5], s[0:1]
	s_cbranch_execz .LBB143_77
; %bb.76:
	v_add_u32_e32 v25, 10, v0
	v_cmp_eq_u32_e32 vcc, 1, v25
	v_cndmask_b32_e32 v23, v6, v7, vcc
	v_cmp_eq_u32_e32 vcc, 2, v25
	v_cndmask_b32_e32 v23, v23, v10, vcc
	v_cmp_eq_u32_e32 vcc, 3, v25
	v_cndmask_b32_e32 v23, v23, v9, vcc
	v_cmp_eq_u32_e32 vcc, 4, v25
	v_cndmask_b32_e32 v23, v23, v22, vcc
	v_cmp_eq_u32_e32 vcc, 5, v25
	v_cndmask_b32_e32 v23, v23, v11, vcc
	v_cmp_eq_u32_e32 vcc, 6, v25
	v_cndmask_b32_e32 v23, v23, v21, vcc
	v_cmp_eq_u32_e32 vcc, 7, v25
	v_cndmask_b32_e32 v23, v23, v20, vcc
	v_cmp_eq_u32_e32 vcc, 8, v25
	v_cndmask_b32_e32 v23, v23, v19, vcc
	v_cmp_eq_u32_e32 vcc, 9, v25
	v_cndmask_b32_e32 v23, v23, v18, vcc
	v_cmp_eq_u32_e32 vcc, 10, v25
	v_cndmask_b32_e32 v23, v23, v17, vcc
	v_cmp_eq_u32_e32 vcc, 11, v25
	v_cndmask_b32_e32 v23, v23, v16, vcc
	v_cmp_eq_u32_e32 vcc, 12, v25
	v_cndmask_b32_e32 v23, v23, v14, vcc
	v_cmp_eq_u32_e32 vcc, 13, v25
	v_cndmask_b32_e32 v23, v23, v15, vcc
	v_cmp_eq_u32_e32 vcc, 14, v25
	v_cndmask_b32_e32 v26, v23, v13, vcc
	v_mad_u64_u32 v[23:24], s[6:7], s14, 5, v[0:1]
	v_mov_b32_e32 v24, 0
	v_cmp_eq_u32_e32 vcc, 15, v25
	v_lshlrev_b64 v[23:24], 2, v[23:24]
	v_cndmask_b32_e32 v25, v26, v12, vcc
	v_mov_b32_e32 v26, s3
	v_add_co_u32_e32 v23, vcc, s2, v23
	v_addc_co_u32_e32 v24, vcc, v26, v24, vcc
	global_store_dword v[23:24], v25, off
.LBB143_77:
	s_or_b64 exec, exec, s[4:5]
	ds_bpermute_b32 v23, v1, v14
	ds_bpermute_b32 v24, v1, v15
	s_waitcnt lgkmcnt(1)
	v_add_f32_e32 v14, v14, v23
	s_waitcnt lgkmcnt(0)
	v_add_f32_e32 v15, v15, v24
	ds_bpermute_b32 v23, v2, v14
	ds_bpermute_b32 v24, v2, v15
	s_waitcnt lgkmcnt(1)
	v_add_f32_e32 v14, v14, v23
	s_waitcnt lgkmcnt(0)
	v_add_f32_e32 v15, v15, v24
	;; [unrolled: 6-line block ×6, first 2 shown]
	s_and_saveexec_b64 s[4:5], s[0:1]
	s_cbranch_execz .LBB143_79
; %bb.78:
	v_add_u32_e32 v23, 12, v0
	v_cmp_eq_u32_e32 vcc, 1, v23
	v_cndmask_b32_e32 v24, v6, v7, vcc
	v_cmp_eq_u32_e32 vcc, 2, v23
	v_cndmask_b32_e32 v24, v24, v10, vcc
	;; [unrolled: 2-line block ×14, first 2 shown]
	v_cmp_eq_u32_e32 vcc, 15, v23
	s_mul_i32 s6, s14, 6
	v_cndmask_b32_e32 v25, v24, v12, vcc
	v_or_b32_e32 v23, s6, v0
	v_mov_b32_e32 v24, 0
	v_lshlrev_b64 v[23:24], 2, v[23:24]
	v_mov_b32_e32 v26, s3
	v_add_co_u32_e32 v23, vcc, s2, v23
	v_addc_co_u32_e32 v24, vcc, v26, v24, vcc
	global_store_dword v[23:24], v25, off
.LBB143_79:
	s_or_b64 exec, exec, s[4:5]
	ds_bpermute_b32 v23, v1, v13
	ds_bpermute_b32 v1, v1, v12
	s_waitcnt lgkmcnt(1)
	v_add_f32_e32 v13, v13, v23
	s_waitcnt lgkmcnt(0)
	v_add_f32_e32 v1, v12, v1
	ds_bpermute_b32 v12, v2, v13
	ds_bpermute_b32 v2, v2, v1
	s_waitcnt lgkmcnt(1)
	v_add_f32_e32 v12, v13, v12
	s_waitcnt lgkmcnt(0)
	v_add_f32_e32 v1, v1, v2
	;; [unrolled: 6-line block ×5, first 2 shown]
	ds_bpermute_b32 v3, v8, v1
	ds_bpermute_b32 v4, v8, v2
	s_and_b64 exec, exec, s[0:1]
	s_cbranch_execz .LBB143_81
; %bb.80:
	s_waitcnt lgkmcnt(1)
	v_add_f32_e32 v1, v1, v3
	v_add_u32_e32 v3, 14, v0
	v_cmp_eq_u32_e32 vcc, 1, v3
	s_waitcnt lgkmcnt(0)
	v_add_f32_e32 v2, v2, v4
	v_cndmask_b32_e32 v4, v6, v7, vcc
	v_cmp_eq_u32_e32 vcc, 2, v3
	v_cndmask_b32_e32 v4, v4, v10, vcc
	v_cmp_eq_u32_e32 vcc, 3, v3
	v_cndmask_b32_e32 v4, v4, v9, vcc
	v_cmp_eq_u32_e32 vcc, 4, v3
	v_cndmask_b32_e32 v4, v4, v22, vcc
	v_cmp_eq_u32_e32 vcc, 5, v3
	v_cndmask_b32_e32 v4, v4, v11, vcc
	v_cmp_eq_u32_e32 vcc, 6, v3
	v_cndmask_b32_e32 v4, v4, v21, vcc
	v_cmp_eq_u32_e32 vcc, 7, v3
	v_cndmask_b32_e32 v4, v4, v20, vcc
	v_cmp_eq_u32_e32 vcc, 8, v3
	v_cndmask_b32_e32 v4, v4, v19, vcc
	v_cmp_eq_u32_e32 vcc, 9, v3
	v_cndmask_b32_e32 v4, v4, v18, vcc
	v_cmp_eq_u32_e32 vcc, 10, v3
	v_cndmask_b32_e32 v4, v4, v17, vcc
	v_cmp_eq_u32_e32 vcc, 11, v3
	v_cndmask_b32_e32 v4, v4, v16, vcc
	v_cmp_eq_u32_e32 vcc, 12, v3
	v_cndmask_b32_e32 v4, v4, v15, vcc
	v_cmp_eq_u32_e32 vcc, 13, v3
	v_cndmask_b32_e32 v4, v4, v14, vcc
	v_cmp_eq_u32_e32 vcc, 14, v3
	v_cndmask_b32_e32 v4, v4, v1, vcc
	v_mad_u64_u32 v[0:1], s[0:1], s14, 7, v[0:1]
	v_mov_b32_e32 v1, 0
	v_cmp_eq_u32_e32 vcc, 15, v3
	v_lshlrev_b64 v[0:1], 2, v[0:1]
	v_cndmask_b32_e32 v2, v4, v2, vcc
	v_mov_b32_e32 v3, s3
	v_add_co_u32_e32 v0, vcc, s2, v0
	v_addc_co_u32_e32 v1, vcc, v3, v1, vcc
	global_store_dword v[0:1], v2, off
.LBB143_81:
	s_endpgm
	.section	.rodata,"a",@progbits
	.p2align	6, 0x0
	.amdhsa_kernel _ZL13mul_mat_vec_qIL9ggml_type13ELi8ELb0ELb0EEvPKvS2_PKi31ggml_cuda_mm_fusion_args_devicePfj15HIP_vector_typeIjLj3EEjjjS8_jjjS8_jjjj
		.amdhsa_group_segment_fixed_size 0
		.amdhsa_private_segment_fixed_size 0
		.amdhsa_kernarg_size 144
		.amdhsa_user_sgpr_count 6
		.amdhsa_user_sgpr_private_segment_buffer 1
		.amdhsa_user_sgpr_dispatch_ptr 0
		.amdhsa_user_sgpr_queue_ptr 0
		.amdhsa_user_sgpr_kernarg_segment_ptr 1
		.amdhsa_user_sgpr_dispatch_id 0
		.amdhsa_user_sgpr_flat_scratch_init 0
		.amdhsa_user_sgpr_private_segment_size 0
		.amdhsa_uses_dynamic_stack 0
		.amdhsa_system_sgpr_private_segment_wavefront_offset 0
		.amdhsa_system_sgpr_workgroup_id_x 1
		.amdhsa_system_sgpr_workgroup_id_y 1
		.amdhsa_system_sgpr_workgroup_id_z 1
		.amdhsa_system_sgpr_workgroup_info 0
		.amdhsa_system_vgpr_workitem_id 1
		.amdhsa_next_free_vgpr 131
		.amdhsa_next_free_sgpr 36
		.amdhsa_reserve_vcc 1
		.amdhsa_reserve_flat_scratch 0
		.amdhsa_float_round_mode_32 0
		.amdhsa_float_round_mode_16_64 0
		.amdhsa_float_denorm_mode_32 3
		.amdhsa_float_denorm_mode_16_64 3
		.amdhsa_dx10_clamp 1
		.amdhsa_ieee_mode 1
		.amdhsa_fp16_overflow 0
		.amdhsa_exception_fp_ieee_invalid_op 0
		.amdhsa_exception_fp_denorm_src 0
		.amdhsa_exception_fp_ieee_div_zero 0
		.amdhsa_exception_fp_ieee_overflow 0
		.amdhsa_exception_fp_ieee_underflow 0
		.amdhsa_exception_fp_ieee_inexact 0
		.amdhsa_exception_int_div_zero 0
	.end_amdhsa_kernel
	.section	.text._ZL13mul_mat_vec_qIL9ggml_type13ELi8ELb0ELb0EEvPKvS2_PKi31ggml_cuda_mm_fusion_args_devicePfj15HIP_vector_typeIjLj3EEjjjS8_jjjS8_jjjj,"axG",@progbits,_ZL13mul_mat_vec_qIL9ggml_type13ELi8ELb0ELb0EEvPKvS2_PKi31ggml_cuda_mm_fusion_args_devicePfj15HIP_vector_typeIjLj3EEjjjS8_jjjS8_jjjj,comdat
.Lfunc_end143:
	.size	_ZL13mul_mat_vec_qIL9ggml_type13ELi8ELb0ELb0EEvPKvS2_PKi31ggml_cuda_mm_fusion_args_devicePfj15HIP_vector_typeIjLj3EEjjjS8_jjjS8_jjjj, .Lfunc_end143-_ZL13mul_mat_vec_qIL9ggml_type13ELi8ELb0ELb0EEvPKvS2_PKi31ggml_cuda_mm_fusion_args_devicePfj15HIP_vector_typeIjLj3EEjjjS8_jjjS8_jjjj
                                        ; -- End function
	.set _ZL13mul_mat_vec_qIL9ggml_type13ELi8ELb0ELb0EEvPKvS2_PKi31ggml_cuda_mm_fusion_args_devicePfj15HIP_vector_typeIjLj3EEjjjS8_jjjS8_jjjj.num_vgpr, 131
	.set _ZL13mul_mat_vec_qIL9ggml_type13ELi8ELb0ELb0EEvPKvS2_PKi31ggml_cuda_mm_fusion_args_devicePfj15HIP_vector_typeIjLj3EEjjjS8_jjjS8_jjjj.num_agpr, 0
	.set _ZL13mul_mat_vec_qIL9ggml_type13ELi8ELb0ELb0EEvPKvS2_PKi31ggml_cuda_mm_fusion_args_devicePfj15HIP_vector_typeIjLj3EEjjjS8_jjjS8_jjjj.numbered_sgpr, 36
	.set _ZL13mul_mat_vec_qIL9ggml_type13ELi8ELb0ELb0EEvPKvS2_PKi31ggml_cuda_mm_fusion_args_devicePfj15HIP_vector_typeIjLj3EEjjjS8_jjjS8_jjjj.num_named_barrier, 0
	.set _ZL13mul_mat_vec_qIL9ggml_type13ELi8ELb0ELb0EEvPKvS2_PKi31ggml_cuda_mm_fusion_args_devicePfj15HIP_vector_typeIjLj3EEjjjS8_jjjS8_jjjj.private_seg_size, 0
	.set _ZL13mul_mat_vec_qIL9ggml_type13ELi8ELb0ELb0EEvPKvS2_PKi31ggml_cuda_mm_fusion_args_devicePfj15HIP_vector_typeIjLj3EEjjjS8_jjjS8_jjjj.uses_vcc, 1
	.set _ZL13mul_mat_vec_qIL9ggml_type13ELi8ELb0ELb0EEvPKvS2_PKi31ggml_cuda_mm_fusion_args_devicePfj15HIP_vector_typeIjLj3EEjjjS8_jjjS8_jjjj.uses_flat_scratch, 0
	.set _ZL13mul_mat_vec_qIL9ggml_type13ELi8ELb0ELb0EEvPKvS2_PKi31ggml_cuda_mm_fusion_args_devicePfj15HIP_vector_typeIjLj3EEjjjS8_jjjS8_jjjj.has_dyn_sized_stack, 0
	.set _ZL13mul_mat_vec_qIL9ggml_type13ELi8ELb0ELb0EEvPKvS2_PKi31ggml_cuda_mm_fusion_args_devicePfj15HIP_vector_typeIjLj3EEjjjS8_jjjS8_jjjj.has_recursion, 0
	.set _ZL13mul_mat_vec_qIL9ggml_type13ELi8ELb0ELb0EEvPKvS2_PKi31ggml_cuda_mm_fusion_args_devicePfj15HIP_vector_typeIjLj3EEjjjS8_jjjS8_jjjj.has_indirect_call, 0
	.section	.AMDGPU.csdata,"",@progbits
; Kernel info:
; codeLenInByte = 8696
; TotalNumSgprs: 40
; NumVgprs: 131
; ScratchSize: 0
; MemoryBound: 0
; FloatMode: 240
; IeeeMode: 1
; LDSByteSize: 0 bytes/workgroup (compile time only)
; SGPRBlocks: 4
; VGPRBlocks: 32
; NumSGPRsForWavesPerEU: 40
; NumVGPRsForWavesPerEU: 131
; Occupancy: 1
; WaveLimiterHint : 0
; COMPUTE_PGM_RSRC2:SCRATCH_EN: 0
; COMPUTE_PGM_RSRC2:USER_SGPR: 6
; COMPUTE_PGM_RSRC2:TRAP_HANDLER: 0
; COMPUTE_PGM_RSRC2:TGID_X_EN: 1
; COMPUTE_PGM_RSRC2:TGID_Y_EN: 1
; COMPUTE_PGM_RSRC2:TGID_Z_EN: 1
; COMPUTE_PGM_RSRC2:TIDIG_COMP_CNT: 1
	.section	.text._ZL17mul_mat_vec_q_moeIL9ggml_type14ELi2EEvPKvS2_PKiPfj15HIP_vector_typeIjLj3EEjjjjjjjjj,"axG",@progbits,_ZL17mul_mat_vec_q_moeIL9ggml_type14ELi2EEvPKvS2_PKiPfj15HIP_vector_typeIjLj3EEjjjjjjjjj,comdat
	.globl	_ZL17mul_mat_vec_q_moeIL9ggml_type14ELi2EEvPKvS2_PKiPfj15HIP_vector_typeIjLj3EEjjjjjjjjj ; -- Begin function _ZL17mul_mat_vec_q_moeIL9ggml_type14ELi2EEvPKvS2_PKiPfj15HIP_vector_typeIjLj3EEjjjjjjjjj
	.p2align	8
	.type	_ZL17mul_mat_vec_q_moeIL9ggml_type14ELi2EEvPKvS2_PKiPfj15HIP_vector_typeIjLj3EEjjjjjjjjj,@function
_ZL17mul_mat_vec_q_moeIL9ggml_type14ELi2EEvPKvS2_PKiPfj15HIP_vector_typeIjLj3EEjjjjjjjjj: ; @_ZL17mul_mat_vec_q_moeIL9ggml_type14ELi2EEvPKvS2_PKiPfj15HIP_vector_typeIjLj3EEjjjjjjjjj
; %bb.0:
	s_load_dwordx8 s[8:15], s[4:5], 0x30
	s_waitcnt lgkmcnt(0)
	v_cmp_gt_u32_e32 vcc, s15, v1
	s_and_saveexec_b64 s[0:1], vcc
	s_cbranch_execz .LBB144_7
; %bb.1:
	s_load_dword s1, s[4:5], 0x20
	s_load_dword s0, s[4:5], 0x50
	s_load_dwordx8 s[16:23], s[4:5], 0x0
	v_lshrrev_b32_e32 v6, 5, v0
	s_lshl_b32 s6, s6, 1
	s_waitcnt lgkmcnt(0)
	s_lshr_b32 s15, s1, 8
	v_cmp_gt_u32_e32 vcc, s15, v6
	v_mov_b32_e32 v2, 0
	v_mov_b32_e32 v3, 0
	s_and_saveexec_b64 s[24:25], vcc
	s_cbranch_execz .LBB144_5
; %bb.2:
	v_mul_lo_u32 v2, s0, v1
	v_mov_b32_e32 v3, 0
	v_mov_b32_e32 v7, s21
	s_load_dwordx4 s[0:3], s[4:5], 0x24
	v_add_u32_e32 v2, s7, v2
	v_lshlrev_b64 v[4:5], 2, v[2:3]
	v_bfe_u32 v9, v0, 4, 1
	v_add_co_u32_e32 v4, vcc, s20, v4
	v_addc_co_u32_e32 v5, vcc, v7, v5, vcc
	global_load_dword v2, v[4:5], off
	v_mul_lo_u32 v4, s10, v1
	v_and_b32_e32 v5, 31, v0
	v_and_b32_e32 v8, 15, v0
	;; [unrolled: 1-line block ×3, first 2 shown]
	s_add_i32 s26, s6, 1
	v_lshlrev_b32_e32 v14, 1, v5
	v_lshlrev_b32_e32 v5, 3, v9
	v_lshrrev_b16_e32 v15, 2, v8
	s_mul_i32 s21, s6, s9
	v_lshrrev_b16_e32 v12, 3, v8
	s_mul_i32 s9, s9, s26
	v_lshlrev_b32_e32 v8, 2, v10
	v_or_b32_e32 v17, v5, v10
	v_or_b32_e32 v10, v5, v15
	v_mad_u64_u32 v[4:5], s[26:27], v4, 36, 0
	s_waitcnt lgkmcnt(0)
	s_mul_hi_u32 s0, s0, s7
	s_add_i32 s0, s7, s0
	v_lshrrev_b32_e32 v11, 5, v0
	s_movk_i32 s28, 0x120
	s_lshr_b32 s0, s0, s1
	s_mul_i32 s2, s0, s2
	v_mad_u64_u32 v[4:5], s[0:1], v11, s28, v[4:5]
	s_sub_i32 s0, s7, s2
	s_mul_i32 s0, s0, s13
	v_mad_u64_u32 v[4:5], s[0:1], s0, 36, v[4:5]
	v_lshl_or_b32 v16, v9, 2, v12
	v_mov_b32_e32 v13, s19
	v_mad_u64_u32 v[4:5], s[0:1], v16, 36, v[4:5]
	v_lshlrev_b32_e32 v9, 1, v12
	v_lshlrev_b32_e32 v12, 1, v17
	v_add_co_u32_e32 v4, vcc, s18, v4
	s_mov_b64 s[4:5], 0
	s_movk_i32 s3, 0xd2
	s_mov_b32 s10, 0x30303030
	s_movk_i32 s19, 0x3f00
	s_movk_i32 s20, 0xe000
	v_mov_b32_e32 v7, 8
	v_lshlrev_b32_e32 v11, 1, v14
	v_lshlrev_b32_e32 v12, 1, v12
	v_addc_co_u32_e32 v5, vcc, v13, v5, vcc
	s_waitcnt vmcnt(0)
	v_mul_lo_u32 v2, v2, s12
	v_add_u32_e32 v13, s21, v2
	v_add_u32_e32 v14, s9, v2
	v_mov_b32_e32 v2, v3
.LBB144_3:                              ; =>This Inner Loop Header: Depth=1
	v_mov_b32_e32 v15, s16
	v_add_u32_e32 v19, v13, v6
	v_mov_b32_e32 v16, s17
	v_add_u32_e32 v21, v14, v6
	v_mad_i64_i32 v[19:20], s[0:1], v19, s3, v[15:16]
	v_mad_i64_i32 v[15:16], s[0:1], v21, s3, v[15:16]
	v_add_co_u32_e32 v17, vcc, v4, v8
	v_addc_co_u32_e32 v18, vcc, 0, v5, vcc
	global_load_dword v29, v[4:5], off
	global_load_dword v30, v[17:18], off offset:4
	global_load_dword v31, v[17:18], off offset:76
	v_add_co_u32_e32 v17, vcc, v15, v12
	v_addc_co_u32_e32 v18, vcc, 0, v16, vcc
	v_add_co_u32_e32 v21, vcc, v15, v11
	v_addc_co_u32_e32 v22, vcc, 0, v16, vcc
	;; [unrolled: 2-line block ×3, first 2 shown]
	global_load_ushort v32, v[15:16], off offset:208
	v_add_co_u32_e32 v15, vcc, v19, v11
	v_addc_co_u32_e32 v16, vcc, 0, v20, vcc
	v_add_co_u32_e32 v25, vcc, v19, v12
	v_addc_co_u32_e32 v26, vcc, 0, v20, vcc
	;; [unrolled: 2-line block ×3, first 2 shown]
	global_load_ushort v33, v[19:20], off offset:208
	global_load_dword v34, v[25:26], off offset:128
	global_load_dword v35, v[21:22], off
	global_load_sbyte v36, v[27:28], off offset:192
	global_load_sbyte v37, v[27:28], off offset:196
	global_load_dword v38, v[15:16], off
	global_load_dword v39, v[17:18], off offset:128
	global_load_sbyte v40, v[23:24], off offset:192
	global_load_sbyte v41, v[23:24], off offset:196
	v_add_u32_e32 v6, 2, v6
	v_cmp_le_u32_e64 s[0:1], s15, v6
	s_or_b64 s[4:5], s[0:1], s[4:5]
	s_waitcnt vmcnt(7)
	v_ashrrev_i32_e32 v15, v9, v34
	v_lshlrev_b32_e32 v21, 4, v15
	s_waitcnt vmcnt(6)
	v_and_b32_e32 v19, 0xf0f0f0f, v35
	v_lshrrev_b32_e32 v20, 4, v35
	s_waitcnt vmcnt(3)
	v_and_b32_e32 v16, 0xf0f0f0f, v38
	v_lshrrev_b32_e32 v17, 4, v38
	s_waitcnt vmcnt(2)
	v_ashrrev_i32_e32 v18, v9, v39
	v_and_b32_e32 v17, 0xf0f0f0f, v17
	v_lshlrev_b32_e32 v22, 4, v18
	v_and_or_b32 v16, v21, s10, v16
	v_and_b32_e32 v20, 0xf0f0f0f, v20
	v_and_or_b32 v15, v15, s10, v17
	v_and_or_b32 v17, v22, s10, v19
	v_lshlrev_b16_e32 v19, 8, v16
	v_and_or_b32 v18, v18, s10, v20
	v_and_b32_e32 v20, 0x3f00, v16
	v_and_b32_sdwa v21, v16, s19 dst_sel:DWORD dst_unused:UNUSED_PAD src0_sel:WORD_1 src1_sel:DWORD
	v_lshlrev_b16_sdwa v16, v7, v16 dst_sel:DWORD dst_unused:UNUSED_PAD src0_sel:DWORD src1_sel:WORD_1
	v_add_u16_e32 v19, 0xe000, v19
	v_lshlrev_b16_e32 v22, 8, v15
	v_and_b32_e32 v23, 0x3f00, v15
	v_or_b32_sdwa v19, v20, v19 dst_sel:DWORD dst_unused:UNUSED_PAD src0_sel:DWORD src1_sel:BYTE_1
	v_and_b32_sdwa v20, v15, s19 dst_sel:DWORD dst_unused:UNUSED_PAD src0_sel:WORD_1 src1_sel:DWORD
	v_lshlrev_b16_sdwa v15, v7, v15 dst_sel:DWORD dst_unused:UNUSED_PAD src0_sel:DWORD src1_sel:WORD_1
	v_add_u16_e32 v16, 0xe000, v16
	v_or_b32_sdwa v16, v21, v16 dst_sel:DWORD dst_unused:UNUSED_PAD src0_sel:DWORD src1_sel:BYTE_1
	v_lshlrev_b16_e32 v21, 8, v17
	v_add_u16_e32 v22, 0xe000, v22
	v_add_u16_e32 v15, 0xe000, v15
	v_or_b32_sdwa v22, v23, v22 dst_sel:DWORD dst_unused:UNUSED_PAD src0_sel:DWORD src1_sel:BYTE_1
	v_and_b32_e32 v23, 0x3f00, v17
	v_or_b32_sdwa v15, v20, v15 dst_sel:DWORD dst_unused:UNUSED_PAD src0_sel:DWORD src1_sel:BYTE_1
	v_and_b32_sdwa v20, v17, s19 dst_sel:DWORD dst_unused:UNUSED_PAD src0_sel:WORD_1 src1_sel:DWORD
	v_lshlrev_b16_sdwa v17, v7, v17 dst_sel:DWORD dst_unused:UNUSED_PAD src0_sel:DWORD src1_sel:WORD_1
	v_add_u16_e32 v21, 0xe000, v21
	v_or_b32_sdwa v21, v23, v21 dst_sel:DWORD dst_unused:UNUSED_PAD src0_sel:DWORD src1_sel:BYTE_1
	v_lshlrev_b16_e32 v23, 8, v18
	v_add_u16_e32 v17, 0xe000, v17
	v_or_b32_sdwa v17, v20, v17 dst_sel:DWORD dst_unused:UNUSED_PAD src0_sel:DWORD src1_sel:BYTE_1
	v_and_b32_e32 v20, 0x3f00, v18
	v_add_u16_e32 v23, 0xe000, v23
	v_or_b32_sdwa v20, v20, v23 dst_sel:DWORD dst_unused:UNUSED_PAD src0_sel:DWORD src1_sel:BYTE_1
	v_and_b32_sdwa v23, v18, s19 dst_sel:DWORD dst_unused:UNUSED_PAD src0_sel:WORD_1 src1_sel:DWORD
	v_lshlrev_b16_sdwa v18, v7, v18 dst_sel:DWORD dst_unused:UNUSED_PAD src0_sel:DWORD src1_sel:WORD_1
	v_add_u16_e32 v18, 0xe000, v18
	v_or_b32_sdwa v18, v23, v18 dst_sel:DWORD dst_unused:UNUSED_PAD src0_sel:DWORD src1_sel:BYTE_1
	global_load_dword v23, v[4:5], off offset:72
	v_add_u16_e32 v19, 0xe000, v19
	v_add_u16_sdwa v16, v16, s20 dst_sel:WORD_1 dst_unused:UNUSED_PAD src0_sel:DWORD src1_sel:DWORD
	v_add_u16_e32 v21, 0xe000, v21
	v_add_u16_sdwa v17, v17, s20 dst_sel:WORD_1 dst_unused:UNUSED_PAD src0_sel:DWORD src1_sel:DWORD
	;; [unrolled: 2-line block ×4, first 2 shown]
	v_or_b32_e32 v16, v19, v16
	v_or_b32_e32 v17, v21, v17
	;; [unrolled: 1-line block ×4, first 2 shown]
	v_dot4_i32_i8 v16, v16, v30, 0
	v_dot4_i32_i8 v17, v17, v30, 0
	;; [unrolled: 1-line block ×4, first 2 shown]
	v_mul_lo_u32 v16, v16, v36
	s_waitcnt vmcnt(2)
	v_mul_lo_u32 v17, v17, v40
	v_mul_lo_u32 v15, v15, v37
	s_waitcnt vmcnt(1)
	v_mul_lo_u32 v18, v18, v41
	v_cvt_f32_i32_e32 v16, v16
	v_cvt_f32_i32_e32 v17, v17
	;; [unrolled: 1-line block ×4, first 2 shown]
	v_fma_mix_f32 v16, v29, v16, 0 op_sel_hi:[1,0,0]
	v_fma_mix_f32 v17, v29, v17, 0 op_sel_hi:[1,0,0]
	v_add_co_u32_e32 v4, vcc, 0x240, v4
	v_addc_co_u32_e32 v5, vcc, 0, v5, vcc
	s_waitcnt vmcnt(0)
	v_fma_mix_f32 v15, v23, v15, v16 op_sel_hi:[1,0,0]
	v_fma_mix_f32 v16, v23, v18, v17 op_sel_hi:[1,0,0]
	;; [unrolled: 1-line block ×4, first 2 shown]
	s_andn2_b64 exec, exec, s[4:5]
	s_cbranch_execnz .LBB144_3
; %bb.4:
	s_or_b64 exec, exec, s[4:5]
.LBB144_5:
	s_or_b64 exec, exec, s[24:25]
	v_mbcnt_lo_u32_b32 v4, -1, 0
	v_mbcnt_hi_u32_b32 v4, -1, v4
	v_and_b32_e32 v5, 64, v4
	v_add_u32_e32 v5, 64, v5
	v_xor_b32_e32 v6, 32, v4
	v_cmp_lt_i32_e32 vcc, v6, v5
	v_cndmask_b32_e32 v6, v4, v6, vcc
	v_lshlrev_b32_e32 v6, 2, v6
	ds_bpermute_b32 v9, v6, v3
	ds_bpermute_b32 v6, v6, v2
	v_xor_b32_e32 v7, 16, v4
	v_cmp_lt_i32_e32 vcc, v7, v5
	v_cndmask_b32_e32 v7, v4, v7, vcc
	v_lshlrev_b32_e32 v7, 2, v7
	s_waitcnt lgkmcnt(1)
	v_add_f32_e32 v3, v3, v9
	s_waitcnt lgkmcnt(0)
	v_add_f32_e32 v2, v2, v6
	ds_bpermute_b32 v9, v7, v3
	ds_bpermute_b32 v6, v7, v2
	v_xor_b32_e32 v8, 8, v4
	v_cmp_lt_i32_e32 vcc, v8, v5
	v_cndmask_b32_e32 v8, v4, v8, vcc
	v_lshlrev_b32_e32 v8, 2, v8
	s_waitcnt lgkmcnt(1)
	v_add_f32_e32 v3, v3, v9
	s_waitcnt lgkmcnt(0)
	v_add_f32_e32 v2, v2, v6
	;; [unrolled: 10-line block ×5, first 2 shown]
	ds_bpermute_b32 v3, v5, v2
	ds_bpermute_b32 v5, v5, v4
	v_add_u32_e32 v6, s6, v0
	v_cmp_gt_u32_e32 vcc, 2, v0
	v_cmp_gt_u32_e64 s[0:1], s8, v6
	s_and_b64 s[0:1], vcc, s[0:1]
	s_and_b64 exec, exec, s[0:1]
	s_cbranch_execz .LBB144_7
; %bb.6:
	v_mul_lo_u32 v1, s11, v1
	v_cmp_eq_u32_e32 vcc, 1, v0
	s_mul_i32 s0, s14, s7
	v_or_b32_e32 v0, s6, v0
	v_add3_u32 v0, v0, v1, s0
	v_mov_b32_e32 v1, 0
	v_lshlrev_b64 v[0:1], 2, v[0:1]
	s_waitcnt lgkmcnt(1)
	v_add_f32_e32 v2, v2, v3
	s_waitcnt lgkmcnt(0)
	v_add_f32_e32 v3, v4, v5
	v_cndmask_b32_e32 v2, v2, v3, vcc
	v_mov_b32_e32 v3, s23
	v_add_co_u32_e32 v0, vcc, s22, v0
	v_addc_co_u32_e32 v1, vcc, v3, v1, vcc
	global_store_dword v[0:1], v2, off
.LBB144_7:
	s_endpgm
	.section	.rodata,"a",@progbits
	.p2align	6, 0x0
	.amdhsa_kernel _ZL17mul_mat_vec_q_moeIL9ggml_type14ELi2EEvPKvS2_PKiPfj15HIP_vector_typeIjLj3EEjjjjjjjjj
		.amdhsa_group_segment_fixed_size 0
		.amdhsa_private_segment_fixed_size 0
		.amdhsa_kernarg_size 84
		.amdhsa_user_sgpr_count 6
		.amdhsa_user_sgpr_private_segment_buffer 1
		.amdhsa_user_sgpr_dispatch_ptr 0
		.amdhsa_user_sgpr_queue_ptr 0
		.amdhsa_user_sgpr_kernarg_segment_ptr 1
		.amdhsa_user_sgpr_dispatch_id 0
		.amdhsa_user_sgpr_flat_scratch_init 0
		.amdhsa_user_sgpr_private_segment_size 0
		.amdhsa_uses_dynamic_stack 0
		.amdhsa_system_sgpr_private_segment_wavefront_offset 0
		.amdhsa_system_sgpr_workgroup_id_x 1
		.amdhsa_system_sgpr_workgroup_id_y 1
		.amdhsa_system_sgpr_workgroup_id_z 0
		.amdhsa_system_sgpr_workgroup_info 0
		.amdhsa_system_vgpr_workitem_id 1
		.amdhsa_next_free_vgpr 42
		.amdhsa_next_free_sgpr 29
		.amdhsa_reserve_vcc 1
		.amdhsa_reserve_flat_scratch 0
		.amdhsa_float_round_mode_32 0
		.amdhsa_float_round_mode_16_64 0
		.amdhsa_float_denorm_mode_32 3
		.amdhsa_float_denorm_mode_16_64 3
		.amdhsa_dx10_clamp 1
		.amdhsa_ieee_mode 1
		.amdhsa_fp16_overflow 0
		.amdhsa_exception_fp_ieee_invalid_op 0
		.amdhsa_exception_fp_denorm_src 0
		.amdhsa_exception_fp_ieee_div_zero 0
		.amdhsa_exception_fp_ieee_overflow 0
		.amdhsa_exception_fp_ieee_underflow 0
		.amdhsa_exception_fp_ieee_inexact 0
		.amdhsa_exception_int_div_zero 0
	.end_amdhsa_kernel
	.section	.text._ZL17mul_mat_vec_q_moeIL9ggml_type14ELi2EEvPKvS2_PKiPfj15HIP_vector_typeIjLj3EEjjjjjjjjj,"axG",@progbits,_ZL17mul_mat_vec_q_moeIL9ggml_type14ELi2EEvPKvS2_PKiPfj15HIP_vector_typeIjLj3EEjjjjjjjjj,comdat
.Lfunc_end144:
	.size	_ZL17mul_mat_vec_q_moeIL9ggml_type14ELi2EEvPKvS2_PKiPfj15HIP_vector_typeIjLj3EEjjjjjjjjj, .Lfunc_end144-_ZL17mul_mat_vec_q_moeIL9ggml_type14ELi2EEvPKvS2_PKiPfj15HIP_vector_typeIjLj3EEjjjjjjjjj
                                        ; -- End function
	.set _ZL17mul_mat_vec_q_moeIL9ggml_type14ELi2EEvPKvS2_PKiPfj15HIP_vector_typeIjLj3EEjjjjjjjjj.num_vgpr, 42
	.set _ZL17mul_mat_vec_q_moeIL9ggml_type14ELi2EEvPKvS2_PKiPfj15HIP_vector_typeIjLj3EEjjjjjjjjj.num_agpr, 0
	.set _ZL17mul_mat_vec_q_moeIL9ggml_type14ELi2EEvPKvS2_PKiPfj15HIP_vector_typeIjLj3EEjjjjjjjjj.numbered_sgpr, 29
	.set _ZL17mul_mat_vec_q_moeIL9ggml_type14ELi2EEvPKvS2_PKiPfj15HIP_vector_typeIjLj3EEjjjjjjjjj.num_named_barrier, 0
	.set _ZL17mul_mat_vec_q_moeIL9ggml_type14ELi2EEvPKvS2_PKiPfj15HIP_vector_typeIjLj3EEjjjjjjjjj.private_seg_size, 0
	.set _ZL17mul_mat_vec_q_moeIL9ggml_type14ELi2EEvPKvS2_PKiPfj15HIP_vector_typeIjLj3EEjjjjjjjjj.uses_vcc, 1
	.set _ZL17mul_mat_vec_q_moeIL9ggml_type14ELi2EEvPKvS2_PKiPfj15HIP_vector_typeIjLj3EEjjjjjjjjj.uses_flat_scratch, 0
	.set _ZL17mul_mat_vec_q_moeIL9ggml_type14ELi2EEvPKvS2_PKiPfj15HIP_vector_typeIjLj3EEjjjjjjjjj.has_dyn_sized_stack, 0
	.set _ZL17mul_mat_vec_q_moeIL9ggml_type14ELi2EEvPKvS2_PKiPfj15HIP_vector_typeIjLj3EEjjjjjjjjj.has_recursion, 0
	.set _ZL17mul_mat_vec_q_moeIL9ggml_type14ELi2EEvPKvS2_PKiPfj15HIP_vector_typeIjLj3EEjjjjjjjjj.has_indirect_call, 0
	.section	.AMDGPU.csdata,"",@progbits
; Kernel info:
; codeLenInByte = 1576
; TotalNumSgprs: 33
; NumVgprs: 42
; ScratchSize: 0
; MemoryBound: 0
; FloatMode: 240
; IeeeMode: 1
; LDSByteSize: 0 bytes/workgroup (compile time only)
; SGPRBlocks: 4
; VGPRBlocks: 10
; NumSGPRsForWavesPerEU: 33
; NumVGPRsForWavesPerEU: 42
; Occupancy: 5
; WaveLimiterHint : 1
; COMPUTE_PGM_RSRC2:SCRATCH_EN: 0
; COMPUTE_PGM_RSRC2:USER_SGPR: 6
; COMPUTE_PGM_RSRC2:TRAP_HANDLER: 0
; COMPUTE_PGM_RSRC2:TGID_X_EN: 1
; COMPUTE_PGM_RSRC2:TGID_Y_EN: 1
; COMPUTE_PGM_RSRC2:TGID_Z_EN: 0
; COMPUTE_PGM_RSRC2:TIDIG_COMP_CNT: 1
	.section	.text._ZL13mul_mat_vec_qIL9ggml_type14ELi1ELb1ELb1EEvPKvS2_PKi31ggml_cuda_mm_fusion_args_devicePfj15HIP_vector_typeIjLj3EEjjjS8_jjjS8_jjjj,"axG",@progbits,_ZL13mul_mat_vec_qIL9ggml_type14ELi1ELb1ELb1EEvPKvS2_PKi31ggml_cuda_mm_fusion_args_devicePfj15HIP_vector_typeIjLj3EEjjjS8_jjjS8_jjjj,comdat
	.globl	_ZL13mul_mat_vec_qIL9ggml_type14ELi1ELb1ELb1EEvPKvS2_PKi31ggml_cuda_mm_fusion_args_devicePfj15HIP_vector_typeIjLj3EEjjjS8_jjjS8_jjjj ; -- Begin function _ZL13mul_mat_vec_qIL9ggml_type14ELi1ELb1ELb1EEvPKvS2_PKi31ggml_cuda_mm_fusion_args_devicePfj15HIP_vector_typeIjLj3EEjjjS8_jjjS8_jjjj
	.p2align	8
	.type	_ZL13mul_mat_vec_qIL9ggml_type14ELi1ELb1ELb1EEvPKvS2_PKi31ggml_cuda_mm_fusion_args_devicePfj15HIP_vector_typeIjLj3EEjjjS8_jjjS8_jjjj,@function
_ZL13mul_mat_vec_qIL9ggml_type14ELi1ELb1ELb1EEvPKvS2_PKi31ggml_cuda_mm_fusion_args_devicePfj15HIP_vector_typeIjLj3EEjjjS8_jjjS8_jjjj: ; @_ZL13mul_mat_vec_qIL9ggml_type14ELi1ELb1ELb1EEvPKvS2_PKi31ggml_cuda_mm_fusion_args_devicePfj15HIP_vector_typeIjLj3EEjjjS8_jjjS8_jjjj
; %bb.0:
	s_load_dwordx8 s[12:19], s[4:5], 0x0
	s_load_dwordx4 s[28:31], s[4:5], 0x20
	s_load_dwordx4 s[36:39], s[4:5], 0x40
	;; [unrolled: 1-line block ×3, first 2 shown]
	s_mov_b32 s34, s7
	s_waitcnt lgkmcnt(0)
	s_cmp_lg_u64 s[16:17], 0
	s_cselect_b64 s[0:1], -1, 0
	s_cmp_eq_u64 s[16:17], 0
	s_mov_b64 s[2:3], 0
	s_cbranch_scc1 .LBB145_5
; %bb.1:
	s_mov_b32 s35, 0
	s_lshl_b64 s[10:11], s[34:35], 2
	s_add_u32 s10, s16, s10
	s_addc_u32 s11, s17, s11
	s_load_dword s35, s[10:11], 0x0
	s_load_dword s33, s[4:5], 0x50
	s_load_dword s42, s[4:5], 0x78
	s_andn2_b64 vcc, exec, s[2:3]
	s_cbranch_vccnz .LBB145_3
.LBB145_2:
	s_load_dwordx2 s[2:3], s[4:5], 0x5c
	s_waitcnt lgkmcnt(0)
	s_mul_hi_u32 s2, s2, s34
	s_add_i32 s2, s34, s2
	s_lshr_b32 s35, s2, s3
.LBB145_3:
	s_andn2_b64 vcc, exec, s[0:1]
	s_cbranch_vccnz .LBB145_6
; %bb.4:
	s_mul_hi_u32 s0, s37, s34
	s_add_i32 s0, s34, s0
	s_lshr_b32 s0, s0, s38
	s_mul_i32 s0, s0, s39
	s_sub_i32 s37, s34, s0
	s_waitcnt lgkmcnt(0)
	s_mov_b32 s43, s35
	s_branch .LBB145_7
.LBB145_5:
                                        ; implicit-def: $sgpr35
	s_load_dword s33, s[4:5], 0x50
	s_load_dword s42, s[4:5], 0x78
	s_branch .LBB145_2
.LBB145_6:
	s_mov_b32 s43, s34
	s_mov_b32 s37, s34
.LBB145_7:
	s_load_dword s9, s[4:5], 0x58
	s_load_dwordx4 s[24:27], s[4:5], 0x80
	s_lshl_b32 s16, s6, 1
	s_cmp_eq_u64 s[18:19], 0
	s_cselect_b64 s[0:1], -1, 0
	v_mov_b32_e32 v8, 0
	s_and_b64 vcc, exec, s[0:1]
	v_cmp_gt_u32_e64 s[2:3], 2, v0
	v_cmp_eq_u32_e64 s[6:7], 0, v1
	v_add_u32_e32 v7, s16, v0
	v_mov_b32_e32 v9, 0
	s_cbranch_vccnz .LBB145_11
; %bb.8:
	s_waitcnt lgkmcnt(0)
	v_cmp_gt_u32_e32 vcc, s9, v7
	s_and_b64 s[2:3], s[2:3], vcc
	s_mov_b32 s11, 0
	s_and_b64 s[6:7], s[2:3], s[6:7]
	v_mov_b32_e32 v9, 0
	s_and_saveexec_b64 s[2:3], s[6:7]
	s_cbranch_execz .LBB145_10
; %bb.9:
	s_mul_i32 s10, s26, s8
	s_lshl_b64 s[6:7], s[10:11], 2
	s_add_u32 s17, s18, s6
	s_mul_i32 s10, s43, s22
	s_addc_u32 s18, s19, s7
	s_lshl_b64 s[6:7], s[10:11], 2
	s_add_u32 s10, s17, s6
	s_addc_u32 s11, s18, s7
	s_ashr_i32 s17, s16, 31
	s_lshl_b64 s[6:7], s[16:17], 2
	s_add_u32 s6, s10, s6
	s_addc_u32 s7, s11, s7
	v_lshlrev_b32_e32 v2, 2, v0
	global_load_dword v9, v2, s[6:7]
.LBB145_10:
	s_or_b64 exec, exec, s[2:3]
.LBB145_11:
	s_cmp_lg_u64 s[28:29], 0
	s_cselect_b64 s[18:19], -1, 0
	s_cmp_eq_u64 s[28:29], 0
	s_cselect_b64 s[38:39], -1, 0
	s_cmp_lg_u64 s[30:31], 0
	s_cselect_b64 s[2:3], -1, 0
	s_and_b64 s[6:7], s[2:3], s[18:19]
	s_andn2_b64 vcc, exec, s[6:7]
	s_waitcnt lgkmcnt(0)
	v_cmp_gt_u32_e64 s[6:7], s9, v7
	s_cbranch_vccnz .LBB145_15
; %bb.12:
	v_cmp_gt_u32_e32 vcc, 2, v0
	v_cmp_eq_u32_e64 s[10:11], 0, v1
	s_and_b64 s[6:7], vcc, s[6:7]
	s_mov_b32 s41, 0
	s_and_b64 s[10:11], s[6:7], s[10:11]
	v_mov_b32_e32 v8, 0
	s_and_saveexec_b64 s[6:7], s[10:11]
	s_cbranch_execz .LBB145_14
; %bb.13:
	s_mul_i32 s40, s26, s8
	s_lshl_b64 s[10:11], s[40:41], 2
	s_add_u32 s17, s30, s10
	s_mul_i32 s40, s43, s22
	s_addc_u32 s27, s31, s11
	s_lshl_b64 s[10:11], s[40:41], 2
	s_add_u32 s30, s17, s10
	s_addc_u32 s27, s27, s11
	s_ashr_i32 s17, s16, 31
	s_lshl_b64 s[10:11], s[16:17], 2
	s_add_u32 s10, s30, s10
	s_addc_u32 s11, s27, s11
	v_lshlrev_b32_e32 v2, 2, v0
	global_load_dword v8, v2, s[10:11]
.LBB145_14:
	s_or_b64 exec, exec, s[6:7]
.LBB145_15:
	v_lshl_add_u32 v6, v1, 6, v0
	v_mov_b32_e32 v4, 0
	s_lshr_b32 s17, s36, 8
	v_lshrrev_b32_e32 v11, 5, v6
	v_mov_b32_e32 v5, v4
	v_mov_b32_e32 v2, v4
	v_cmp_gt_u32_e32 vcc, s17, v11
	v_mov_b32_e32 v10, v4
	v_mov_b32_e32 v3, v5
	s_and_saveexec_b64 s[10:11], vcc
	s_cbranch_execz .LBB145_23
; %bb.16:
	s_mul_hi_u32 s6, s23, s8
	s_add_i32 s6, s8, s6
	v_and_b32_e32 v4, 15, v0
	s_lshr_b32 s6, s6, s42
	v_bfe_u32 v3, v0, 4, 1
	v_lshrrev_b16_e32 v5, 3, v4
	s_mul_i32 s7, s35, s20
	s_mul_i32 s6, s6, s24
	;; [unrolled: 1-line block ×3, first 2 shown]
	v_lshl_or_b32 v10, v3, 2, v5
	v_lshlrev_b32_e32 v3, 3, v3
	v_and_b32_e32 v15, 7, v0
	s_add_i32 s21, s7, s6
	v_or_b32_e32 v13, v3, v15
	v_lshrrev_b16_e32 v4, 2, v4
	s_mul_hi_u32 s6, s20, 36
	s_mul_i32 s20, s20, 36
	v_lshlrev_b32_e32 v16, 1, v13
	v_lshlrev_b32_e32 v13, 1, v5
	v_or_b32_e32 v14, v3, v4
	v_lshrrev_b32_e32 v5, 5, v6
	v_mov_b32_e32 v3, s20
	v_mov_b32_e32 v4, s6
	s_movk_i32 s6, 0x120
	v_mad_u64_u32 v[3:4], s[6:7], v5, s6, v[3:4]
	s_mul_i32 s23, s25, s8
	s_mul_i32 s24, s16, s33
	v_mad_u64_u32 v[3:4], s[6:7], s23, 36, v[3:4]
	v_and_b32_e32 v2, 31, v0
	s_add_i32 s20, s21, s24
	v_mad_u64_u32 v[3:4], s[6:7], v10, 36, v[3:4]
	s_add_i32 s24, s16, 1
	v_lshlrev_b32_e32 v12, 1, v2
	v_mov_b32_e32 v2, 0
	s_mul_i32 s33, s33, s24
	v_mov_b32_e32 v6, s15
	v_add_co_u32_e32 v5, vcc, s14, v3
	s_add_i32 s21, s21, s33
	v_lshlrev_b32_e32 v15, 2, v15
	v_addc_co_u32_e32 v6, vcc, v6, v4, vcc
	v_mov_b32_e32 v3, v2
	s_mov_b64 s[14:15], 0
	s_movk_i32 s23, 0xd2
	v_lshlrev_b32_e32 v16, 1, v16
	s_mov_b32 s24, 0x30303030
	s_movk_i32 s25, 0x3f00
	s_movk_i32 s27, 0xe000
	v_mov_b32_e32 v17, 8
	v_mov_b32_e32 v10, v2
	;; [unrolled: 1-line block ×3, first 2 shown]
	s_branch .LBB145_18
.LBB145_17:                             ;   in Loop: Header=BB145_18 Depth=1
	s_waitcnt vmcnt(8)
	v_ashrrev_i32_e32 v25, v13, v25
	v_and_b32_e32 v31, 0xf0f0f0f, v23
	v_lshlrev_b32_e32 v33, 4, v25
	v_and_or_b32 v31, v33, s24, v31
	v_lshlrev_b16_e32 v34, 8, v31
	v_and_b32_e32 v33, 0x3f00, v31
	v_add_u16_e32 v34, 0xe000, v34
	v_or_b32_sdwa v33, v33, v34 dst_sel:DWORD dst_unused:UNUSED_PAD src0_sel:DWORD src1_sel:BYTE_1
	v_and_b32_sdwa v34, v31, s25 dst_sel:DWORD dst_unused:UNUSED_PAD src0_sel:WORD_1 src1_sel:DWORD
	v_lshlrev_b16_sdwa v31, v17, v31 dst_sel:DWORD dst_unused:UNUSED_PAD src0_sel:DWORD src1_sel:WORD_1
	v_add_u16_e32 v31, 0xe000, v31
	v_or_b32_sdwa v31, v34, v31 dst_sel:DWORD dst_unused:UNUSED_PAD src0_sel:DWORD src1_sel:BYTE_1
	v_add_u16_e32 v33, 0xe000, v33
	v_add_u16_sdwa v31, v31, s27 dst_sel:WORD_1 dst_unused:UNUSED_PAD src0_sel:DWORD src1_sel:DWORD
	v_lshrrev_b32_e32 v23, 4, v23
	v_or_b32_e32 v31, v33, v31
	v_and_b32_e32 v23, 0xf0f0f0f, v23
	s_waitcnt vmcnt(7)
	v_bfe_i32 v26, v26, 0, 8
	v_dot4_i32_i8 v31, v31, v19, 0
	v_and_or_b32 v23, v25, s24, v23
	v_mul_lo_u32 v26, v31, v26
	v_lshlrev_b16_e32 v31, 8, v23
	v_and_b32_e32 v25, 0x3f00, v23
	v_add_u16_e32 v31, 0xe000, v31
	v_or_b32_sdwa v25, v25, v31 dst_sel:DWORD dst_unused:UNUSED_PAD src0_sel:DWORD src1_sel:BYTE_1
	v_and_b32_sdwa v31, v23, s25 dst_sel:DWORD dst_unused:UNUSED_PAD src0_sel:WORD_1 src1_sel:DWORD
	v_lshlrev_b16_sdwa v23, v17, v23 dst_sel:DWORD dst_unused:UNUSED_PAD src0_sel:DWORD src1_sel:WORD_1
	v_add_u16_e32 v23, 0xe000, v23
	v_or_b32_sdwa v23, v31, v23 dst_sel:DWORD dst_unused:UNUSED_PAD src0_sel:DWORD src1_sel:BYTE_1
	v_add_u16_e32 v25, 0xe000, v25
	v_add_u16_sdwa v23, v23, s27 dst_sel:WORD_1 dst_unused:UNUSED_PAD src0_sel:DWORD src1_sel:DWORD
	v_or_b32_e32 v23, v25, v23
	s_waitcnt vmcnt(6)
	v_bfe_i32 v24, v24, 0, 8
	v_dot4_i32_i8 v23, v23, v18, 0
	v_mul_lo_u32 v23, v23, v24
	s_waitcnt vmcnt(3)
	v_ashrrev_i32_e32 v24, v13, v32
	v_and_b32_e32 v25, 0xf0f0f0f, v29
	v_lshlrev_b32_e32 v31, 4, v24
	v_and_or_b32 v25, v31, s24, v25
	v_lshlrev_b16_e32 v32, 8, v25
	v_and_b32_e32 v31, 0x3f00, v25
	v_add_u16_e32 v32, 0xe000, v32
	v_or_b32_sdwa v31, v31, v32 dst_sel:DWORD dst_unused:UNUSED_PAD src0_sel:DWORD src1_sel:BYTE_1
	v_and_b32_sdwa v32, v25, s25 dst_sel:DWORD dst_unused:UNUSED_PAD src0_sel:WORD_1 src1_sel:DWORD
	v_lshlrev_b16_sdwa v25, v17, v25 dst_sel:DWORD dst_unused:UNUSED_PAD src0_sel:DWORD src1_sel:WORD_1
	v_add_u16_e32 v25, 0xe000, v25
	v_or_b32_sdwa v25, v32, v25 dst_sel:DWORD dst_unused:UNUSED_PAD src0_sel:DWORD src1_sel:BYTE_1
	v_add_u16_e32 v31, 0xe000, v31
	v_add_u16_sdwa v25, v25, s27 dst_sel:WORD_1 dst_unused:UNUSED_PAD src0_sel:DWORD src1_sel:DWORD
	v_or_b32_e32 v25, v31, v25
	v_dot4_i32_i8 v19, v25, v19, 0
	v_lshrrev_b32_e32 v25, 4, v29
	v_and_b32_e32 v25, 0xf0f0f0f, v25
	v_and_or_b32 v24, v24, s24, v25
	v_lshlrev_b16_e32 v29, 8, v24
	v_and_b32_e32 v25, 0x3f00, v24
	v_add_u16_e32 v29, 0xe000, v29
	v_or_b32_sdwa v25, v25, v29 dst_sel:DWORD dst_unused:UNUSED_PAD src0_sel:DWORD src1_sel:BYTE_1
	v_and_b32_sdwa v29, v24, s25 dst_sel:DWORD dst_unused:UNUSED_PAD src0_sel:WORD_1 src1_sel:DWORD
	v_lshlrev_b16_sdwa v24, v17, v24 dst_sel:DWORD dst_unused:UNUSED_PAD src0_sel:DWORD src1_sel:WORD_1
	v_add_u16_e32 v24, 0xe000, v24
	v_or_b32_sdwa v24, v29, v24 dst_sel:DWORD dst_unused:UNUSED_PAD src0_sel:DWORD src1_sel:BYTE_1
	v_add_u16_e32 v25, 0xe000, v25
	v_add_u16_sdwa v24, v24, s27 dst_sel:WORD_1 dst_unused:UNUSED_PAD src0_sel:DWORD src1_sel:DWORD
	v_or_b32_e32 v24, v25, v24
	s_waitcnt vmcnt(2)
	v_mul_lo_u32 v19, v19, v30
	v_dot4_i32_i8 v18, v24, v18, 0
	s_waitcnt vmcnt(1)
	v_mul_lo_u32 v18, v18, v28
	v_cvt_f32_i32_e32 v26, v26
	v_cvt_f32_i32_e32 v19, v19
	;; [unrolled: 1-line block ×4, first 2 shown]
	v_fma_f32 v24, v22, v26, 0
	v_fma_f32 v19, v22, v19, 0
	v_add_u32_e32 v11, 4, v11
	v_fmac_f32_e32 v24, v21, v23
	v_fmac_f32_e32 v19, v21, v18
	v_add_co_u32_e32 v5, vcc, 0x480, v5
	v_cmp_le_u32_e64 s[6:7], s17, v11
	v_fma_mix_f32 v10, v24, v20, v10 op_sel_hi:[0,1,0]
	s_waitcnt vmcnt(0)
	v_fma_mix_f32 v4, v19, v27, v4 op_sel_hi:[0,1,0]
	s_or_b64 s[14:15], s[6:7], s[14:15]
	v_addc_co_u32_e32 v6, vcc, 0, v6, vcc
	s_andn2_b64 exec, exec, s[14:15]
	s_cbranch_execz .LBB145_22
.LBB145_18:                             ; =>This Inner Loop Header: Depth=1
	v_add_co_u32_e32 v20, vcc, v5, v15
	v_addc_co_u32_e32 v21, vcc, 0, v6, vcc
	global_load_dword v19, v[20:21], off offset:4
	global_load_dword v18, v[20:21], off offset:76
	v_mov_b32_e32 v21, s13
	v_add_u32_e32 v27, s20, v11
	v_mov_b32_e32 v20, s12
	v_mad_i64_i32 v[21:22], s[6:7], v27, s23, v[20:21]
	v_lshlrev_b32_e32 v31, 1, v12
	global_load_dword v30, v[5:6], off
	global_load_dword v36, v[5:6], off offset:72
	v_add_co_u32_e32 v28, vcc, v21, v31
	v_addc_co_u32_e32 v29, vcc, 0, v22, vcc
	v_add_co_u32_e32 v32, vcc, v21, v16
	v_addc_co_u32_e32 v33, vcc, 0, v22, vcc
	;; [unrolled: 2-line block ×3, first 2 shown]
	global_load_dword v23, v[28:29], off
	global_load_dword v25, v[32:33], off offset:128
	global_load_ubyte v26, v[34:35], off offset:192
	global_load_ubyte v24, v[34:35], off offset:196
	global_load_ushort v20, v[21:22], off offset:208
	v_cndmask_b32_e64 v28, 0, 1, s[18:19]
	v_cmp_ne_u32_e64 s[6:7], 1, v28
	s_andn2_b64 vcc, exec, s[18:19]
	s_waitcnt vmcnt(6)
	v_cvt_f32_f16_e32 v22, v30
	s_waitcnt vmcnt(5)
	v_cvt_f32_f16_e32 v21, v36
	s_cbranch_vccnz .LBB145_20
; %bb.19:                               ;   in Loop: Header=BB145_18 Depth=1
	v_mov_b32_e32 v28, s28
	v_mov_b32_e32 v29, s29
	v_mad_i64_i32 v[27:28], s[30:31], v27, s23, v[28:29]
	v_add_co_u32_e32 v29, vcc, v27, v31
	v_addc_co_u32_e32 v30, vcc, 0, v28, vcc
	v_add_co_u32_e32 v32, vcc, v27, v16
	v_addc_co_u32_e32 v33, vcc, 0, v28, vcc
	global_load_dword v34, v[32:33], off offset:128
	global_load_dword v35, v[29:30], off
	v_add_co_u32_e32 v29, vcc, v27, v14
	v_addc_co_u32_e32 v30, vcc, 0, v28, vcc
	global_load_sbyte v32, v[29:30], off offset:192
	global_load_sbyte v33, v[29:30], off offset:196
	global_load_ushort v36, v[27:28], off offset:208
	s_waitcnt vmcnt(4)
	v_ashrrev_i32_e32 v27, v13, v34
	s_waitcnt vmcnt(3)
	v_and_b32_e32 v28, 0xf0f0f0f, v35
	v_lshrrev_b32_e32 v29, 4, v35
	v_lshlrev_b32_e32 v30, 4, v27
	v_and_b32_e32 v29, 0xf0f0f0f, v29
	v_and_or_b32 v28, v30, s24, v28
	v_and_or_b32 v27, v27, s24, v29
	v_and_b32_e32 v29, 0x3f00, v28
	v_lshlrev_b16_e32 v30, 8, v28
	v_and_b32_sdwa v34, v28, s25 dst_sel:DWORD dst_unused:UNUSED_PAD src0_sel:WORD_1 src1_sel:DWORD
	v_lshlrev_b16_sdwa v28, v17, v28 dst_sel:DWORD dst_unused:UNUSED_PAD src0_sel:DWORD src1_sel:WORD_1
	v_and_b32_e32 v35, 0x3f00, v27
	v_lshlrev_b16_e32 v37, 8, v27
	v_and_b32_sdwa v38, v27, s25 dst_sel:DWORD dst_unused:UNUSED_PAD src0_sel:WORD_1 src1_sel:DWORD
	v_lshlrev_b16_sdwa v27, v17, v27 dst_sel:DWORD dst_unused:UNUSED_PAD src0_sel:DWORD src1_sel:WORD_1
	v_add_u16_e32 v30, 0xe000, v30
	v_add_u16_e32 v28, 0xe000, v28
	;; [unrolled: 1-line block ×4, first 2 shown]
	v_or_b32_sdwa v29, v29, v30 dst_sel:DWORD dst_unused:UNUSED_PAD src0_sel:DWORD src1_sel:BYTE_1
	v_or_b32_sdwa v28, v34, v28 dst_sel:DWORD dst_unused:UNUSED_PAD src0_sel:DWORD src1_sel:BYTE_1
	;; [unrolled: 1-line block ×4, first 2 shown]
	v_add_u16_e32 v29, 0xe000, v29
	v_add_u16_sdwa v28, v28, s27 dst_sel:WORD_1 dst_unused:UNUSED_PAD src0_sel:DWORD src1_sel:DWORD
	v_add_u16_e32 v30, 0xe000, v30
	v_add_u16_sdwa v27, v27, s27 dst_sel:WORD_1 dst_unused:UNUSED_PAD src0_sel:DWORD src1_sel:DWORD
	v_or_b32_e32 v28, v29, v28
	v_or_b32_e32 v27, v30, v27
	v_dot4_i32_i8 v28, v28, v19, 0
	s_waitcnt vmcnt(2)
	v_mul_lo_u32 v28, v28, v32
	v_dot4_i32_i8 v27, v27, v18, 0
	s_waitcnt vmcnt(1)
	v_mul_lo_u32 v27, v27, v33
	v_cvt_f32_i32_e32 v28, v28
	v_cvt_f32_i32_e32 v27, v27
	v_fma_f32 v28, v22, v28, 0
	v_fmac_f32_e32 v28, v21, v27
	s_waitcnt vmcnt(0)
	v_fma_mix_f32 v2, v28, v36, v2 op_sel_hi:[0,1,0]
.LBB145_20:                             ;   in Loop: Header=BB145_18 Depth=1
	v_mov_b32_e32 v28, s13
	v_add_u32_e32 v33, s21, v11
	v_mov_b32_e32 v27, s12
	v_mad_i64_i32 v[34:35], s[30:31], v33, s23, v[27:28]
	v_add_co_u32_e32 v36, vcc, v34, v31
	v_addc_co_u32_e32 v37, vcc, 0, v35, vcc
	v_add_co_u32_e32 v38, vcc, v34, v16
	v_addc_co_u32_e32 v39, vcc, 0, v35, vcc
	;; [unrolled: 2-line block ×3, first 2 shown]
	global_load_dword v29, v[36:37], off
	global_load_dword v32, v[38:39], off offset:128
	global_load_sbyte v30, v[40:41], off offset:192
	global_load_sbyte v28, v[40:41], off offset:196
	global_load_ushort v27, v[34:35], off offset:208
	s_and_b64 vcc, exec, s[6:7]
	s_cbranch_vccnz .LBB145_17
; %bb.21:                               ;   in Loop: Header=BB145_18 Depth=1
	v_mov_b32_e32 v35, s29
	v_mov_b32_e32 v34, s28
	v_mad_i64_i32 v[33:34], s[6:7], v33, s23, v[34:35]
	v_add_co_u32_e32 v35, vcc, v33, v31
	v_addc_co_u32_e32 v36, vcc, 0, v34, vcc
	v_add_co_u32_e32 v37, vcc, v33, v16
	v_addc_co_u32_e32 v38, vcc, 0, v34, vcc
	global_load_dword v31, v[37:38], off offset:128
	global_load_dword v39, v[35:36], off
	v_add_co_u32_e32 v35, vcc, v33, v14
	v_addc_co_u32_e32 v36, vcc, 0, v34, vcc
	global_load_sbyte v37, v[35:36], off offset:192
	global_load_sbyte v38, v[35:36], off offset:196
	global_load_ushort v40, v[33:34], off offset:208
	s_waitcnt vmcnt(4)
	v_ashrrev_i32_e32 v31, v13, v31
	s_waitcnt vmcnt(3)
	v_and_b32_e32 v33, 0xf0f0f0f, v39
	v_lshrrev_b32_e32 v34, 4, v39
	v_lshlrev_b32_e32 v35, 4, v31
	v_and_b32_e32 v34, 0xf0f0f0f, v34
	v_and_or_b32 v33, v35, s24, v33
	v_and_or_b32 v31, v31, s24, v34
	v_and_b32_e32 v34, 0x3f00, v33
	v_lshlrev_b16_e32 v35, 8, v33
	v_and_b32_sdwa v36, v33, s25 dst_sel:DWORD dst_unused:UNUSED_PAD src0_sel:WORD_1 src1_sel:DWORD
	v_lshlrev_b16_sdwa v33, v17, v33 dst_sel:DWORD dst_unused:UNUSED_PAD src0_sel:DWORD src1_sel:WORD_1
	v_and_b32_e32 v39, 0x3f00, v31
	v_lshlrev_b16_e32 v41, 8, v31
	v_and_b32_sdwa v42, v31, s25 dst_sel:DWORD dst_unused:UNUSED_PAD src0_sel:WORD_1 src1_sel:DWORD
	v_lshlrev_b16_sdwa v31, v17, v31 dst_sel:DWORD dst_unused:UNUSED_PAD src0_sel:DWORD src1_sel:WORD_1
	v_add_u16_e32 v35, 0xe000, v35
	v_add_u16_e32 v33, 0xe000, v33
	;; [unrolled: 1-line block ×4, first 2 shown]
	v_or_b32_sdwa v34, v34, v35 dst_sel:DWORD dst_unused:UNUSED_PAD src0_sel:DWORD src1_sel:BYTE_1
	v_or_b32_sdwa v33, v36, v33 dst_sel:DWORD dst_unused:UNUSED_PAD src0_sel:DWORD src1_sel:BYTE_1
	;; [unrolled: 1-line block ×4, first 2 shown]
	v_add_u16_e32 v34, 0xe000, v34
	v_add_u16_sdwa v33, v33, s27 dst_sel:WORD_1 dst_unused:UNUSED_PAD src0_sel:DWORD src1_sel:DWORD
	v_add_u16_e32 v35, 0xe000, v35
	v_add_u16_sdwa v31, v31, s27 dst_sel:WORD_1 dst_unused:UNUSED_PAD src0_sel:DWORD src1_sel:DWORD
	v_or_b32_e32 v33, v34, v33
	v_or_b32_e32 v31, v35, v31
	v_dot4_i32_i8 v33, v33, v19, 0
	s_waitcnt vmcnt(2)
	v_mul_lo_u32 v33, v33, v37
	v_dot4_i32_i8 v31, v31, v18, 0
	s_waitcnt vmcnt(1)
	v_mul_lo_u32 v31, v31, v38
	v_cvt_f32_i32_e32 v33, v33
	v_cvt_f32_i32_e32 v31, v31
	v_fma_f32 v33, v22, v33, 0
	v_fmac_f32_e32 v33, v21, v31
	s_waitcnt vmcnt(0)
	v_fma_mix_f32 v3, v33, v40, v3 op_sel_hi:[0,1,0]
	s_branch .LBB145_17
.LBB145_22:
	s_or_b64 exec, exec, s[14:15]
.LBB145_23:
	s_or_b64 exec, exec, s[10:11]
	s_load_dword s14, s[4:5], 0x30
	v_cmp_eq_u32_e64 s[6:7], 0, v1
	v_cmp_ne_u32_e32 vcc, 0, v1
	v_lshlrev_b32_e32 v5, 2, v0
	s_and_saveexec_b64 s[10:11], vcc
	s_cbranch_execz .LBB145_28
; %bb.24:
	v_lshl_or_b32 v1, v1, 9, v5
	v_add_u32_e32 v6, 0xfffffe00, v1
	s_mov_b64 s[12:13], -1
	s_and_b64 vcc, exec, s[38:39]
	ds_write_b32 v6, v10
	s_cbranch_vccz .LBB145_26
; %bb.25:
	ds_write_b32 v6, v4 offset:256
	s_mov_b64 s[12:13], 0
.LBB145_26:
	s_andn2_b64 vcc, exec, s[12:13]
	s_cbranch_vccnz .LBB145_28
; %bb.27:
	ds_write_b32 v6, v4 offset:256
	ds_write2st64_b32 v1, v2, v3 offset1:1
.LBB145_28:
	s_or_b64 exec, exec, s[10:11]
	s_waitcnt vmcnt(0) lgkmcnt(0)
	s_barrier
	s_and_saveexec_b64 s[10:11], s[6:7]
	s_cbranch_execz .LBB145_61
; %bb.29:
	ds_read_b32 v11, v5
	v_cndmask_b32_e64 v1, 0, 1, s[18:19]
	v_cmp_ne_u32_e64 s[6:7], 1, v1
	s_andn2_b64 vcc, exec, s[18:19]
	v_or_b32_e32 v6, 0x200, v5
	s_cbranch_vccnz .LBB145_31
; %bb.30:
	ds_read_b32 v1, v6
	s_waitcnt lgkmcnt(0)
	v_add_f32_e32 v2, v2, v1
.LBB145_31:
	v_mbcnt_lo_u32_b32 v1, -1, 0
	v_mbcnt_hi_u32_b32 v16, -1, v1
	v_and_b32_e32 v1, 64, v16
	v_add_u32_e32 v17, 64, v1
	v_xor_b32_e32 v1, 32, v16
	v_cmp_lt_i32_e32 vcc, v1, v17
	v_cndmask_b32_e32 v1, v16, v1, vcc
	v_lshlrev_b32_e32 v1, 2, v1
	s_waitcnt lgkmcnt(0)
	v_add_f32_e32 v10, v10, v11
	ds_bpermute_b32 v11, v1, v10
	v_xor_b32_e32 v12, 16, v16
	v_cmp_lt_i32_e32 vcc, v12, v17
	v_cndmask_b32_e32 v12, v16, v12, vcc
	v_lshlrev_b32_e32 v12, 2, v12
	s_waitcnt lgkmcnt(0)
	v_add_f32_e32 v10, v10, v11
	ds_bpermute_b32 v11, v12, v10
	;; [unrolled: 7-line block ×6, first 2 shown]
	s_and_b64 vcc, exec, s[6:7]
	s_cbranch_vccnz .LBB145_33
; %bb.32:
	ds_bpermute_b32 v17, v1, v2
	s_waitcnt lgkmcnt(0)
	v_add_f32_e32 v2, v2, v17
	ds_bpermute_b32 v17, v12, v2
	s_waitcnt lgkmcnt(0)
	v_add_f32_e32 v2, v2, v17
	;; [unrolled: 3-line block ×6, first 2 shown]
.LBB145_33:
	ds_read_b32 v17, v5 offset:256
	s_and_b64 vcc, exec, s[6:7]
	s_cbranch_vccnz .LBB145_35
; %bb.34:
	ds_read_b32 v6, v6 offset:256
	s_waitcnt lgkmcnt(0)
	v_add_f32_e32 v3, v3, v6
.LBB145_35:
	s_waitcnt lgkmcnt(0)
	v_add_f32_e32 v4, v4, v17
	ds_bpermute_b32 v6, v1, v4
	s_and_b64 vcc, exec, s[6:7]
	s_waitcnt lgkmcnt(0)
	v_add_f32_e32 v4, v4, v6
	ds_bpermute_b32 v6, v12, v4
	s_waitcnt lgkmcnt(0)
	v_add_f32_e32 v4, v4, v6
	ds_bpermute_b32 v6, v13, v4
	;; [unrolled: 3-line block ×5, first 2 shown]
	s_cbranch_vccnz .LBB145_37
; %bb.36:
	ds_bpermute_b32 v1, v1, v3
	s_waitcnt lgkmcnt(0)
	v_add_f32_e32 v1, v3, v1
	ds_bpermute_b32 v3, v12, v1
	s_waitcnt lgkmcnt(0)
	v_add_f32_e32 v1, v1, v3
	;; [unrolled: 3-line block ×6, first 2 shown]
.LBB145_37:
	v_cmp_gt_u32_e32 vcc, s9, v7
	v_cmp_gt_u32_e64 s[10:11], 2, v0
	s_and_b64 s[10:11], s[10:11], vcc
	s_and_b64 exec, exec, s[10:11]
	s_cbranch_execz .LBB145_61
; %bb.38:
	v_add_f32_e32 v1, v10, v11
	s_waitcnt lgkmcnt(0)
	v_add_f32_e32 v4, v4, v6
	v_cmp_eq_u32_e64 s[10:11], 1, v0
	v_cndmask_b32_e64 v0, v1, v4, s[10:11]
	v_add_f32_e32 v1, v9, v0
	s_and_b64 vcc, exec, s[6:7]
	v_cndmask_b32_e64 v0, v1, v0, s[0:1]
	s_cbranch_vccnz .LBB145_60
; %bb.39:
	v_cndmask_b32_e64 v1, v2, v3, s[10:11]
	v_add_f32_e32 v2, v8, v1
	v_cndmask_b32_e64 v1, v1, v2, s[2:3]
	s_cmp_lt_i32 s14, 2
	s_mov_b64 s[0:1], 0
	s_cbranch_scc1 .LBB145_43
; %bb.40:
	s_cmp_gt_i32 s14, 2
	s_cbranch_scc0 .LBB145_44
; %bb.41:
	s_cmp_eq_u32 s14, 3
	s_cbranch_scc0 .LBB145_45
; %bb.42:
	v_max_f32_e32 v2, v1, v1
	v_min_f32_e32 v2, 0x40e00000, v2
	v_mul_f32_e32 v3, 0xbfd9db23, v2
	s_mov_b32 s2, 0x3fb8aa3b
	v_mul_f32_e32 v4, 0x3fb8aa3b, v3
	v_fma_f32 v6, v3, s2, -v4
	v_rndne_f32_e32 v7, v4
	v_fmac_f32_e32 v6, 0x32a5705f, v3
	v_sub_f32_e32 v4, v4, v7
	v_add_f32_e32 v4, v4, v6
	v_exp_f32_e32 v4, v4
	v_cvt_i32_f32_e32 v6, v7
	s_mov_b32 s2, 0xc2ce8ed0
	v_cmp_ngt_f32_e32 vcc, s2, v3
	s_mov_b32 s2, 0x42b17218
	v_ldexp_f32 v4, v4, v6
	v_cndmask_b32_e32 v4, 0, v4, vcc
	v_mov_b32_e32 v6, 0x7f800000
	v_cmp_nlt_f32_e32 vcc, s2, v3
	v_cndmask_b32_e32 v3, v6, v4, vcc
	v_add_f32_e32 v3, 1.0, v3
	v_div_scale_f32 v4, s[2:3], v3, v3, v2
	v_div_scale_f32 v6, vcc, v2, v3, v2
	s_mov_b64 s[2:3], 0
	v_rcp_f32_e32 v7, v4
	v_fma_f32 v8, -v4, v7, 1.0
	v_fmac_f32_e32 v7, v8, v7
	v_mul_f32_e32 v8, v6, v7
	v_fma_f32 v9, -v4, v8, v6
	v_fmac_f32_e32 v8, v9, v7
	v_fma_f32 v4, -v4, v8, v6
	v_div_fmas_f32 v4, v4, v7, v8
	v_max_f32_e32 v6, v0, v0
	v_min_f32_e32 v6, 0x40e00000, v6
	v_max_f32_e32 v6, 0xc0e00000, v6
	v_add_f32_e32 v6, 1.0, v6
	v_div_fixup_f32 v2, v4, v3, v2
	v_mul_f32_e32 v2, v6, v2
	s_branch .LBB145_46
.LBB145_43:
                                        ; implicit-def: $vgpr2
	s_mov_b64 s[2:3], 0
	s_cbranch_execnz .LBB145_50
	s_branch .LBB145_51
.LBB145_44:
	s_mov_b64 s[6:7], -1
	s_mov_b64 s[2:3], 0
                                        ; implicit-def: $vgpr2
	s_branch .LBB145_47
.LBB145_45:
	s_mov_b64 s[2:3], -1
                                        ; implicit-def: $vgpr2
.LBB145_46:
	s_mov_b64 s[6:7], 0
.LBB145_47:
	s_and_b64 vcc, exec, s[6:7]
	s_cbranch_vccz .LBB145_49
; %bb.48:
	v_mul_f32_e32 v2, 0xbfb8aa3b, v1
	s_mov_b32 s6, 0xbfb8aa3b
	v_rndne_f32_e32 v3, v2
	v_sub_f32_e32 v4, v2, v3
	v_fma_f32 v2, v1, s6, -v2
	v_fmac_f32_e32 v2, 0xb2a5705f, v1
	v_add_f32_e32 v2, v4, v2
	v_exp_f32_e32 v2, v2
	v_cvt_i32_f32_e32 v3, v3
	s_mov_b32 s6, 0x42ce8ed0
	v_cmp_nlt_f32_e32 vcc, s6, v1
	s_mov_b32 s6, 0xc2b17218
	v_ldexp_f32 v2, v2, v3
	v_cndmask_b32_e32 v2, 0, v2, vcc
	v_mov_b32_e32 v3, 0x7f800000
	v_cmp_ngt_f32_e32 vcc, s6, v1
	v_cndmask_b32_e32 v2, v3, v2, vcc
	v_add_f32_e32 v2, 1.0, v2
	v_div_scale_f32 v3, s[6:7], v2, v2, v1
	v_div_scale_f32 v4, vcc, v1, v2, v1
	v_rcp_f32_e32 v6, v3
	v_fma_f32 v7, -v3, v6, 1.0
	v_fmac_f32_e32 v6, v7, v6
	v_mul_f32_e32 v7, v4, v6
	v_fma_f32 v8, -v3, v7, v4
	v_fmac_f32_e32 v7, v8, v6
	v_fma_f32 v3, -v3, v7, v4
	v_div_fmas_f32 v3, v3, v6, v7
	v_div_fixup_f32 v2, v3, v2, v1
	v_mul_f32_e32 v2, v0, v2
.LBB145_49:
	s_branch .LBB145_51
.LBB145_50:
	s_cmp_lg_u32 s14, 1
	s_mov_b64 s[0:1], -1
	s_cselect_b64 s[2:3], -1, 0
.LBB145_51:
	s_andn2_b64 vcc, exec, s[2:3]
	s_cbranch_vccz .LBB145_53
; %bb.52:
	s_andn2_b64 vcc, exec, s[0:1]
	s_cbranch_vccz .LBB145_54
	s_branch .LBB145_59
.LBB145_53:
	v_mul_f32_e32 v2, v1, v0
	s_cbranch_execnz .LBB145_59
.LBB145_54:
	v_mul_f32_e32 v3, 0x3d372713, v1
	v_mul_f32_e32 v2, 0x3f4c422a, v1
	v_fma_f32 v3, v1, v3, 1.0
	v_mul_f32_e32 v2, v2, v3
	s_mov_b32 s0, 0x3f200000
	v_cmp_nlt_f32_e64 s[0:1], |v2|, s0
                                        ; implicit-def: $vgpr3
	s_and_saveexec_b64 s[2:3], s[0:1]
	s_xor_b64 s[0:1], exec, s[2:3]
	s_cbranch_execz .LBB145_56
; %bb.55:
	v_add_f32_e64 v3, |v2|, |v2|
	v_mul_f32_e32 v4, 0x3fb8aa3b, v3
	s_mov_b32 s2, 0x3fb8aa3b
	v_rndne_f32_e32 v6, v4
	v_sub_f32_e32 v7, v4, v6
	v_fma_f32 v4, v3, s2, -v4
	v_fmac_f32_e32 v4, 0x32a5705f, v3
	v_add_f32_e32 v4, v7, v4
	v_exp_f32_e32 v4, v4
	v_cvt_i32_f32_e32 v6, v6
	s_mov_b32 s2, 0xc2ce8ed0
	v_cmp_ngt_f32_e32 vcc, s2, v3
	s_mov_b32 s2, 0x42b17218
	v_ldexp_f32 v4, v4, v6
	v_cndmask_b32_e32 v4, 0, v4, vcc
	v_mov_b32_e32 v6, 0x7f800000
	v_cmp_nlt_f32_e32 vcc, s2, v3
	v_cndmask_b32_e32 v3, v6, v4, vcc
	v_add_f32_e32 v3, 1.0, v3
	v_rcp_f32_e32 v3, v3
	v_fma_f32 v3, v3, -2.0, 1.0
.LBB145_56:
	s_andn2_saveexec_b64 s[0:1], s[0:1]
	s_cbranch_execz .LBB145_58
; %bb.57:
	v_mul_f32_e32 v3, v2, v2
	v_mov_b32_e32 v4, 0x3ca908c9
	v_fmac_f32_e32 v4, 0xbbbac73d, v3
	v_mov_b32_e32 v6, 0xbd5c1c4e
	v_fmac_f32_e32 v6, v3, v4
	;; [unrolled: 2-line block ×4, first 2 shown]
	v_mul_f32_e64 v4, |v2|, v6
	v_fma_f32 v3, v3, v4, |v2|
.LBB145_58:
	s_or_b64 exec, exec, s[0:1]
	s_brev_b32 s0, -2
	v_bfi_b32 v2, s0, v3, v2
	v_mul_f32_e32 v1, 0.5, v1
	v_add_f32_e32 v2, 1.0, v2
	v_mul_f32_e32 v1, v1, v2
	v_mul_f32_e32 v2, v0, v1
.LBB145_59:
	v_mov_b32_e32 v0, v2
.LBB145_60:
	s_load_dwordx2 s[0:1], s[4:5], 0x38
	s_mul_i32 s3, s22, s34
	s_mul_i32 s2, s26, s8
	s_add_i32 s3, s3, s16
	s_add_i32 s2, s3, s2
	s_mov_b32 s3, 0
	s_lshl_b64 s[2:3], s[2:3], 2
	s_waitcnt lgkmcnt(0)
	s_add_u32 s0, s0, s2
	s_addc_u32 s1, s1, s3
	global_store_dword v5, v0, s[0:1]
.LBB145_61:
	s_endpgm
	.section	.rodata,"a",@progbits
	.p2align	6, 0x0
	.amdhsa_kernel _ZL13mul_mat_vec_qIL9ggml_type14ELi1ELb1ELb1EEvPKvS2_PKi31ggml_cuda_mm_fusion_args_devicePfj15HIP_vector_typeIjLj3EEjjjS8_jjjS8_jjjj
		.amdhsa_group_segment_fixed_size 1024
		.amdhsa_private_segment_fixed_size 0
		.amdhsa_kernarg_size 144
		.amdhsa_user_sgpr_count 6
		.amdhsa_user_sgpr_private_segment_buffer 1
		.amdhsa_user_sgpr_dispatch_ptr 0
		.amdhsa_user_sgpr_queue_ptr 0
		.amdhsa_user_sgpr_kernarg_segment_ptr 1
		.amdhsa_user_sgpr_dispatch_id 0
		.amdhsa_user_sgpr_flat_scratch_init 0
		.amdhsa_user_sgpr_private_segment_size 0
		.amdhsa_uses_dynamic_stack 0
		.amdhsa_system_sgpr_private_segment_wavefront_offset 0
		.amdhsa_system_sgpr_workgroup_id_x 1
		.amdhsa_system_sgpr_workgroup_id_y 1
		.amdhsa_system_sgpr_workgroup_id_z 1
		.amdhsa_system_sgpr_workgroup_info 0
		.amdhsa_system_vgpr_workitem_id 1
		.amdhsa_next_free_vgpr 43
		.amdhsa_next_free_sgpr 44
		.amdhsa_reserve_vcc 1
		.amdhsa_reserve_flat_scratch 0
		.amdhsa_float_round_mode_32 0
		.amdhsa_float_round_mode_16_64 0
		.amdhsa_float_denorm_mode_32 3
		.amdhsa_float_denorm_mode_16_64 3
		.amdhsa_dx10_clamp 1
		.amdhsa_ieee_mode 1
		.amdhsa_fp16_overflow 0
		.amdhsa_exception_fp_ieee_invalid_op 0
		.amdhsa_exception_fp_denorm_src 0
		.amdhsa_exception_fp_ieee_div_zero 0
		.amdhsa_exception_fp_ieee_overflow 0
		.amdhsa_exception_fp_ieee_underflow 0
		.amdhsa_exception_fp_ieee_inexact 0
		.amdhsa_exception_int_div_zero 0
	.end_amdhsa_kernel
	.section	.text._ZL13mul_mat_vec_qIL9ggml_type14ELi1ELb1ELb1EEvPKvS2_PKi31ggml_cuda_mm_fusion_args_devicePfj15HIP_vector_typeIjLj3EEjjjS8_jjjS8_jjjj,"axG",@progbits,_ZL13mul_mat_vec_qIL9ggml_type14ELi1ELb1ELb1EEvPKvS2_PKi31ggml_cuda_mm_fusion_args_devicePfj15HIP_vector_typeIjLj3EEjjjS8_jjjS8_jjjj,comdat
.Lfunc_end145:
	.size	_ZL13mul_mat_vec_qIL9ggml_type14ELi1ELb1ELb1EEvPKvS2_PKi31ggml_cuda_mm_fusion_args_devicePfj15HIP_vector_typeIjLj3EEjjjS8_jjjS8_jjjj, .Lfunc_end145-_ZL13mul_mat_vec_qIL9ggml_type14ELi1ELb1ELb1EEvPKvS2_PKi31ggml_cuda_mm_fusion_args_devicePfj15HIP_vector_typeIjLj3EEjjjS8_jjjS8_jjjj
                                        ; -- End function
	.set _ZL13mul_mat_vec_qIL9ggml_type14ELi1ELb1ELb1EEvPKvS2_PKi31ggml_cuda_mm_fusion_args_devicePfj15HIP_vector_typeIjLj3EEjjjS8_jjjS8_jjjj.num_vgpr, 43
	.set _ZL13mul_mat_vec_qIL9ggml_type14ELi1ELb1ELb1EEvPKvS2_PKi31ggml_cuda_mm_fusion_args_devicePfj15HIP_vector_typeIjLj3EEjjjS8_jjjS8_jjjj.num_agpr, 0
	.set _ZL13mul_mat_vec_qIL9ggml_type14ELi1ELb1ELb1EEvPKvS2_PKi31ggml_cuda_mm_fusion_args_devicePfj15HIP_vector_typeIjLj3EEjjjS8_jjjS8_jjjj.numbered_sgpr, 44
	.set _ZL13mul_mat_vec_qIL9ggml_type14ELi1ELb1ELb1EEvPKvS2_PKi31ggml_cuda_mm_fusion_args_devicePfj15HIP_vector_typeIjLj3EEjjjS8_jjjS8_jjjj.num_named_barrier, 0
	.set _ZL13mul_mat_vec_qIL9ggml_type14ELi1ELb1ELb1EEvPKvS2_PKi31ggml_cuda_mm_fusion_args_devicePfj15HIP_vector_typeIjLj3EEjjjS8_jjjS8_jjjj.private_seg_size, 0
	.set _ZL13mul_mat_vec_qIL9ggml_type14ELi1ELb1ELb1EEvPKvS2_PKi31ggml_cuda_mm_fusion_args_devicePfj15HIP_vector_typeIjLj3EEjjjS8_jjjS8_jjjj.uses_vcc, 1
	.set _ZL13mul_mat_vec_qIL9ggml_type14ELi1ELb1ELb1EEvPKvS2_PKi31ggml_cuda_mm_fusion_args_devicePfj15HIP_vector_typeIjLj3EEjjjS8_jjjS8_jjjj.uses_flat_scratch, 0
	.set _ZL13mul_mat_vec_qIL9ggml_type14ELi1ELb1ELb1EEvPKvS2_PKi31ggml_cuda_mm_fusion_args_devicePfj15HIP_vector_typeIjLj3EEjjjS8_jjjS8_jjjj.has_dyn_sized_stack, 0
	.set _ZL13mul_mat_vec_qIL9ggml_type14ELi1ELb1ELb1EEvPKvS2_PKi31ggml_cuda_mm_fusion_args_devicePfj15HIP_vector_typeIjLj3EEjjjS8_jjjS8_jjjj.has_recursion, 0
	.set _ZL13mul_mat_vec_qIL9ggml_type14ELi1ELb1ELb1EEvPKvS2_PKi31ggml_cuda_mm_fusion_args_devicePfj15HIP_vector_typeIjLj3EEjjjS8_jjjS8_jjjj.has_indirect_call, 0
	.section	.AMDGPU.csdata,"",@progbits
; Kernel info:
; codeLenInByte = 4092
; TotalNumSgprs: 48
; NumVgprs: 43
; ScratchSize: 0
; MemoryBound: 0
; FloatMode: 240
; IeeeMode: 1
; LDSByteSize: 1024 bytes/workgroup (compile time only)
; SGPRBlocks: 5
; VGPRBlocks: 10
; NumSGPRsForWavesPerEU: 48
; NumVGPRsForWavesPerEU: 43
; Occupancy: 5
; WaveLimiterHint : 0
; COMPUTE_PGM_RSRC2:SCRATCH_EN: 0
; COMPUTE_PGM_RSRC2:USER_SGPR: 6
; COMPUTE_PGM_RSRC2:TRAP_HANDLER: 0
; COMPUTE_PGM_RSRC2:TGID_X_EN: 1
; COMPUTE_PGM_RSRC2:TGID_Y_EN: 1
; COMPUTE_PGM_RSRC2:TGID_Z_EN: 1
; COMPUTE_PGM_RSRC2:TIDIG_COMP_CNT: 1
	.section	.text._ZL13mul_mat_vec_qIL9ggml_type14ELi1ELb0ELb1EEvPKvS2_PKi31ggml_cuda_mm_fusion_args_devicePfj15HIP_vector_typeIjLj3EEjjjS8_jjjS8_jjjj,"axG",@progbits,_ZL13mul_mat_vec_qIL9ggml_type14ELi1ELb0ELb1EEvPKvS2_PKi31ggml_cuda_mm_fusion_args_devicePfj15HIP_vector_typeIjLj3EEjjjS8_jjjS8_jjjj,comdat
	.globl	_ZL13mul_mat_vec_qIL9ggml_type14ELi1ELb0ELb1EEvPKvS2_PKi31ggml_cuda_mm_fusion_args_devicePfj15HIP_vector_typeIjLj3EEjjjS8_jjjS8_jjjj ; -- Begin function _ZL13mul_mat_vec_qIL9ggml_type14ELi1ELb0ELb1EEvPKvS2_PKi31ggml_cuda_mm_fusion_args_devicePfj15HIP_vector_typeIjLj3EEjjjS8_jjjS8_jjjj
	.p2align	8
	.type	_ZL13mul_mat_vec_qIL9ggml_type14ELi1ELb0ELb1EEvPKvS2_PKi31ggml_cuda_mm_fusion_args_devicePfj15HIP_vector_typeIjLj3EEjjjS8_jjjS8_jjjj,@function
_ZL13mul_mat_vec_qIL9ggml_type14ELi1ELb0ELb1EEvPKvS2_PKi31ggml_cuda_mm_fusion_args_devicePfj15HIP_vector_typeIjLj3EEjjjS8_jjjS8_jjjj: ; @_ZL13mul_mat_vec_qIL9ggml_type14ELi1ELb0ELb1EEvPKvS2_PKi31ggml_cuda_mm_fusion_args_devicePfj15HIP_vector_typeIjLj3EEjjjS8_jjjS8_jjjj
; %bb.0:
	s_load_dwordx2 s[0:1], s[4:5], 0x10
	s_load_dwordx4 s[16:19], s[4:5], 0x40
	s_mov_b32 s10, s7
	s_mov_b64 s[14:15], 0
	s_waitcnt lgkmcnt(0)
	s_cmp_lg_u64 s[0:1], 0
	s_cselect_b64 s[12:13], -1, 0
	s_cmp_eq_u64 s[0:1], 0
	s_cbranch_scc1 .LBB146_5
; %bb.1:
	s_mov_b32 s11, 0
	s_lshl_b64 s[2:3], s[10:11], 2
	s_add_u32 s0, s0, s2
	s_addc_u32 s1, s1, s3
	s_load_dword s21, s[0:1], 0x0
	s_nop 0
	s_load_dwordx4 s[0:3], s[4:5], 0x68
	s_load_dword s20, s[4:5], 0x50
	s_andn2_b64 vcc, exec, s[14:15]
	s_cbranch_vccnz .LBB146_3
.LBB146_2:
	s_load_dwordx2 s[14:15], s[4:5], 0x5c
	s_waitcnt lgkmcnt(0)
	s_mul_hi_u32 s7, s14, s10
	s_add_i32 s7, s10, s7
	s_lshr_b32 s21, s7, s15
.LBB146_3:
	s_load_dword s22, s[4:5], 0x78
	s_andn2_b64 vcc, exec, s[12:13]
	s_cbranch_vccnz .LBB146_6
; %bb.4:
	s_mul_hi_u32 s7, s17, s10
	s_add_i32 s7, s10, s7
	s_lshr_b32 s7, s7, s18
	s_mul_i32 s7, s7, s19
	s_sub_i32 s23, s10, s7
	s_branch .LBB146_7
.LBB146_5:
                                        ; implicit-def: $sgpr21
	s_load_dwordx4 s[0:3], s[4:5], 0x68
	s_load_dword s20, s[4:5], 0x50
	s_branch .LBB146_2
.LBB146_6:
	s_mov_b32 s23, s10
.LBB146_7:
	s_load_dwordx4 s[12:15], s[4:5], 0x80
	v_lshl_add_u32 v2, v1, 6, v0
	s_lshr_b32 s11, s16, 8
	v_lshrrev_b32_e32 v8, 5, v2
	s_lshl_b32 s9, s6, 1
	v_cmp_gt_u32_e32 vcc, s11, v8
	v_mov_b32_e32 v7, 0
	v_mov_b32_e32 v6, 0
	s_and_saveexec_b64 s[6:7], vcc
	s_cbranch_execz .LBB146_11
; %bb.8:
	s_waitcnt lgkmcnt(0)
	s_mul_hi_u32 s3, s3, s8
	s_add_i32 s3, s8, s3
	s_lshr_b32 s3, s3, s22
	v_and_b32_e32 v5, 15, v0
	s_mul_i32 s0, s21, s0
	s_mul_i32 s3, s3, s12
	s_mul_i32 s1, s23, s1
	v_and_b32_e32 v3, 31, v0
	v_bfe_u32 v4, v0, 4, 1
	v_lshrrev_b16_e32 v7, 3, v5
	s_mul_i32 s12, s13, s8
	s_add_i32 s13, s0, s3
	v_lshl_or_b32 v11, v4, 2, v7
	v_lshlrev_b32_e32 v12, 1, v3
	v_lshlrev_b32_e32 v3, 3, v4
	v_and_b32_e32 v4, 7, v0
	v_lshrrev_b16_e32 v5, 2, v5
	s_mul_hi_u32 s0, s1, 36
	s_mul_i32 s1, s1, 36
	v_or_b32_e32 v9, v3, v4
	v_or_b32_e32 v10, v3, v5
	v_lshrrev_b32_e32 v5, 5, v2
	v_mov_b32_e32 v2, s1
	v_mov_b32_e32 v3, s0
	s_movk_i32 s0, 0x120
	v_mad_u64_u32 v[2:3], s[0:1], v5, s0, v[2:3]
	s_load_dwordx4 s[16:19], s[4:5], 0x0
	s_add_i32 s15, s9, 1
	v_mad_u64_u32 v[2:3], s[0:1], s12, 36, v[2:3]
	v_lshlrev_b32_e32 v13, 1, v9
	s_mul_i32 s3, s9, s20
	v_mad_u64_u32 v[2:3], s[0:1], v11, 36, v[2:3]
	v_lshlrev_b32_e32 v11, 2, v4
	s_waitcnt lgkmcnt(0)
	v_mov_b32_e32 v4, s19
	v_add_co_u32_e32 v2, vcc, s18, v2
	s_mul_i32 s20, s20, s15
	v_addc_co_u32_e32 v3, vcc, v4, v3, vcc
	v_mov_b32_e32 v4, s16
	v_mov_b32_e32 v6, 0
	v_lshlrev_b32_e32 v9, 1, v7
	s_add_i32 s3, s13, s3
	s_add_i32 s12, s13, s20
	s_mov_b64 s[0:1], 0
	s_movk_i32 s13, 0xd2
	v_lshlrev_b32_e32 v12, 1, v12
	v_lshlrev_b32_e32 v13, 1, v13
	s_mov_b32 s15, 0x30303030
	s_movk_i32 s18, 0x3f00
	s_movk_i32 s19, 0xe000
	v_mov_b32_e32 v5, s17
	v_mov_b32_e32 v14, 8
	;; [unrolled: 1-line block ×3, first 2 shown]
.LBB146_9:                              ; =>This Inner Loop Header: Depth=1
	v_add_co_u32_e32 v15, vcc, v2, v11
	v_addc_co_u32_e32 v16, vcc, 0, v3, vcc
	global_load_dword v19, v[15:16], off offset:4
	global_load_dword v20, v[2:3], off
	global_load_dword v21, v[15:16], off offset:76
	global_load_dword v22, v[2:3], off offset:72
	v_add_u32_e32 v15, s3, v8
	v_mad_i64_i32 v[15:16], s[16:17], v15, s13, v[4:5]
	v_add_co_u32_e32 v17, vcc, v15, v12
	v_addc_co_u32_e32 v18, vcc, 0, v16, vcc
	global_load_dword v23, v[17:18], off
	v_add_co_u32_e32 v17, vcc, v15, v13
	v_addc_co_u32_e32 v18, vcc, 0, v16, vcc
	global_load_dword v17, v[17:18], off offset:128
	s_waitcnt vmcnt(0)
	v_ashrrev_i32_e32 v24, v9, v17
	v_add_co_u32_e32 v17, vcc, v15, v10
	v_addc_co_u32_e32 v18, vcc, 0, v16, vcc
	global_load_ushort v25, v[15:16], off offset:208
	global_load_sbyte v26, v[17:18], off offset:192
	v_and_b32_e32 v15, 0xf0f0f0f, v23
	v_lshlrev_b32_e32 v16, 4, v24
	v_and_or_b32 v15, v16, s15, v15
	v_lshlrev_b16_e32 v27, 8, v15
	v_and_b32_e32 v16, 0x3f00, v15
	v_add_u16_e32 v27, 0xe000, v27
	v_or_b32_sdwa v16, v16, v27 dst_sel:DWORD dst_unused:UNUSED_PAD src0_sel:DWORD src1_sel:BYTE_1
	v_and_b32_sdwa v27, v15, s18 dst_sel:DWORD dst_unused:UNUSED_PAD src0_sel:WORD_1 src1_sel:DWORD
	v_lshlrev_b16_sdwa v15, v14, v15 dst_sel:DWORD dst_unused:UNUSED_PAD src0_sel:DWORD src1_sel:WORD_1
	v_add_u16_e32 v15, 0xe000, v15
	v_or_b32_sdwa v15, v27, v15 dst_sel:DWORD dst_unused:UNUSED_PAD src0_sel:DWORD src1_sel:BYTE_1
	v_add_u16_e32 v16, 0xe000, v16
	v_add_u16_sdwa v15, v15, s19 dst_sel:WORD_1 dst_unused:UNUSED_PAD src0_sel:DWORD src1_sel:DWORD
	v_or_b32_e32 v15, v16, v15
	global_load_sbyte v16, v[17:18], off offset:196
	v_lshrrev_b32_e32 v17, 4, v23
	v_and_b32_e32 v17, 0xf0f0f0f, v17
	v_and_or_b32 v17, v24, s15, v17
	v_lshlrev_b16_e32 v23, 8, v17
	v_and_b32_e32 v18, 0x3f00, v17
	v_add_u16_e32 v23, 0xe000, v23
	v_or_b32_sdwa v18, v18, v23 dst_sel:DWORD dst_unused:UNUSED_PAD src0_sel:DWORD src1_sel:BYTE_1
	v_and_b32_sdwa v23, v17, s18 dst_sel:DWORD dst_unused:UNUSED_PAD src0_sel:WORD_1 src1_sel:DWORD
	v_lshlrev_b16_sdwa v17, v14, v17 dst_sel:DWORD dst_unused:UNUSED_PAD src0_sel:DWORD src1_sel:WORD_1
	v_add_u16_e32 v17, 0xe000, v17
	v_or_b32_sdwa v17, v23, v17 dst_sel:DWORD dst_unused:UNUSED_PAD src0_sel:DWORD src1_sel:BYTE_1
	v_add_u16_e32 v18, 0xe000, v18
	v_add_u16_sdwa v17, v17, s19 dst_sel:WORD_1 dst_unused:UNUSED_PAD src0_sel:DWORD src1_sel:DWORD
	v_dot4_i32_i8 v15, v15, v19, 0
	v_or_b32_e32 v17, v18, v17
	v_dot4_i32_i8 v17, v17, v21, 0
	s_waitcnt vmcnt(1)
	v_mul_lo_u32 v15, v15, v26
	v_cvt_f32_i32_e32 v15, v15
	v_fma_mix_f32 v15, v20, v15, 0 op_sel_hi:[1,0,0]
	s_waitcnt vmcnt(0)
	v_mul_lo_u32 v16, v17, v16
	v_cvt_f32_i32_e32 v16, v16
	v_fma_mix_f32 v15, v22, v16, v15 op_sel_hi:[1,0,0]
	v_fma_mix_f32 v6, v15, v25, v6 op_sel_hi:[0,1,0]
	v_add_u32_e32 v15, s12, v8
	v_mad_i64_i32 v[15:16], s[16:17], v15, s13, v[4:5]
	v_add_u32_e32 v8, 4, v8
	v_add_co_u32_e32 v17, vcc, v15, v12
	v_addc_co_u32_e32 v18, vcc, 0, v16, vcc
	global_load_dword v23, v[17:18], off
	v_add_co_u32_e32 v17, vcc, v15, v13
	v_addc_co_u32_e32 v18, vcc, 0, v16, vcc
	global_load_dword v17, v[17:18], off offset:128
	s_waitcnt vmcnt(0)
	v_ashrrev_i32_e32 v24, v9, v17
	v_add_co_u32_e32 v17, vcc, v15, v10
	v_addc_co_u32_e32 v18, vcc, 0, v16, vcc
	global_load_ushort v25, v[15:16], off offset:208
	global_load_sbyte v26, v[17:18], off offset:192
	v_and_b32_e32 v15, 0xf0f0f0f, v23
	v_lshlrev_b32_e32 v16, 4, v24
	v_and_or_b32 v15, v16, s15, v15
	v_lshlrev_b16_e32 v27, 8, v15
	v_and_b32_e32 v16, 0x3f00, v15
	v_add_u16_e32 v27, 0xe000, v27
	v_or_b32_sdwa v16, v16, v27 dst_sel:DWORD dst_unused:UNUSED_PAD src0_sel:DWORD src1_sel:BYTE_1
	v_and_b32_sdwa v27, v15, s18 dst_sel:DWORD dst_unused:UNUSED_PAD src0_sel:WORD_1 src1_sel:DWORD
	v_lshlrev_b16_sdwa v15, v14, v15 dst_sel:DWORD dst_unused:UNUSED_PAD src0_sel:DWORD src1_sel:WORD_1
	v_add_u16_e32 v15, 0xe000, v15
	v_or_b32_sdwa v15, v27, v15 dst_sel:DWORD dst_unused:UNUSED_PAD src0_sel:DWORD src1_sel:BYTE_1
	v_add_u16_e32 v16, 0xe000, v16
	v_add_u16_sdwa v15, v15, s19 dst_sel:WORD_1 dst_unused:UNUSED_PAD src0_sel:DWORD src1_sel:DWORD
	v_or_b32_e32 v15, v16, v15
	global_load_sbyte v16, v[17:18], off offset:196
	v_lshrrev_b32_e32 v17, 4, v23
	v_and_b32_e32 v17, 0xf0f0f0f, v17
	v_and_or_b32 v17, v24, s15, v17
	v_dot4_i32_i8 v15, v15, v19, 0
	v_lshlrev_b16_e32 v19, 8, v17
	v_and_b32_e32 v18, 0x3f00, v17
	v_add_u16_e32 v19, 0xe000, v19
	v_or_b32_sdwa v18, v18, v19 dst_sel:DWORD dst_unused:UNUSED_PAD src0_sel:DWORD src1_sel:BYTE_1
	v_and_b32_sdwa v19, v17, s18 dst_sel:DWORD dst_unused:UNUSED_PAD src0_sel:WORD_1 src1_sel:DWORD
	v_lshlrev_b16_sdwa v17, v14, v17 dst_sel:DWORD dst_unused:UNUSED_PAD src0_sel:DWORD src1_sel:WORD_1
	v_add_u16_e32 v17, 0xe000, v17
	v_or_b32_sdwa v17, v19, v17 dst_sel:DWORD dst_unused:UNUSED_PAD src0_sel:DWORD src1_sel:BYTE_1
	v_add_u16_e32 v18, 0xe000, v18
	v_add_u16_sdwa v17, v17, s19 dst_sel:WORD_1 dst_unused:UNUSED_PAD src0_sel:DWORD src1_sel:DWORD
	v_or_b32_e32 v17, v18, v17
	v_dot4_i32_i8 v17, v17, v21, 0
	v_add_co_u32_e32 v2, vcc, 0x480, v2
	v_addc_co_u32_e32 v3, vcc, 0, v3, vcc
	v_cmp_le_u32_e32 vcc, s11, v8
	s_or_b64 s[0:1], vcc, s[0:1]
	s_waitcnt vmcnt(1)
	v_mul_lo_u32 v15, v15, v26
	v_cvt_f32_i32_e32 v15, v15
	v_fma_mix_f32 v15, v20, v15, 0 op_sel_hi:[1,0,0]
	s_waitcnt vmcnt(0)
	v_mul_lo_u32 v16, v17, v16
	v_cvt_f32_i32_e32 v16, v16
	v_fma_mix_f32 v15, v22, v16, v15 op_sel_hi:[1,0,0]
	v_fma_mix_f32 v7, v15, v25, v7 op_sel_hi:[0,1,0]
	s_andn2_b64 exec, exec, s[0:1]
	s_cbranch_execnz .LBB146_9
; %bb.10:
	s_or_b64 exec, exec, s[0:1]
.LBB146_11:
	s_or_b64 exec, exec, s[6:7]
	v_cmp_eq_u32_e32 vcc, 0, v1
	s_waitcnt lgkmcnt(0)
	v_cmp_ne_u32_e64 s[0:1], 0, v1
	v_lshlrev_b32_e32 v2, 2, v0
	s_and_saveexec_b64 s[6:7], s[0:1]
; %bb.12:
	v_lshl_or_b32 v1, v1, 9, v2
	v_add_u32_e32 v1, 0xfffffe00, v1
	ds_write2st64_b32 v1, v6, v7 offset1:1
; %bb.13:
	s_or_b64 exec, exec, s[6:7]
	s_waitcnt lgkmcnt(0)
	s_barrier
	s_and_saveexec_b64 s[0:1], vcc
	s_cbranch_execz .LBB146_16
; %bb.14:
	v_mbcnt_lo_u32_b32 v1, -1, 0
	v_mbcnt_hi_u32_b32 v1, -1, v1
	v_and_b32_e32 v3, 64, v1
	v_add_u32_e32 v5, 64, v3
	v_xor_b32_e32 v3, 32, v1
	v_cmp_lt_i32_e32 vcc, v3, v5
	v_cndmask_b32_e32 v3, v1, v3, vcc
	v_lshlrev_b32_e32 v8, 2, v3
	v_xor_b32_e32 v3, 16, v1
	v_cmp_lt_i32_e32 vcc, v3, v5
	v_cndmask_b32_e32 v3, v1, v3, vcc
	v_lshlrev_b32_e32 v9, 2, v3
	ds_read2st64_b32 v[3:4], v2 offset1:1
	v_xor_b32_e32 v10, 8, v1
	v_cmp_lt_i32_e32 vcc, v10, v5
	v_cndmask_b32_e32 v10, v1, v10, vcc
	v_lshlrev_b32_e32 v10, 2, v10
	s_waitcnt lgkmcnt(0)
	v_add_f32_e32 v3, v6, v3
	v_add_f32_e32 v4, v7, v4
	ds_bpermute_b32 v6, v8, v3
	ds_bpermute_b32 v7, v8, v4
	v_xor_b32_e32 v11, 4, v1
	v_cmp_lt_i32_e32 vcc, v11, v5
	v_cndmask_b32_e32 v8, v1, v11, vcc
	s_waitcnt lgkmcnt(1)
	v_add_f32_e32 v3, v3, v6
	s_waitcnt lgkmcnt(0)
	v_add_f32_e32 v4, v4, v7
	ds_bpermute_b32 v6, v9, v3
	ds_bpermute_b32 v7, v9, v4
	v_lshlrev_b32_e32 v8, 2, v8
	v_xor_b32_e32 v9, 2, v1
	v_cmp_lt_i32_e32 vcc, v9, v5
	s_waitcnt lgkmcnt(1)
	v_add_f32_e32 v3, v3, v6
	s_waitcnt lgkmcnt(0)
	v_add_f32_e32 v4, v4, v7
	ds_bpermute_b32 v6, v10, v3
	ds_bpermute_b32 v7, v10, v4
	v_cndmask_b32_e32 v9, v1, v9, vcc
	s_load_dword s0, s[4:5], 0x58
	s_mov_b32 s3, 0
	s_waitcnt lgkmcnt(0)
	v_add_f32_e32 v3, v3, v6
	v_add_f32_e32 v4, v4, v7
	ds_bpermute_b32 v6, v8, v3
	ds_bpermute_b32 v7, v8, v4
	v_lshlrev_b32_e32 v8, 2, v9
	v_xor_b32_e32 v9, 1, v1
	v_cmp_lt_i32_e32 vcc, v9, v5
	s_waitcnt lgkmcnt(1)
	v_add_f32_e32 v3, v3, v6
	s_waitcnt lgkmcnt(0)
	v_add_f32_e32 v4, v4, v7
	ds_bpermute_b32 v6, v8, v3
	ds_bpermute_b32 v7, v8, v4
	v_cndmask_b32_e32 v1, v1, v9, vcc
	v_lshlrev_b32_e32 v5, 2, v1
	s_waitcnt lgkmcnt(1)
	v_add_f32_e32 v1, v3, v6
	s_waitcnt lgkmcnt(0)
	v_add_f32_e32 v4, v4, v7
	ds_bpermute_b32 v3, v5, v1
	ds_bpermute_b32 v5, v5, v4
	v_or_b32_e32 v6, s9, v0
	v_cmp_gt_u32_e32 vcc, s0, v6
	v_cmp_gt_u32_e64 s[0:1], 2, v0
	s_and_b64 s[0:1], s[0:1], vcc
	s_and_b64 exec, exec, s[0:1]
	s_cbranch_execz .LBB146_16
; %bb.15:
	s_load_dwordx2 s[0:1], s[4:5], 0x38
	s_mul_i32 s2, s2, s10
	s_add_i32 s2, s2, s9
	s_mul_i32 s4, s14, s8
	s_add_i32 s2, s2, s4
	s_lshl_b64 s[2:3], s[2:3], 2
	s_waitcnt lgkmcnt(0)
	s_add_u32 s0, s0, s2
	v_add_f32_e32 v4, v4, v5
	v_add_f32_e32 v1, v1, v3
	v_cmp_eq_u32_e32 vcc, 1, v0
	s_addc_u32 s1, s1, s3
	v_cndmask_b32_e32 v0, v1, v4, vcc
	global_store_dword v2, v0, s[0:1]
.LBB146_16:
	s_endpgm
	.section	.rodata,"a",@progbits
	.p2align	6, 0x0
	.amdhsa_kernel _ZL13mul_mat_vec_qIL9ggml_type14ELi1ELb0ELb1EEvPKvS2_PKi31ggml_cuda_mm_fusion_args_devicePfj15HIP_vector_typeIjLj3EEjjjS8_jjjS8_jjjj
		.amdhsa_group_segment_fixed_size 512
		.amdhsa_private_segment_fixed_size 0
		.amdhsa_kernarg_size 144
		.amdhsa_user_sgpr_count 6
		.amdhsa_user_sgpr_private_segment_buffer 1
		.amdhsa_user_sgpr_dispatch_ptr 0
		.amdhsa_user_sgpr_queue_ptr 0
		.amdhsa_user_sgpr_kernarg_segment_ptr 1
		.amdhsa_user_sgpr_dispatch_id 0
		.amdhsa_user_sgpr_flat_scratch_init 0
		.amdhsa_user_sgpr_private_segment_size 0
		.amdhsa_uses_dynamic_stack 0
		.amdhsa_system_sgpr_private_segment_wavefront_offset 0
		.amdhsa_system_sgpr_workgroup_id_x 1
		.amdhsa_system_sgpr_workgroup_id_y 1
		.amdhsa_system_sgpr_workgroup_id_z 1
		.amdhsa_system_sgpr_workgroup_info 0
		.amdhsa_system_vgpr_workitem_id 1
		.amdhsa_next_free_vgpr 28
		.amdhsa_next_free_sgpr 24
		.amdhsa_reserve_vcc 1
		.amdhsa_reserve_flat_scratch 0
		.amdhsa_float_round_mode_32 0
		.amdhsa_float_round_mode_16_64 0
		.amdhsa_float_denorm_mode_32 3
		.amdhsa_float_denorm_mode_16_64 3
		.amdhsa_dx10_clamp 1
		.amdhsa_ieee_mode 1
		.amdhsa_fp16_overflow 0
		.amdhsa_exception_fp_ieee_invalid_op 0
		.amdhsa_exception_fp_denorm_src 0
		.amdhsa_exception_fp_ieee_div_zero 0
		.amdhsa_exception_fp_ieee_overflow 0
		.amdhsa_exception_fp_ieee_underflow 0
		.amdhsa_exception_fp_ieee_inexact 0
		.amdhsa_exception_int_div_zero 0
	.end_amdhsa_kernel
	.section	.text._ZL13mul_mat_vec_qIL9ggml_type14ELi1ELb0ELb1EEvPKvS2_PKi31ggml_cuda_mm_fusion_args_devicePfj15HIP_vector_typeIjLj3EEjjjS8_jjjS8_jjjj,"axG",@progbits,_ZL13mul_mat_vec_qIL9ggml_type14ELi1ELb0ELb1EEvPKvS2_PKi31ggml_cuda_mm_fusion_args_devicePfj15HIP_vector_typeIjLj3EEjjjS8_jjjS8_jjjj,comdat
.Lfunc_end146:
	.size	_ZL13mul_mat_vec_qIL9ggml_type14ELi1ELb0ELb1EEvPKvS2_PKi31ggml_cuda_mm_fusion_args_devicePfj15HIP_vector_typeIjLj3EEjjjS8_jjjS8_jjjj, .Lfunc_end146-_ZL13mul_mat_vec_qIL9ggml_type14ELi1ELb0ELb1EEvPKvS2_PKi31ggml_cuda_mm_fusion_args_devicePfj15HIP_vector_typeIjLj3EEjjjS8_jjjS8_jjjj
                                        ; -- End function
	.set _ZL13mul_mat_vec_qIL9ggml_type14ELi1ELb0ELb1EEvPKvS2_PKi31ggml_cuda_mm_fusion_args_devicePfj15HIP_vector_typeIjLj3EEjjjS8_jjjS8_jjjj.num_vgpr, 28
	.set _ZL13mul_mat_vec_qIL9ggml_type14ELi1ELb0ELb1EEvPKvS2_PKi31ggml_cuda_mm_fusion_args_devicePfj15HIP_vector_typeIjLj3EEjjjS8_jjjS8_jjjj.num_agpr, 0
	.set _ZL13mul_mat_vec_qIL9ggml_type14ELi1ELb0ELb1EEvPKvS2_PKi31ggml_cuda_mm_fusion_args_devicePfj15HIP_vector_typeIjLj3EEjjjS8_jjjS8_jjjj.numbered_sgpr, 24
	.set _ZL13mul_mat_vec_qIL9ggml_type14ELi1ELb0ELb1EEvPKvS2_PKi31ggml_cuda_mm_fusion_args_devicePfj15HIP_vector_typeIjLj3EEjjjS8_jjjS8_jjjj.num_named_barrier, 0
	.set _ZL13mul_mat_vec_qIL9ggml_type14ELi1ELb0ELb1EEvPKvS2_PKi31ggml_cuda_mm_fusion_args_devicePfj15HIP_vector_typeIjLj3EEjjjS8_jjjS8_jjjj.private_seg_size, 0
	.set _ZL13mul_mat_vec_qIL9ggml_type14ELi1ELb0ELb1EEvPKvS2_PKi31ggml_cuda_mm_fusion_args_devicePfj15HIP_vector_typeIjLj3EEjjjS8_jjjS8_jjjj.uses_vcc, 1
	.set _ZL13mul_mat_vec_qIL9ggml_type14ELi1ELb0ELb1EEvPKvS2_PKi31ggml_cuda_mm_fusion_args_devicePfj15HIP_vector_typeIjLj3EEjjjS8_jjjS8_jjjj.uses_flat_scratch, 0
	.set _ZL13mul_mat_vec_qIL9ggml_type14ELi1ELb0ELb1EEvPKvS2_PKi31ggml_cuda_mm_fusion_args_devicePfj15HIP_vector_typeIjLj3EEjjjS8_jjjS8_jjjj.has_dyn_sized_stack, 0
	.set _ZL13mul_mat_vec_qIL9ggml_type14ELi1ELb0ELb1EEvPKvS2_PKi31ggml_cuda_mm_fusion_args_devicePfj15HIP_vector_typeIjLj3EEjjjS8_jjjS8_jjjj.has_recursion, 0
	.set _ZL13mul_mat_vec_qIL9ggml_type14ELi1ELb0ELb1EEvPKvS2_PKi31ggml_cuda_mm_fusion_args_devicePfj15HIP_vector_typeIjLj3EEjjjS8_jjjS8_jjjj.has_indirect_call, 0
	.section	.AMDGPU.csdata,"",@progbits
; Kernel info:
; codeLenInByte = 1756
; TotalNumSgprs: 28
; NumVgprs: 28
; ScratchSize: 0
; MemoryBound: 0
; FloatMode: 240
; IeeeMode: 1
; LDSByteSize: 512 bytes/workgroup (compile time only)
; SGPRBlocks: 3
; VGPRBlocks: 6
; NumSGPRsForWavesPerEU: 28
; NumVGPRsForWavesPerEU: 28
; Occupancy: 9
; WaveLimiterHint : 0
; COMPUTE_PGM_RSRC2:SCRATCH_EN: 0
; COMPUTE_PGM_RSRC2:USER_SGPR: 6
; COMPUTE_PGM_RSRC2:TRAP_HANDLER: 0
; COMPUTE_PGM_RSRC2:TGID_X_EN: 1
; COMPUTE_PGM_RSRC2:TGID_Y_EN: 1
; COMPUTE_PGM_RSRC2:TGID_Z_EN: 1
; COMPUTE_PGM_RSRC2:TIDIG_COMP_CNT: 1
	.section	.text._ZL13mul_mat_vec_qIL9ggml_type14ELi1ELb1ELb0EEvPKvS2_PKi31ggml_cuda_mm_fusion_args_devicePfj15HIP_vector_typeIjLj3EEjjjS8_jjjS8_jjjj,"axG",@progbits,_ZL13mul_mat_vec_qIL9ggml_type14ELi1ELb1ELb0EEvPKvS2_PKi31ggml_cuda_mm_fusion_args_devicePfj15HIP_vector_typeIjLj3EEjjjS8_jjjS8_jjjj,comdat
	.globl	_ZL13mul_mat_vec_qIL9ggml_type14ELi1ELb1ELb0EEvPKvS2_PKi31ggml_cuda_mm_fusion_args_devicePfj15HIP_vector_typeIjLj3EEjjjS8_jjjS8_jjjj ; -- Begin function _ZL13mul_mat_vec_qIL9ggml_type14ELi1ELb1ELb0EEvPKvS2_PKi31ggml_cuda_mm_fusion_args_devicePfj15HIP_vector_typeIjLj3EEjjjS8_jjjS8_jjjj
	.p2align	8
	.type	_ZL13mul_mat_vec_qIL9ggml_type14ELi1ELb1ELb0EEvPKvS2_PKi31ggml_cuda_mm_fusion_args_devicePfj15HIP_vector_typeIjLj3EEjjjS8_jjjS8_jjjj,@function
_ZL13mul_mat_vec_qIL9ggml_type14ELi1ELb1ELb0EEvPKvS2_PKi31ggml_cuda_mm_fusion_args_devicePfj15HIP_vector_typeIjLj3EEjjjS8_jjjS8_jjjj: ; @_ZL13mul_mat_vec_qIL9ggml_type14ELi1ELb1ELb0EEvPKvS2_PKi31ggml_cuda_mm_fusion_args_devicePfj15HIP_vector_typeIjLj3EEjjjS8_jjjS8_jjjj
; %bb.0:
	s_load_dwordx8 s[12:19], s[4:5], 0x0
	s_load_dwordx4 s[28:31], s[4:5], 0x20
	s_load_dwordx4 s[36:39], s[4:5], 0x40
	;; [unrolled: 1-line block ×3, first 2 shown]
	s_mov_b32 s34, s7
	s_waitcnt lgkmcnt(0)
	s_cmp_lg_u64 s[16:17], 0
	s_cselect_b64 s[0:1], -1, 0
	s_cmp_eq_u64 s[16:17], 0
	s_mov_b64 s[2:3], 0
	s_cbranch_scc1 .LBB147_5
; %bb.1:
	s_mov_b32 s35, 0
	s_lshl_b64 s[10:11], s[34:35], 2
	s_add_u32 s10, s16, s10
	s_addc_u32 s11, s17, s11
	s_load_dword s9, s[10:11], 0x0
	s_load_dword s33, s[4:5], 0x50
	;; [unrolled: 1-line block ×3, first 2 shown]
	s_andn2_b64 vcc, exec, s[2:3]
	s_cbranch_vccnz .LBB147_3
.LBB147_2:
	s_load_dwordx2 s[2:3], s[4:5], 0x5c
	s_waitcnt lgkmcnt(0)
	s_mul_hi_u32 s2, s2, s34
	s_add_i32 s2, s34, s2
	s_lshr_b32 s9, s2, s3
.LBB147_3:
	s_andn2_b64 vcc, exec, s[0:1]
	s_cbranch_vccnz .LBB147_6
; %bb.4:
	s_mul_hi_u32 s0, s37, s34
	s_add_i32 s0, s34, s0
	s_lshr_b32 s0, s0, s38
	s_mul_i32 s0, s0, s39
	s_sub_i32 s37, s34, s0
	s_waitcnt lgkmcnt(0)
	s_mov_b32 s2, s9
	s_branch .LBB147_7
.LBB147_5:
                                        ; implicit-def: $sgpr9
	s_load_dword s33, s[4:5], 0x50
	s_load_dword s35, s[4:5], 0x78
	s_branch .LBB147_2
.LBB147_6:
	s_mov_b32 s2, s34
	s_mov_b32 s37, s34
.LBB147_7:
	s_load_dwordx4 s[24:27], s[4:5], 0x80
	s_cmp_lg_u64 s[18:19], 0
	v_or_b32_e32 v2, v0, v1
	s_cselect_b64 s[0:1], -1, 0
	v_cmp_eq_u32_e32 vcc, 0, v2
	s_mov_b32 s17, 0
	s_and_b64 s[38:39], s[0:1], vcc
	v_mov_b32_e32 v7, 0
	s_mul_i32 s10, s2, s22
	v_lshlrev_b32_e32 v6, 2, v0
	v_mov_b32_e32 v8, 0
	s_and_saveexec_b64 s[2:3], s[38:39]
	s_cbranch_execz .LBB147_9
; %bb.8:
	s_waitcnt lgkmcnt(0)
	s_mul_i32 s16, s26, s8
	s_lshl_b64 s[38:39], s[16:17], 2
	s_add_u32 s7, s18, s38
	s_mov_b32 s11, s17
	s_addc_u32 s18, s19, s39
	s_lshl_b64 s[16:17], s[10:11], 2
	s_add_u32 s11, s7, s16
	s_addc_u32 s18, s18, s17
	s_ashr_i32 s7, s6, 31
	s_lshl_b64 s[16:17], s[6:7], 2
	s_add_u32 s16, s11, s16
	s_addc_u32 s17, s18, s17
	global_load_dword v8, v6, s[16:17]
.LBB147_9:
	s_or_b64 exec, exec, s[2:3]
	s_cmp_lg_u64 s[28:29], 0
	s_cselect_b64 s[16:17], -1, 0
	s_cmp_lg_u64 s[30:31], 0
	s_cselect_b64 s[2:3], -1, 0
	s_and_b64 s[18:19], s[2:3], s[16:17]
	s_and_b64 s[38:39], s[18:19], vcc
	s_and_saveexec_b64 s[18:19], s[38:39]
	s_cbranch_execz .LBB147_11
; %bb.10:
	s_waitcnt lgkmcnt(0)
	s_mul_i32 s38, s26, s8
	s_mov_b32 s39, 0
	s_lshl_b64 s[40:41], s[38:39], 2
	s_add_u32 s7, s30, s40
	s_mov_b32 s11, s39
	s_addc_u32 s27, s31, s41
	s_lshl_b64 s[10:11], s[10:11], 2
	s_add_u32 s30, s7, s10
	s_addc_u32 s27, s27, s11
	s_ashr_i32 s7, s6, 31
	s_lshl_b64 s[10:11], s[6:7], 2
	s_add_u32 s10, s30, s10
	s_addc_u32 s11, s27, s11
	global_load_dword v7, v6, s[10:11]
.LBB147_11:
	s_or_b64 exec, exec, s[18:19]
	v_lshl_add_u32 v2, v1, 6, v0
	s_lshr_b32 s7, s36, 8
	v_lshrrev_b32_e32 v11, 5, v2
	v_cmp_gt_u32_e32 vcc, s7, v11
	v_mov_b32_e32 v10, 0
	v_mov_b32_e32 v9, 0
	s_and_saveexec_b64 s[18:19], vcc
	s_cbranch_execz .LBB147_17
; %bb.12:
	s_mul_hi_u32 s10, s23, s8
	s_add_i32 s10, s8, s10
	s_waitcnt lgkmcnt(0)
	s_lshr_b32 s10, s10, s35
	s_mul_i32 s33, s33, s6
	s_mul_i32 s10, s10, s24
	;; [unrolled: 1-line block ×4, first 2 shown]
	s_add_i32 s10, s10, s33
	v_and_b32_e32 v3, 31, v0
	s_add_i32 s9, s9, s10
	s_mul_hi_u32 s10, s11, 36
	s_mul_i32 s11, s11, 36
	v_lshlrev_b32_e32 v16, 1, v3
	v_lshrrev_b32_e32 v13, 5, v2
	v_mov_b32_e32 v2, s11
	v_mov_b32_e32 v3, s10
	s_movk_i32 s10, 0x120
	v_mad_u64_u32 v[2:3], s[10:11], v13, s10, v[2:3]
	s_mul_i32 s20, s25, s8
	v_and_b32_e32 v5, 15, v0
	v_mad_u64_u32 v[2:3], s[10:11], s20, 36, v[2:3]
	v_bfe_u32 v4, v0, 4, 1
	v_lshrrev_b16_e32 v9, 3, v5
	v_lshl_or_b32 v14, v4, 2, v9
	v_mad_u64_u32 v[2:3], s[10:11], v14, 36, v[2:3]
	v_lshlrev_b32_e32 v4, 3, v4
	v_and_b32_e32 v15, 7, v0
	v_lshrrev_b16_e32 v5, 2, v5
	v_or_b32_e32 v12, v4, v15
	v_or_b32_e32 v13, v4, v5
	v_mov_b32_e32 v4, s15
	v_add_co_u32_e32 v2, vcc, s14, v2
	v_lshlrev_b32_e32 v17, 1, v12
	v_addc_co_u32_e32 v3, vcc, v4, v3, vcc
	v_mov_b32_e32 v4, s12
	v_mov_b32_e32 v10, 0
	v_lshlrev_b32_e32 v12, 1, v9
	v_lshlrev_b32_e32 v14, 2, v15
	s_mov_b64 s[14:15], 0
	s_movk_i32 s20, 0xd2
	v_lshlrev_b32_e32 v15, 1, v17
	s_mov_b32 s21, 0x30303030
	s_movk_i32 s23, 0x3f00
	s_movk_i32 s24, 0xe000
	v_mov_b32_e32 v5, s13
	v_lshlrev_b32_e32 v16, 1, v16
	v_mov_b32_e32 v17, 8
	v_mov_b32_e32 v9, 0
	s_branch .LBB147_14
.LBB147_13:                             ;   in Loop: Header=BB147_14 Depth=1
	s_waitcnt vmcnt(3)
	v_ashrrev_i32_e32 v25, v12, v25
	v_and_b32_e32 v27, 0xf0f0f0f, v23
	v_lshlrev_b32_e32 v28, 4, v25
	v_and_or_b32 v27, v28, s21, v27
	v_lshlrev_b16_e32 v29, 8, v27
	v_and_b32_e32 v28, 0x3f00, v27
	v_add_u16_e32 v29, 0xe000, v29
	v_or_b32_sdwa v28, v28, v29 dst_sel:DWORD dst_unused:UNUSED_PAD src0_sel:DWORD src1_sel:BYTE_1
	v_and_b32_sdwa v29, v27, s23 dst_sel:DWORD dst_unused:UNUSED_PAD src0_sel:WORD_1 src1_sel:DWORD
	v_lshlrev_b16_sdwa v27, v17, v27 dst_sel:DWORD dst_unused:UNUSED_PAD src0_sel:DWORD src1_sel:WORD_1
	v_add_u16_e32 v27, 0xe000, v27
	v_or_b32_sdwa v27, v29, v27 dst_sel:DWORD dst_unused:UNUSED_PAD src0_sel:DWORD src1_sel:BYTE_1
	v_add_u16_e32 v28, 0xe000, v28
	v_add_u16_sdwa v27, v27, s24 dst_sel:WORD_1 dst_unused:UNUSED_PAD src0_sel:DWORD src1_sel:DWORD
	v_lshrrev_b32_e32 v23, 4, v23
	v_or_b32_e32 v27, v28, v27
	v_and_b32_e32 v23, 0xf0f0f0f, v23
	s_waitcnt vmcnt(1)
	v_bfe_i32 v26, v26, 0, 8
	v_dot4_i32_i8 v22, v27, v22, 0
	v_and_or_b32 v23, v25, s21, v23
	v_mul_lo_u32 v22, v22, v26
	v_lshlrev_b16_e32 v26, 8, v23
	v_and_b32_e32 v25, 0x3f00, v23
	v_add_u16_e32 v26, 0xe000, v26
	v_or_b32_sdwa v25, v25, v26 dst_sel:DWORD dst_unused:UNUSED_PAD src0_sel:DWORD src1_sel:BYTE_1
	v_and_b32_sdwa v26, v23, s23 dst_sel:DWORD dst_unused:UNUSED_PAD src0_sel:WORD_1 src1_sel:DWORD
	v_lshlrev_b16_sdwa v23, v17, v23 dst_sel:DWORD dst_unused:UNUSED_PAD src0_sel:DWORD src1_sel:WORD_1
	v_add_u16_e32 v23, 0xe000, v23
	v_or_b32_sdwa v23, v26, v23 dst_sel:DWORD dst_unused:UNUSED_PAD src0_sel:DWORD src1_sel:BYTE_1
	v_add_u16_e32 v25, 0xe000, v25
	v_add_u16_sdwa v23, v23, s24 dst_sel:WORD_1 dst_unused:UNUSED_PAD src0_sel:DWORD src1_sel:DWORD
	v_or_b32_e32 v23, v25, v23
	s_waitcnt vmcnt(0)
	v_bfe_i32 v24, v24, 0, 8
	v_dot4_i32_i8 v18, v23, v18, 0
	v_mul_lo_u32 v18, v18, v24
	v_cvt_f32_i32_e32 v22, v22
	v_add_u32_e32 v11, 4, v11
	v_add_co_u32_e32 v2, vcc, 0x480, v2
	v_cvt_f32_i32_e32 v18, v18
	v_fma_f32 v21, v21, v22, 0
	v_cmp_le_u32_e64 s[10:11], s7, v11
	s_or_b64 s[14:15], s[10:11], s[14:15]
	v_fmac_f32_e32 v21, v20, v18
	v_fma_mix_f32 v10, v21, v19, v10 op_sel_hi:[0,1,0]
	v_addc_co_u32_e32 v3, vcc, 0, v3, vcc
	s_andn2_b64 exec, exec, s[14:15]
	s_cbranch_execz .LBB147_16
.LBB147_14:                             ; =>This Inner Loop Header: Depth=1
	v_add_u32_e32 v27, s9, v11
	v_mad_i64_i32 v[20:21], s[10:11], v27, s20, v[4:5]
	v_add_co_u32_e32 v28, vcc, v20, v16
	v_addc_co_u32_e32 v29, vcc, 0, v21, vcc
	v_add_co_u32_e32 v30, vcc, v20, v15
	v_addc_co_u32_e32 v31, vcc, 0, v21, vcc
	;; [unrolled: 2-line block ×3, first 2 shown]
	global_load_dword v22, v[23:24], off offset:4
	global_load_dword v18, v[23:24], off offset:76
	global_load_dword v34, v[2:3], off
	global_load_dword v35, v[2:3], off offset:72
	v_add_co_u32_e32 v32, vcc, v20, v13
	v_addc_co_u32_e32 v33, vcc, 0, v21, vcc
	global_load_dword v23, v[28:29], off
	global_load_dword v25, v[30:31], off offset:128
	global_load_ushort v19, v[20:21], off offset:208
	global_load_ubyte v26, v[32:33], off offset:192
	global_load_ubyte v24, v[32:33], off offset:196
	s_andn2_b64 vcc, exec, s[16:17]
	s_waitcnt vmcnt(6)
	v_cvt_f32_f16_e32 v21, v34
	s_waitcnt vmcnt(5)
	v_cvt_f32_f16_e32 v20, v35
	s_cbranch_vccnz .LBB147_13
; %bb.15:                               ;   in Loop: Header=BB147_14 Depth=1
	v_mov_b32_e32 v28, s28
	v_mov_b32_e32 v29, s29
	v_mad_i64_i32 v[27:28], s[10:11], v27, s20, v[28:29]
	v_add_co_u32_e32 v29, vcc, v27, v15
	v_addc_co_u32_e32 v30, vcc, 0, v28, vcc
	v_add_co_u32_e32 v31, vcc, v27, v16
	v_addc_co_u32_e32 v32, vcc, 0, v28, vcc
	global_load_dword v33, v[29:30], off offset:128
	global_load_dword v34, v[31:32], off
	v_add_co_u32_e32 v29, vcc, v27, v13
	v_addc_co_u32_e32 v30, vcc, 0, v28, vcc
	global_load_sbyte v31, v[29:30], off offset:192
	global_load_sbyte v32, v[29:30], off offset:196
	global_load_ushort v35, v[27:28], off offset:208
	s_waitcnt vmcnt(4)
	v_ashrrev_i32_e32 v27, v12, v33
	s_waitcnt vmcnt(3)
	v_and_b32_e32 v28, 0xf0f0f0f, v34
	v_lshrrev_b32_e32 v29, 4, v34
	v_lshlrev_b32_e32 v30, 4, v27
	v_and_b32_e32 v29, 0xf0f0f0f, v29
	v_and_or_b32 v28, v30, s21, v28
	v_and_or_b32 v27, v27, s21, v29
	v_and_b32_e32 v29, 0x3f00, v28
	v_lshlrev_b16_e32 v30, 8, v28
	v_and_b32_sdwa v33, v28, s23 dst_sel:DWORD dst_unused:UNUSED_PAD src0_sel:WORD_1 src1_sel:DWORD
	v_lshlrev_b16_sdwa v28, v17, v28 dst_sel:DWORD dst_unused:UNUSED_PAD src0_sel:DWORD src1_sel:WORD_1
	v_and_b32_e32 v34, 0x3f00, v27
	v_lshlrev_b16_e32 v36, 8, v27
	v_and_b32_sdwa v37, v27, s23 dst_sel:DWORD dst_unused:UNUSED_PAD src0_sel:WORD_1 src1_sel:DWORD
	v_lshlrev_b16_sdwa v27, v17, v27 dst_sel:DWORD dst_unused:UNUSED_PAD src0_sel:DWORD src1_sel:WORD_1
	v_add_u16_e32 v30, 0xe000, v30
	v_add_u16_e32 v28, 0xe000, v28
	;; [unrolled: 1-line block ×4, first 2 shown]
	v_or_b32_sdwa v29, v29, v30 dst_sel:DWORD dst_unused:UNUSED_PAD src0_sel:DWORD src1_sel:BYTE_1
	v_or_b32_sdwa v28, v33, v28 dst_sel:DWORD dst_unused:UNUSED_PAD src0_sel:DWORD src1_sel:BYTE_1
	;; [unrolled: 1-line block ×4, first 2 shown]
	v_add_u16_e32 v29, 0xe000, v29
	v_add_u16_sdwa v28, v28, s24 dst_sel:WORD_1 dst_unused:UNUSED_PAD src0_sel:DWORD src1_sel:DWORD
	v_add_u16_e32 v30, 0xe000, v30
	v_add_u16_sdwa v27, v27, s24 dst_sel:WORD_1 dst_unused:UNUSED_PAD src0_sel:DWORD src1_sel:DWORD
	v_or_b32_e32 v28, v29, v28
	v_or_b32_e32 v27, v30, v27
	v_dot4_i32_i8 v28, v28, v22, 0
	s_waitcnt vmcnt(2)
	v_mul_lo_u32 v28, v28, v31
	v_dot4_i32_i8 v27, v27, v18, 0
	s_waitcnt vmcnt(1)
	v_mul_lo_u32 v27, v27, v32
	v_cvt_f32_i32_e32 v28, v28
	v_cvt_f32_i32_e32 v27, v27
	v_fma_f32 v28, v21, v28, 0
	v_fmac_f32_e32 v28, v20, v27
	s_waitcnt vmcnt(0)
	v_fma_mix_f32 v9, v28, v35, v9 op_sel_hi:[0,1,0]
	s_branch .LBB147_13
.LBB147_16:
	s_or_b64 exec, exec, s[14:15]
.LBB147_17:
	s_or_b64 exec, exec, s[18:19]
	s_load_dword s7, s[4:5], 0x30
	v_cmp_eq_u32_e64 s[10:11], 0, v1
	v_cmp_ne_u32_e32 vcc, 0, v1
	s_and_saveexec_b64 s[12:13], vcc
	s_cbranch_execz .LBB147_21
; %bb.18:
	s_and_b64 vcc, exec, s[16:17]
	s_cbranch_vccz .LBB147_20
; %bb.19:
	v_lshl_add_u32 v2, v1, 8, v6
	ds_write_b32 v2, v9
.LBB147_20:
	v_lshlrev_b32_e32 v1, 8, v1
	s_waitcnt lgkmcnt(0)
	s_movk_i32 s9, 0xff00
	v_add3_u32 v1, v1, v6, s9
	ds_write_b32 v1, v10
.LBB147_21:
	s_or_b64 exec, exec, s[12:13]
	s_waitcnt vmcnt(0) lgkmcnt(0)
	s_barrier
	s_and_saveexec_b64 s[12:13], s[10:11]
	s_cbranch_execz .LBB147_50
; %bb.22:
	ds_read_b32 v2, v6
	v_cndmask_b32_e64 v1, 0, 1, s[16:17]
	v_cmp_ne_u32_e64 s[10:11], 1, v1
	s_andn2_b64 vcc, exec, s[16:17]
	s_cbranch_vccnz .LBB147_24
; %bb.23:
	ds_read_b32 v1, v6 offset:256
	s_waitcnt lgkmcnt(0)
	v_add_f32_e32 v9, v9, v1
.LBB147_24:
	v_mbcnt_lo_u32_b32 v1, -1, 0
	v_mbcnt_hi_u32_b32 v3, -1, v1
	v_and_b32_e32 v1, 64, v3
	v_add_u32_e32 v4, 64, v1
	v_xor_b32_e32 v1, 32, v3
	v_cmp_lt_i32_e32 vcc, v1, v4
	v_cndmask_b32_e32 v1, v3, v1, vcc
	v_lshlrev_b32_e32 v1, 2, v1
	s_waitcnt lgkmcnt(0)
	v_add_f32_e32 v5, v10, v2
	ds_bpermute_b32 v10, v1, v5
	v_xor_b32_e32 v2, 16, v3
	v_cmp_lt_i32_e32 vcc, v2, v4
	v_cndmask_b32_e32 v2, v3, v2, vcc
	v_lshlrev_b32_e32 v2, 2, v2
	s_waitcnt lgkmcnt(0)
	v_add_f32_e32 v10, v5, v10
	ds_bpermute_b32 v11, v2, v10
	;; [unrolled: 7-line block ×6, first 2 shown]
	s_and_b64 vcc, exec, s[10:11]
	s_cbranch_vccnz .LBB147_26
; %bb.25:
	ds_bpermute_b32 v1, v1, v9
	s_waitcnt lgkmcnt(0)
	v_add_f32_e32 v1, v9, v1
	ds_bpermute_b32 v2, v2, v1
	s_waitcnt lgkmcnt(0)
	v_add_f32_e32 v1, v1, v2
	;; [unrolled: 3-line block ×6, first 2 shown]
.LBB147_26:
	v_cmp_eq_u32_e32 vcc, 0, v0
	s_and_b64 exec, exec, vcc
	s_cbranch_execz .LBB147_50
; %bb.27:
	s_waitcnt lgkmcnt(0)
	v_add_f32_e32 v0, v3, v4
	v_add_f32_e32 v1, v8, v0
	s_and_b64 vcc, exec, s[10:11]
	v_cndmask_b32_e64 v0, v0, v1, s[0:1]
	s_cbranch_vccnz .LBB147_49
; %bb.28:
	v_add_f32_e32 v1, v7, v9
	v_cndmask_b32_e64 v1, v9, v1, s[2:3]
	s_cmp_lt_i32 s7, 2
	s_mov_b64 s[0:1], 0
	s_cbranch_scc1 .LBB147_32
; %bb.29:
	s_cmp_gt_i32 s7, 2
	s_cbranch_scc0 .LBB147_33
; %bb.30:
	s_cmp_eq_u32 s7, 3
	s_cbranch_scc0 .LBB147_34
; %bb.31:
	v_max_f32_e32 v2, v1, v1
	v_min_f32_e32 v2, 0x40e00000, v2
	v_mul_f32_e32 v3, 0xbfd9db23, v2
	s_mov_b32 s2, 0x3fb8aa3b
	v_mul_f32_e32 v4, 0x3fb8aa3b, v3
	v_fma_f32 v5, v3, s2, -v4
	v_rndne_f32_e32 v7, v4
	v_fmac_f32_e32 v5, 0x32a5705f, v3
	v_sub_f32_e32 v4, v4, v7
	v_add_f32_e32 v4, v4, v5
	v_exp_f32_e32 v4, v4
	v_cvt_i32_f32_e32 v5, v7
	s_mov_b32 s2, 0xc2ce8ed0
	v_cmp_ngt_f32_e32 vcc, s2, v3
	s_mov_b32 s2, 0x42b17218
	v_ldexp_f32 v4, v4, v5
	v_cndmask_b32_e32 v4, 0, v4, vcc
	v_mov_b32_e32 v5, 0x7f800000
	v_cmp_nlt_f32_e32 vcc, s2, v3
	v_cndmask_b32_e32 v3, v5, v4, vcc
	v_add_f32_e32 v3, 1.0, v3
	v_div_scale_f32 v4, s[2:3], v3, v3, v2
	v_div_scale_f32 v5, vcc, v2, v3, v2
	s_mov_b64 s[2:3], 0
	v_rcp_f32_e32 v7, v4
	v_fma_f32 v8, -v4, v7, 1.0
	v_fmac_f32_e32 v7, v8, v7
	v_mul_f32_e32 v8, v5, v7
	v_fma_f32 v9, -v4, v8, v5
	v_fmac_f32_e32 v8, v9, v7
	v_fma_f32 v4, -v4, v8, v5
	v_div_fmas_f32 v4, v4, v7, v8
	v_max_f32_e32 v5, v0, v0
	v_min_f32_e32 v5, 0x40e00000, v5
	v_max_f32_e32 v5, 0xc0e00000, v5
	v_add_f32_e32 v5, 1.0, v5
	v_div_fixup_f32 v2, v4, v3, v2
	v_mul_f32_e32 v2, v5, v2
	s_branch .LBB147_35
.LBB147_32:
                                        ; implicit-def: $vgpr2
	s_mov_b64 s[2:3], 0
	s_cbranch_execnz .LBB147_39
	s_branch .LBB147_40
.LBB147_33:
	s_mov_b64 s[10:11], -1
	s_mov_b64 s[2:3], 0
                                        ; implicit-def: $vgpr2
	s_branch .LBB147_36
.LBB147_34:
	s_mov_b64 s[2:3], -1
                                        ; implicit-def: $vgpr2
.LBB147_35:
	s_mov_b64 s[10:11], 0
.LBB147_36:
	s_and_b64 vcc, exec, s[10:11]
	s_cbranch_vccz .LBB147_38
; %bb.37:
	v_mul_f32_e32 v2, 0xbfb8aa3b, v1
	s_mov_b32 s9, 0xbfb8aa3b
	v_rndne_f32_e32 v3, v2
	v_sub_f32_e32 v4, v2, v3
	v_fma_f32 v2, v1, s9, -v2
	v_fmac_f32_e32 v2, 0xb2a5705f, v1
	v_add_f32_e32 v2, v4, v2
	v_exp_f32_e32 v2, v2
	v_cvt_i32_f32_e32 v3, v3
	s_mov_b32 s9, 0x42ce8ed0
	v_cmp_nlt_f32_e32 vcc, s9, v1
	s_mov_b32 s9, 0xc2b17218
	v_ldexp_f32 v2, v2, v3
	v_cndmask_b32_e32 v2, 0, v2, vcc
	v_mov_b32_e32 v3, 0x7f800000
	v_cmp_ngt_f32_e32 vcc, s9, v1
	v_cndmask_b32_e32 v2, v3, v2, vcc
	v_add_f32_e32 v2, 1.0, v2
	v_div_scale_f32 v3, s[10:11], v2, v2, v1
	v_div_scale_f32 v4, vcc, v1, v2, v1
	v_rcp_f32_e32 v5, v3
	v_fma_f32 v7, -v3, v5, 1.0
	v_fmac_f32_e32 v5, v7, v5
	v_mul_f32_e32 v7, v4, v5
	v_fma_f32 v8, -v3, v7, v4
	v_fmac_f32_e32 v7, v8, v5
	v_fma_f32 v3, -v3, v7, v4
	v_div_fmas_f32 v3, v3, v5, v7
	v_div_fixup_f32 v2, v3, v2, v1
	v_mul_f32_e32 v2, v0, v2
.LBB147_38:
	s_branch .LBB147_40
.LBB147_39:
	s_cmp_lg_u32 s7, 1
	s_mov_b64 s[0:1], -1
	s_cselect_b64 s[2:3], -1, 0
.LBB147_40:
	s_andn2_b64 vcc, exec, s[2:3]
	s_cbranch_vccz .LBB147_42
; %bb.41:
	s_andn2_b64 vcc, exec, s[0:1]
	s_cbranch_vccz .LBB147_43
	s_branch .LBB147_48
.LBB147_42:
	v_mul_f32_e32 v2, v1, v0
	s_cbranch_execnz .LBB147_48
.LBB147_43:
	v_mul_f32_e32 v3, 0x3d372713, v1
	v_mul_f32_e32 v2, 0x3f4c422a, v1
	v_fma_f32 v3, v1, v3, 1.0
	v_mul_f32_e32 v2, v2, v3
	s_mov_b32 s0, 0x3f200000
	v_cmp_nlt_f32_e64 s[0:1], |v2|, s0
                                        ; implicit-def: $vgpr3
	s_and_saveexec_b64 s[2:3], s[0:1]
	s_xor_b64 s[0:1], exec, s[2:3]
	s_cbranch_execz .LBB147_45
; %bb.44:
	v_add_f32_e64 v3, |v2|, |v2|
	v_mul_f32_e32 v4, 0x3fb8aa3b, v3
	s_mov_b32 s2, 0x3fb8aa3b
	v_rndne_f32_e32 v5, v4
	v_sub_f32_e32 v7, v4, v5
	v_fma_f32 v4, v3, s2, -v4
	v_fmac_f32_e32 v4, 0x32a5705f, v3
	v_add_f32_e32 v4, v7, v4
	v_exp_f32_e32 v4, v4
	v_cvt_i32_f32_e32 v5, v5
	s_mov_b32 s2, 0xc2ce8ed0
	v_cmp_ngt_f32_e32 vcc, s2, v3
	s_mov_b32 s2, 0x42b17218
	v_ldexp_f32 v4, v4, v5
	v_cndmask_b32_e32 v4, 0, v4, vcc
	v_mov_b32_e32 v5, 0x7f800000
	v_cmp_nlt_f32_e32 vcc, s2, v3
	v_cndmask_b32_e32 v3, v5, v4, vcc
	v_add_f32_e32 v3, 1.0, v3
	v_rcp_f32_e32 v3, v3
	v_fma_f32 v3, v3, -2.0, 1.0
.LBB147_45:
	s_andn2_saveexec_b64 s[0:1], s[0:1]
	s_cbranch_execz .LBB147_47
; %bb.46:
	v_mul_f32_e32 v3, v2, v2
	v_mov_b32_e32 v4, 0x3ca908c9
	v_fmac_f32_e32 v4, 0xbbbac73d, v3
	v_mov_b32_e32 v5, 0xbd5c1c4e
	v_fmac_f32_e32 v5, v3, v4
	;; [unrolled: 2-line block ×4, first 2 shown]
	v_mul_f32_e64 v4, |v2|, v5
	v_fma_f32 v3, v3, v4, |v2|
.LBB147_47:
	s_or_b64 exec, exec, s[0:1]
	s_brev_b32 s0, -2
	v_bfi_b32 v2, s0, v3, v2
	v_mul_f32_e32 v1, 0.5, v1
	v_add_f32_e32 v2, 1.0, v2
	v_mul_f32_e32 v1, v1, v2
	v_mul_f32_e32 v2, v0, v1
.LBB147_48:
	v_mov_b32_e32 v0, v2
.LBB147_49:
	s_load_dwordx2 s[0:1], s[4:5], 0x38
	s_mul_i32 s3, s22, s34
	s_mul_i32 s2, s26, s8
	s_add_i32 s3, s3, s6
	s_add_i32 s2, s3, s2
	s_mov_b32 s3, 0
	s_lshl_b64 s[2:3], s[2:3], 2
	s_waitcnt lgkmcnt(0)
	s_add_u32 s0, s0, s2
	s_addc_u32 s1, s1, s3
	global_store_dword v6, v0, s[0:1]
.LBB147_50:
	s_endpgm
	.section	.rodata,"a",@progbits
	.p2align	6, 0x0
	.amdhsa_kernel _ZL13mul_mat_vec_qIL9ggml_type14ELi1ELb1ELb0EEvPKvS2_PKi31ggml_cuda_mm_fusion_args_devicePfj15HIP_vector_typeIjLj3EEjjjS8_jjjS8_jjjj
		.amdhsa_group_segment_fixed_size 512
		.amdhsa_private_segment_fixed_size 0
		.amdhsa_kernarg_size 144
		.amdhsa_user_sgpr_count 6
		.amdhsa_user_sgpr_private_segment_buffer 1
		.amdhsa_user_sgpr_dispatch_ptr 0
		.amdhsa_user_sgpr_queue_ptr 0
		.amdhsa_user_sgpr_kernarg_segment_ptr 1
		.amdhsa_user_sgpr_dispatch_id 0
		.amdhsa_user_sgpr_flat_scratch_init 0
		.amdhsa_user_sgpr_private_segment_size 0
		.amdhsa_uses_dynamic_stack 0
		.amdhsa_system_sgpr_private_segment_wavefront_offset 0
		.amdhsa_system_sgpr_workgroup_id_x 1
		.amdhsa_system_sgpr_workgroup_id_y 1
		.amdhsa_system_sgpr_workgroup_id_z 1
		.amdhsa_system_sgpr_workgroup_info 0
		.amdhsa_system_vgpr_workitem_id 1
		.amdhsa_next_free_vgpr 38
		.amdhsa_next_free_sgpr 42
		.amdhsa_reserve_vcc 1
		.amdhsa_reserve_flat_scratch 0
		.amdhsa_float_round_mode_32 0
		.amdhsa_float_round_mode_16_64 0
		.amdhsa_float_denorm_mode_32 3
		.amdhsa_float_denorm_mode_16_64 3
		.amdhsa_dx10_clamp 1
		.amdhsa_ieee_mode 1
		.amdhsa_fp16_overflow 0
		.amdhsa_exception_fp_ieee_invalid_op 0
		.amdhsa_exception_fp_denorm_src 0
		.amdhsa_exception_fp_ieee_div_zero 0
		.amdhsa_exception_fp_ieee_overflow 0
		.amdhsa_exception_fp_ieee_underflow 0
		.amdhsa_exception_fp_ieee_inexact 0
		.amdhsa_exception_int_div_zero 0
	.end_amdhsa_kernel
	.section	.text._ZL13mul_mat_vec_qIL9ggml_type14ELi1ELb1ELb0EEvPKvS2_PKi31ggml_cuda_mm_fusion_args_devicePfj15HIP_vector_typeIjLj3EEjjjS8_jjjS8_jjjj,"axG",@progbits,_ZL13mul_mat_vec_qIL9ggml_type14ELi1ELb1ELb0EEvPKvS2_PKi31ggml_cuda_mm_fusion_args_devicePfj15HIP_vector_typeIjLj3EEjjjS8_jjjS8_jjjj,comdat
.Lfunc_end147:
	.size	_ZL13mul_mat_vec_qIL9ggml_type14ELi1ELb1ELb0EEvPKvS2_PKi31ggml_cuda_mm_fusion_args_devicePfj15HIP_vector_typeIjLj3EEjjjS8_jjjS8_jjjj, .Lfunc_end147-_ZL13mul_mat_vec_qIL9ggml_type14ELi1ELb1ELb0EEvPKvS2_PKi31ggml_cuda_mm_fusion_args_devicePfj15HIP_vector_typeIjLj3EEjjjS8_jjjS8_jjjj
                                        ; -- End function
	.set _ZL13mul_mat_vec_qIL9ggml_type14ELi1ELb1ELb0EEvPKvS2_PKi31ggml_cuda_mm_fusion_args_devicePfj15HIP_vector_typeIjLj3EEjjjS8_jjjS8_jjjj.num_vgpr, 38
	.set _ZL13mul_mat_vec_qIL9ggml_type14ELi1ELb1ELb0EEvPKvS2_PKi31ggml_cuda_mm_fusion_args_devicePfj15HIP_vector_typeIjLj3EEjjjS8_jjjS8_jjjj.num_agpr, 0
	.set _ZL13mul_mat_vec_qIL9ggml_type14ELi1ELb1ELb0EEvPKvS2_PKi31ggml_cuda_mm_fusion_args_devicePfj15HIP_vector_typeIjLj3EEjjjS8_jjjS8_jjjj.numbered_sgpr, 42
	.set _ZL13mul_mat_vec_qIL9ggml_type14ELi1ELb1ELb0EEvPKvS2_PKi31ggml_cuda_mm_fusion_args_devicePfj15HIP_vector_typeIjLj3EEjjjS8_jjjS8_jjjj.num_named_barrier, 0
	.set _ZL13mul_mat_vec_qIL9ggml_type14ELi1ELb1ELb0EEvPKvS2_PKi31ggml_cuda_mm_fusion_args_devicePfj15HIP_vector_typeIjLj3EEjjjS8_jjjS8_jjjj.private_seg_size, 0
	.set _ZL13mul_mat_vec_qIL9ggml_type14ELi1ELb1ELb0EEvPKvS2_PKi31ggml_cuda_mm_fusion_args_devicePfj15HIP_vector_typeIjLj3EEjjjS8_jjjS8_jjjj.uses_vcc, 1
	.set _ZL13mul_mat_vec_qIL9ggml_type14ELi1ELb1ELb0EEvPKvS2_PKi31ggml_cuda_mm_fusion_args_devicePfj15HIP_vector_typeIjLj3EEjjjS8_jjjS8_jjjj.uses_flat_scratch, 0
	.set _ZL13mul_mat_vec_qIL9ggml_type14ELi1ELb1ELb0EEvPKvS2_PKi31ggml_cuda_mm_fusion_args_devicePfj15HIP_vector_typeIjLj3EEjjjS8_jjjS8_jjjj.has_dyn_sized_stack, 0
	.set _ZL13mul_mat_vec_qIL9ggml_type14ELi1ELb1ELb0EEvPKvS2_PKi31ggml_cuda_mm_fusion_args_devicePfj15HIP_vector_typeIjLj3EEjjjS8_jjjS8_jjjj.has_recursion, 0
	.set _ZL13mul_mat_vec_qIL9ggml_type14ELi1ELb1ELb0EEvPKvS2_PKi31ggml_cuda_mm_fusion_args_devicePfj15HIP_vector_typeIjLj3EEjjjS8_jjjS8_jjjj.has_indirect_call, 0
	.section	.AMDGPU.csdata,"",@progbits
; Kernel info:
; codeLenInByte = 2920
; TotalNumSgprs: 46
; NumVgprs: 38
; ScratchSize: 0
; MemoryBound: 0
; FloatMode: 240
; IeeeMode: 1
; LDSByteSize: 512 bytes/workgroup (compile time only)
; SGPRBlocks: 5
; VGPRBlocks: 9
; NumSGPRsForWavesPerEU: 46
; NumVGPRsForWavesPerEU: 38
; Occupancy: 6
; WaveLimiterHint : 0
; COMPUTE_PGM_RSRC2:SCRATCH_EN: 0
; COMPUTE_PGM_RSRC2:USER_SGPR: 6
; COMPUTE_PGM_RSRC2:TRAP_HANDLER: 0
; COMPUTE_PGM_RSRC2:TGID_X_EN: 1
; COMPUTE_PGM_RSRC2:TGID_Y_EN: 1
; COMPUTE_PGM_RSRC2:TGID_Z_EN: 1
; COMPUTE_PGM_RSRC2:TIDIG_COMP_CNT: 1
	.section	.text._ZL13mul_mat_vec_qIL9ggml_type14ELi1ELb0ELb0EEvPKvS2_PKi31ggml_cuda_mm_fusion_args_devicePfj15HIP_vector_typeIjLj3EEjjjS8_jjjS8_jjjj,"axG",@progbits,_ZL13mul_mat_vec_qIL9ggml_type14ELi1ELb0ELb0EEvPKvS2_PKi31ggml_cuda_mm_fusion_args_devicePfj15HIP_vector_typeIjLj3EEjjjS8_jjjS8_jjjj,comdat
	.globl	_ZL13mul_mat_vec_qIL9ggml_type14ELi1ELb0ELb0EEvPKvS2_PKi31ggml_cuda_mm_fusion_args_devicePfj15HIP_vector_typeIjLj3EEjjjS8_jjjS8_jjjj ; -- Begin function _ZL13mul_mat_vec_qIL9ggml_type14ELi1ELb0ELb0EEvPKvS2_PKi31ggml_cuda_mm_fusion_args_devicePfj15HIP_vector_typeIjLj3EEjjjS8_jjjS8_jjjj
	.p2align	8
	.type	_ZL13mul_mat_vec_qIL9ggml_type14ELi1ELb0ELb0EEvPKvS2_PKi31ggml_cuda_mm_fusion_args_devicePfj15HIP_vector_typeIjLj3EEjjjS8_jjjS8_jjjj,@function
_ZL13mul_mat_vec_qIL9ggml_type14ELi1ELb0ELb0EEvPKvS2_PKi31ggml_cuda_mm_fusion_args_devicePfj15HIP_vector_typeIjLj3EEjjjS8_jjjS8_jjjj: ; @_ZL13mul_mat_vec_qIL9ggml_type14ELi1ELb0ELb0EEvPKvS2_PKi31ggml_cuda_mm_fusion_args_devicePfj15HIP_vector_typeIjLj3EEjjjS8_jjjS8_jjjj
; %bb.0:
	s_load_dwordx2 s[0:1], s[4:5], 0x10
	s_load_dwordx4 s[16:19], s[4:5], 0x40
	s_mov_b32 s10, s7
	s_mov_b64 s[14:15], 0
	s_waitcnt lgkmcnt(0)
	s_cmp_lg_u64 s[0:1], 0
	s_cselect_b64 s[12:13], -1, 0
	s_cmp_eq_u64 s[0:1], 0
	s_cbranch_scc1 .LBB148_5
; %bb.1:
	s_mov_b32 s11, 0
	s_lshl_b64 s[2:3], s[10:11], 2
	s_add_u32 s0, s0, s2
	s_addc_u32 s1, s1, s3
	s_load_dword s9, s[0:1], 0x0
	s_nop 0
	s_load_dwordx4 s[0:3], s[4:5], 0x68
	s_load_dword s11, s[4:5], 0x50
	s_andn2_b64 vcc, exec, s[14:15]
	s_cbranch_vccnz .LBB148_3
.LBB148_2:
	s_load_dwordx2 s[14:15], s[4:5], 0x5c
	s_waitcnt lgkmcnt(0)
	s_mul_hi_u32 s7, s14, s10
	s_add_i32 s7, s10, s7
	s_lshr_b32 s9, s7, s15
.LBB148_3:
	s_load_dword s22, s[4:5], 0x78
	s_andn2_b64 vcc, exec, s[12:13]
	s_cbranch_vccnz .LBB148_6
; %bb.4:
	s_mul_hi_u32 s7, s17, s10
	s_add_i32 s7, s10, s7
	s_lshr_b32 s7, s7, s18
	s_mul_i32 s7, s7, s19
	s_sub_i32 s23, s10, s7
	s_branch .LBB148_7
.LBB148_5:
                                        ; implicit-def: $sgpr9
	s_load_dwordx4 s[0:3], s[4:5], 0x68
	s_load_dword s11, s[4:5], 0x50
	s_branch .LBB148_2
.LBB148_6:
	s_mov_b32 s23, s10
.LBB148_7:
	s_load_dwordx4 s[12:15], s[4:5], 0x80
	v_lshl_add_u32 v2, v1, 6, v0
	s_lshr_b32 s7, s16, 8
	v_lshrrev_b32_e32 v7, 5, v2
	v_cmp_gt_u32_e32 vcc, s7, v7
	v_mov_b32_e32 v6, 0
	s_and_saveexec_b64 s[20:21], vcc
	s_cbranch_execz .LBB148_11
; %bb.8:
	s_waitcnt lgkmcnt(0)
	s_mul_hi_u32 s3, s3, s8
	s_add_i32 s3, s8, s3
	s_lshr_b32 s3, s3, s22
	s_mul_i32 s11, s11, s6
	s_mul_i32 s3, s3, s12
	;; [unrolled: 1-line block ×4, first 2 shown]
	s_add_i32 s3, s3, s11
	v_and_b32_e32 v3, 31, v0
	s_add_i32 s3, s0, s3
	s_mul_hi_u32 s0, s1, 36
	s_mul_i32 s1, s1, 36
	v_lshlrev_b32_e32 v11, 1, v3
	v_lshrrev_b32_e32 v13, 5, v2
	v_mov_b32_e32 v2, s1
	v_mov_b32_e32 v3, s0
	s_movk_i32 s0, 0x120
	v_mad_u64_u32 v[2:3], s[0:1], v13, s0, v[2:3]
	s_mul_i32 s9, s13, s8
	v_and_b32_e32 v5, 15, v0
	v_mad_u64_u32 v[2:3], s[0:1], s9, 36, v[2:3]
	v_bfe_u32 v4, v0, 4, 1
	v_lshrrev_b16_e32 v8, 3, v5
	s_load_dwordx4 s[16:19], s[4:5], 0x0
	v_lshl_or_b32 v10, v4, 2, v8
	v_mad_u64_u32 v[2:3], s[0:1], v10, 36, v[2:3]
	v_lshlrev_b32_e32 v4, 3, v4
	v_and_b32_e32 v12, 7, v0
	v_or_b32_e32 v9, v4, v12
	v_lshrrev_b16_e32 v5, 2, v5
	v_lshlrev_b32_e32 v13, 1, v9
	v_or_b32_e32 v9, v4, v5
	s_waitcnt lgkmcnt(0)
	v_mov_b32_e32 v4, s19
	v_add_co_u32_e32 v2, vcc, s18, v2
	v_addc_co_u32_e32 v3, vcc, v4, v3, vcc
	v_mov_b32_e32 v4, s16
	v_mov_b32_e32 v6, 0
	v_lshlrev_b32_e32 v8, 1, v8
	v_lshlrev_b32_e32 v10, 2, v12
	s_mov_b64 s[0:1], 0
	s_movk_i32 s9, 0xd2
	v_lshlrev_b32_e32 v11, 1, v11
	v_lshlrev_b32_e32 v12, 1, v13
	s_mov_b32 s11, 0x30303030
	s_movk_i32 s12, 0x3f00
	s_movk_i32 s13, 0xe000
	v_mov_b32_e32 v5, s17
	v_mov_b32_e32 v13, 8
.LBB148_9:                              ; =>This Inner Loop Header: Depth=1
	v_add_u32_e32 v16, s3, v7
	v_mad_i64_i32 v[16:17], s[16:17], v16, s9, v[4:5]
	v_add_co_u32_e32 v14, vcc, v2, v10
	v_addc_co_u32_e32 v15, vcc, 0, v3, vcc
	v_add_co_u32_e32 v18, vcc, v16, v11
	v_addc_co_u32_e32 v19, vcc, 0, v17, vcc
	;; [unrolled: 2-line block ×3, first 2 shown]
	global_load_dword v22, v[20:21], off offset:128
	global_load_dword v23, v[18:19], off
	global_load_dword v24, v[14:15], off offset:4
	global_load_dword v25, v[14:15], off offset:76
	v_add_co_u32_e32 v14, vcc, v16, v9
	v_addc_co_u32_e32 v15, vcc, 0, v17, vcc
	global_load_sbyte v18, v[14:15], off offset:192
	global_load_sbyte v19, v[14:15], off offset:196
	global_load_dword v20, v[2:3], off
	global_load_dword v21, v[2:3], off offset:72
	global_load_ushort v26, v[16:17], off offset:208
	v_add_co_u32_e32 v2, vcc, 0x480, v2
	v_add_u32_e32 v7, 4, v7
	v_addc_co_u32_e32 v3, vcc, 0, v3, vcc
	v_cmp_le_u32_e32 vcc, s7, v7
	s_or_b64 s[0:1], vcc, s[0:1]
	s_waitcnt vmcnt(8)
	v_ashrrev_i32_e32 v14, v8, v22
	s_waitcnt vmcnt(7)
	v_and_b32_e32 v15, 0xf0f0f0f, v23
	v_lshrrev_b32_e32 v16, 4, v23
	v_lshlrev_b32_e32 v17, 4, v14
	v_and_b32_e32 v16, 0xf0f0f0f, v16
	v_and_or_b32 v15, v17, s11, v15
	v_and_or_b32 v14, v14, s11, v16
	v_lshlrev_b16_e32 v16, 8, v15
	v_and_b32_e32 v17, 0x3f00, v15
	v_and_b32_sdwa v22, v15, s12 dst_sel:DWORD dst_unused:UNUSED_PAD src0_sel:WORD_1 src1_sel:DWORD
	v_lshlrev_b16_sdwa v15, v13, v15 dst_sel:DWORD dst_unused:UNUSED_PAD src0_sel:DWORD src1_sel:WORD_1
	v_add_u16_e32 v16, 0xe000, v16
	v_or_b32_sdwa v16, v17, v16 dst_sel:DWORD dst_unused:UNUSED_PAD src0_sel:DWORD src1_sel:BYTE_1
	v_lshlrev_b16_e32 v17, 8, v14
	v_add_u16_e32 v15, 0xe000, v15
	v_or_b32_sdwa v15, v22, v15 dst_sel:DWORD dst_unused:UNUSED_PAD src0_sel:DWORD src1_sel:BYTE_1
	v_and_b32_e32 v22, 0x3f00, v14
	v_add_u16_e32 v17, 0xe000, v17
	v_or_b32_sdwa v17, v22, v17 dst_sel:DWORD dst_unused:UNUSED_PAD src0_sel:DWORD src1_sel:BYTE_1
	v_and_b32_sdwa v22, v14, s12 dst_sel:DWORD dst_unused:UNUSED_PAD src0_sel:WORD_1 src1_sel:DWORD
	v_lshlrev_b16_sdwa v14, v13, v14 dst_sel:DWORD dst_unused:UNUSED_PAD src0_sel:DWORD src1_sel:WORD_1
	v_add_u16_e32 v14, 0xe000, v14
	v_or_b32_sdwa v14, v22, v14 dst_sel:DWORD dst_unused:UNUSED_PAD src0_sel:DWORD src1_sel:BYTE_1
	v_add_u16_e32 v16, 0xe000, v16
	v_add_u16_sdwa v15, v15, s13 dst_sel:WORD_1 dst_unused:UNUSED_PAD src0_sel:DWORD src1_sel:DWORD
	v_add_u16_e32 v17, 0xe000, v17
	v_add_u16_sdwa v14, v14, s13 dst_sel:WORD_1 dst_unused:UNUSED_PAD src0_sel:DWORD src1_sel:DWORD
	v_or_b32_e32 v15, v16, v15
	v_or_b32_e32 v14, v17, v14
	s_waitcnt vmcnt(6)
	v_dot4_i32_i8 v15, v15, v24, 0
	s_waitcnt vmcnt(5)
	v_dot4_i32_i8 v14, v14, v25, 0
	s_waitcnt vmcnt(4)
	v_mul_lo_u32 v15, v15, v18
	s_waitcnt vmcnt(3)
	v_mul_lo_u32 v14, v14, v19
	v_cvt_f32_i32_e32 v15, v15
	v_cvt_f32_i32_e32 v14, v14
	s_waitcnt vmcnt(2)
	v_fma_mix_f32 v15, v20, v15, 0 op_sel_hi:[1,0,0]
	s_waitcnt vmcnt(1)
	v_fma_mix_f32 v14, v21, v14, v15 op_sel_hi:[1,0,0]
	;; [unrolled: 2-line block ×3, first 2 shown]
	s_andn2_b64 exec, exec, s[0:1]
	s_cbranch_execnz .LBB148_9
; %bb.10:
	s_or_b64 exec, exec, s[0:1]
.LBB148_11:
	s_or_b64 exec, exec, s[20:21]
	v_cmp_eq_u32_e32 vcc, 0, v1
	s_waitcnt lgkmcnt(0)
	v_cmp_ne_u32_e64 s[0:1], 0, v1
	v_lshlrev_b32_e32 v2, 2, v0
	s_and_saveexec_b64 s[12:13], s[0:1]
; %bb.12:
	v_lshlrev_b32_e32 v1, 8, v1
	s_movk_i32 s0, 0xff00
	v_add3_u32 v1, v1, v2, s0
	ds_write_b32 v1, v6
; %bb.13:
	s_or_b64 exec, exec, s[12:13]
	s_waitcnt lgkmcnt(0)
	s_barrier
	s_and_saveexec_b64 s[0:1], vcc
	s_cbranch_execz .LBB148_16
; %bb.14:
	ds_read_b32 v1, v2
	v_mbcnt_lo_u32_b32 v2, -1, 0
	v_mbcnt_hi_u32_b32 v2, -1, v2
	v_and_b32_e32 v3, 64, v2
	v_add_u32_e32 v3, 64, v3
	v_xor_b32_e32 v4, 32, v2
	v_cmp_lt_i32_e32 vcc, v4, v3
	v_cndmask_b32_e32 v4, v2, v4, vcc
	v_lshlrev_b32_e32 v4, 2, v4
	s_waitcnt lgkmcnt(0)
	v_add_f32_e32 v1, v6, v1
	ds_bpermute_b32 v4, v4, v1
	v_xor_b32_e32 v5, 16, v2
	v_cmp_lt_i32_e32 vcc, v5, v3
	v_cndmask_b32_e32 v5, v2, v5, vcc
	v_lshlrev_b32_e32 v5, 2, v5
	s_waitcnt lgkmcnt(0)
	v_add_f32_e32 v1, v1, v4
	ds_bpermute_b32 v4, v5, v1
	;; [unrolled: 7-line block ×6, first 2 shown]
	s_mov_b32 s1, 0
	v_cmp_eq_u32_e32 vcc, 0, v0
	s_and_b64 exec, exec, vcc
	s_cbranch_execz .LBB148_16
; %bb.15:
	s_load_dwordx2 s[4:5], s[4:5], 0x38
	s_mul_i32 s0, s2, s10
	s_add_i32 s0, s0, s6
	s_mul_i32 s2, s14, s8
	s_add_i32 s0, s0, s2
	s_lshl_b64 s[0:1], s[0:1], 2
	s_waitcnt lgkmcnt(0)
	s_add_u32 s0, s4, s0
	v_add_f32_e32 v0, v1, v2
	s_addc_u32 s1, s5, s1
	v_mov_b32_e32 v1, 0
	global_store_dword v1, v0, s[0:1]
.LBB148_16:
	s_endpgm
	.section	.rodata,"a",@progbits
	.p2align	6, 0x0
	.amdhsa_kernel _ZL13mul_mat_vec_qIL9ggml_type14ELi1ELb0ELb0EEvPKvS2_PKi31ggml_cuda_mm_fusion_args_devicePfj15HIP_vector_typeIjLj3EEjjjS8_jjjS8_jjjj
		.amdhsa_group_segment_fixed_size 256
		.amdhsa_private_segment_fixed_size 0
		.amdhsa_kernarg_size 144
		.amdhsa_user_sgpr_count 6
		.amdhsa_user_sgpr_private_segment_buffer 1
		.amdhsa_user_sgpr_dispatch_ptr 0
		.amdhsa_user_sgpr_queue_ptr 0
		.amdhsa_user_sgpr_kernarg_segment_ptr 1
		.amdhsa_user_sgpr_dispatch_id 0
		.amdhsa_user_sgpr_flat_scratch_init 0
		.amdhsa_user_sgpr_private_segment_size 0
		.amdhsa_uses_dynamic_stack 0
		.amdhsa_system_sgpr_private_segment_wavefront_offset 0
		.amdhsa_system_sgpr_workgroup_id_x 1
		.amdhsa_system_sgpr_workgroup_id_y 1
		.amdhsa_system_sgpr_workgroup_id_z 1
		.amdhsa_system_sgpr_workgroup_info 0
		.amdhsa_system_vgpr_workitem_id 1
		.amdhsa_next_free_vgpr 27
		.amdhsa_next_free_sgpr 24
		.amdhsa_reserve_vcc 1
		.amdhsa_reserve_flat_scratch 0
		.amdhsa_float_round_mode_32 0
		.amdhsa_float_round_mode_16_64 0
		.amdhsa_float_denorm_mode_32 3
		.amdhsa_float_denorm_mode_16_64 3
		.amdhsa_dx10_clamp 1
		.amdhsa_ieee_mode 1
		.amdhsa_fp16_overflow 0
		.amdhsa_exception_fp_ieee_invalid_op 0
		.amdhsa_exception_fp_denorm_src 0
		.amdhsa_exception_fp_ieee_div_zero 0
		.amdhsa_exception_fp_ieee_overflow 0
		.amdhsa_exception_fp_ieee_underflow 0
		.amdhsa_exception_fp_ieee_inexact 0
		.amdhsa_exception_int_div_zero 0
	.end_amdhsa_kernel
	.section	.text._ZL13mul_mat_vec_qIL9ggml_type14ELi1ELb0ELb0EEvPKvS2_PKi31ggml_cuda_mm_fusion_args_devicePfj15HIP_vector_typeIjLj3EEjjjS8_jjjS8_jjjj,"axG",@progbits,_ZL13mul_mat_vec_qIL9ggml_type14ELi1ELb0ELb0EEvPKvS2_PKi31ggml_cuda_mm_fusion_args_devicePfj15HIP_vector_typeIjLj3EEjjjS8_jjjS8_jjjj,comdat
.Lfunc_end148:
	.size	_ZL13mul_mat_vec_qIL9ggml_type14ELi1ELb0ELb0EEvPKvS2_PKi31ggml_cuda_mm_fusion_args_devicePfj15HIP_vector_typeIjLj3EEjjjS8_jjjS8_jjjj, .Lfunc_end148-_ZL13mul_mat_vec_qIL9ggml_type14ELi1ELb0ELb0EEvPKvS2_PKi31ggml_cuda_mm_fusion_args_devicePfj15HIP_vector_typeIjLj3EEjjjS8_jjjS8_jjjj
                                        ; -- End function
	.set _ZL13mul_mat_vec_qIL9ggml_type14ELi1ELb0ELb0EEvPKvS2_PKi31ggml_cuda_mm_fusion_args_devicePfj15HIP_vector_typeIjLj3EEjjjS8_jjjS8_jjjj.num_vgpr, 27
	.set _ZL13mul_mat_vec_qIL9ggml_type14ELi1ELb0ELb0EEvPKvS2_PKi31ggml_cuda_mm_fusion_args_devicePfj15HIP_vector_typeIjLj3EEjjjS8_jjjS8_jjjj.num_agpr, 0
	.set _ZL13mul_mat_vec_qIL9ggml_type14ELi1ELb0ELb0EEvPKvS2_PKi31ggml_cuda_mm_fusion_args_devicePfj15HIP_vector_typeIjLj3EEjjjS8_jjjS8_jjjj.numbered_sgpr, 24
	.set _ZL13mul_mat_vec_qIL9ggml_type14ELi1ELb0ELb0EEvPKvS2_PKi31ggml_cuda_mm_fusion_args_devicePfj15HIP_vector_typeIjLj3EEjjjS8_jjjS8_jjjj.num_named_barrier, 0
	.set _ZL13mul_mat_vec_qIL9ggml_type14ELi1ELb0ELb0EEvPKvS2_PKi31ggml_cuda_mm_fusion_args_devicePfj15HIP_vector_typeIjLj3EEjjjS8_jjjS8_jjjj.private_seg_size, 0
	.set _ZL13mul_mat_vec_qIL9ggml_type14ELi1ELb0ELb0EEvPKvS2_PKi31ggml_cuda_mm_fusion_args_devicePfj15HIP_vector_typeIjLj3EEjjjS8_jjjS8_jjjj.uses_vcc, 1
	.set _ZL13mul_mat_vec_qIL9ggml_type14ELi1ELb0ELb0EEvPKvS2_PKi31ggml_cuda_mm_fusion_args_devicePfj15HIP_vector_typeIjLj3EEjjjS8_jjjS8_jjjj.uses_flat_scratch, 0
	.set _ZL13mul_mat_vec_qIL9ggml_type14ELi1ELb0ELb0EEvPKvS2_PKi31ggml_cuda_mm_fusion_args_devicePfj15HIP_vector_typeIjLj3EEjjjS8_jjjS8_jjjj.has_dyn_sized_stack, 0
	.set _ZL13mul_mat_vec_qIL9ggml_type14ELi1ELb0ELb0EEvPKvS2_PKi31ggml_cuda_mm_fusion_args_devicePfj15HIP_vector_typeIjLj3EEjjjS8_jjjS8_jjjj.has_recursion, 0
	.set _ZL13mul_mat_vec_qIL9ggml_type14ELi1ELb0ELb0EEvPKvS2_PKi31ggml_cuda_mm_fusion_args_devicePfj15HIP_vector_typeIjLj3EEjjjS8_jjjS8_jjjj.has_indirect_call, 0
	.section	.AMDGPU.csdata,"",@progbits
; Kernel info:
; codeLenInByte = 1280
; TotalNumSgprs: 28
; NumVgprs: 27
; ScratchSize: 0
; MemoryBound: 0
; FloatMode: 240
; IeeeMode: 1
; LDSByteSize: 256 bytes/workgroup (compile time only)
; SGPRBlocks: 3
; VGPRBlocks: 6
; NumSGPRsForWavesPerEU: 28
; NumVGPRsForWavesPerEU: 27
; Occupancy: 9
; WaveLimiterHint : 0
; COMPUTE_PGM_RSRC2:SCRATCH_EN: 0
; COMPUTE_PGM_RSRC2:USER_SGPR: 6
; COMPUTE_PGM_RSRC2:TRAP_HANDLER: 0
; COMPUTE_PGM_RSRC2:TGID_X_EN: 1
; COMPUTE_PGM_RSRC2:TGID_Y_EN: 1
; COMPUTE_PGM_RSRC2:TGID_Z_EN: 1
; COMPUTE_PGM_RSRC2:TIDIG_COMP_CNT: 1
	.section	.text._ZL13mul_mat_vec_qIL9ggml_type14ELi2ELb0ELb0EEvPKvS2_PKi31ggml_cuda_mm_fusion_args_devicePfj15HIP_vector_typeIjLj3EEjjjS8_jjjS8_jjjj,"axG",@progbits,_ZL13mul_mat_vec_qIL9ggml_type14ELi2ELb0ELb0EEvPKvS2_PKi31ggml_cuda_mm_fusion_args_devicePfj15HIP_vector_typeIjLj3EEjjjS8_jjjS8_jjjj,comdat
	.globl	_ZL13mul_mat_vec_qIL9ggml_type14ELi2ELb0ELb0EEvPKvS2_PKi31ggml_cuda_mm_fusion_args_devicePfj15HIP_vector_typeIjLj3EEjjjS8_jjjS8_jjjj ; -- Begin function _ZL13mul_mat_vec_qIL9ggml_type14ELi2ELb0ELb0EEvPKvS2_PKi31ggml_cuda_mm_fusion_args_devicePfj15HIP_vector_typeIjLj3EEjjjS8_jjjS8_jjjj
	.p2align	8
	.type	_ZL13mul_mat_vec_qIL9ggml_type14ELi2ELb0ELb0EEvPKvS2_PKi31ggml_cuda_mm_fusion_args_devicePfj15HIP_vector_typeIjLj3EEjjjS8_jjjS8_jjjj,@function
_ZL13mul_mat_vec_qIL9ggml_type14ELi2ELb0ELb0EEvPKvS2_PKi31ggml_cuda_mm_fusion_args_devicePfj15HIP_vector_typeIjLj3EEjjjS8_jjjS8_jjjj: ; @_ZL13mul_mat_vec_qIL9ggml_type14ELi2ELb0ELb0EEvPKvS2_PKi31ggml_cuda_mm_fusion_args_devicePfj15HIP_vector_typeIjLj3EEjjjS8_jjjS8_jjjj
; %bb.0:
	s_load_dword s9, s[4:5], 0x40
	s_load_dwordx4 s[0:3], s[4:5], 0x50
	s_load_dword s25, s[4:5], 0x60
	s_load_dwordx4 s[12:15], s[4:5], 0x68
	;; [unrolled: 2-line block ×3, first 2 shown]
	v_lshl_add_u32 v2, v1, 6, v0
	s_waitcnt lgkmcnt(0)
	s_lshr_b32 s9, s9, 8
	v_lshrrev_b32_e32 v12, 5, v2
	s_lshl_b32 s6, s6, 1
	v_cmp_gt_u32_e32 vcc, s9, v12
	v_mov_b32_e32 v11, 0
	v_mov_b32_e32 v10, 0
	;; [unrolled: 1-line block ×4, first 2 shown]
	s_and_saveexec_b64 s[10:11], vcc
	s_cbranch_execz .LBB149_4
; %bb.1:
	s_mul_hi_u32 s3, s3, s7
	s_add_i32 s3, s7, s3
	s_load_dwordx4 s[20:23], s[4:5], 0x0
	s_lshr_b32 s3, s3, s25
	s_mul_i32 s3, s3, s12
	s_mul_hi_u32 s12, s15, s8
	s_add_i32 s12, s8, s12
	s_lshr_b32 s12, s12, s24
	s_mul_i32 s19, s17, s8
	s_mul_i32 s15, s12, s16
	;; [unrolled: 1-line block ×3, first 2 shown]
	s_mul_hi_u32 s12, s19, 36
	s_waitcnt lgkmcnt(0)
	s_add_u32 s16, s22, s16
	s_addc_u32 s17, s23, s12
	s_mul_i32 s12, s13, s7
	s_mul_hi_u32 s13, s12, 36
	s_mul_i32 s12, s12, 36
	v_bfe_u32 v3, v0, 4, 1
	v_and_b32_e32 v4, 15, v0
	s_add_u32 s16, s16, s12
	v_and_b32_e32 v2, 31, v0
	v_lshrrev_b16_e32 v5, 3, v4
	v_lshlrev_b32_e32 v9, 3, v3
	v_and_b32_e32 v10, 7, v0
	s_addc_u32 s17, s17, s13
	v_lshl_or_b32 v6, v3, 2, v5
	v_lshlrev_b32_e32 v7, 1, v2
	v_or_b32_e32 v2, v9, v10
	v_lshrrev_b16_e32 v4, 2, v4
	v_lshlrev_b32_e32 v11, 1, v2
	v_mad_u64_u32 v[2:3], s[16:17], v6, 36, s[16:17]
	v_lshlrev_b32_e32 v13, 1, v5
	v_or_b32_e32 v14, v9, v4
	v_mov_b32_e32 v4, s12
	s_movk_i32 s16, 0x120
	v_mov_b32_e32 v5, s13
	v_mad_u64_u32 v[4:5], s[12:13], v12, s16, v[4:5]
	s_add_i32 s16, s6, 1
	s_add_i32 s15, s15, s3
	v_mad_u64_u32 v[4:5], s[12:13], s19, 36, v[4:5]
	s_mul_i32 s3, s6, s0
	s_mul_i32 s0, s0, s16
	v_mad_u64_u32 v[4:5], s[12:13], v6, 36, v[4:5]
	v_mov_b32_e32 v6, s23
	v_lshlrev_b32_e32 v17, 1, v7
	v_add_co_u32_e32 v4, vcc, s22, v4
	v_addc_co_u32_e32 v5, vcc, v6, v5, vcc
	v_mov_b32_e32 v6, s20
	v_mov_b32_e32 v8, 0
	s_add_i32 s3, s15, s3
	s_add_i32 s15, s15, s0
	v_lshlrev_b32_e32 v15, 2, v10
	v_lshl_add_u32 v16, v12, 3, s1
	s_mov_b64 s[12:13], 0
	s_movk_i32 s16, 0xd2
	v_lshlrev_b32_e32 v18, 1, v11
	s_mov_b32 s17, 0x30303030
	s_movk_i32 s19, 0x3f00
	s_movk_i32 s22, 0xe000
	v_lshlrev_b32_e32 v19, 2, v10
	v_mov_b32_e32 v7, s21
	v_mov_b32_e32 v20, 8
	;; [unrolled: 1-line block ×5, first 2 shown]
.LBB149_2:                              ; =>This Inner Loop Header: Depth=1
	v_add_co_u32_e32 v21, vcc, v4, v15
	v_addc_co_u32_e32 v22, vcc, 0, v5, vcc
	global_load_dword v27, v[21:22], off offset:4
	global_load_dword v28, v[21:22], off offset:76
	v_add_u32_e32 v21, s3, v12
	v_mad_i64_i32 v[21:22], s[0:1], v21, s16, v[6:7]
	v_add_co_u32_e32 v23, vcc, v21, v17
	v_addc_co_u32_e32 v24, vcc, 0, v22, vcc
	global_load_dword v29, v[23:24], off
	v_add_co_u32_e32 v23, vcc, v21, v18
	v_addc_co_u32_e32 v24, vcc, 0, v22, vcc
	global_load_dword v30, v[23:24], off offset:128
	v_add_u32_e32 v23, s15, v12
	v_mad_i64_i32 v[23:24], s[0:1], v23, s16, v[6:7]
	v_add_u32_e32 v12, 4, v12
	v_add_co_u32_e32 v25, vcc, v23, v18
	v_addc_co_u32_e32 v26, vcc, 0, v24, vcc
	global_load_dword v31, v[25:26], off offset:128
	v_add_co_u32_e32 v25, vcc, v23, v17
	v_addc_co_u32_e32 v26, vcc, 0, v24, vcc
	global_load_dword v32, v[25:26], off
	v_add_co_u32_e32 v25, vcc, v21, v14
	v_addc_co_u32_e32 v26, vcc, 0, v22, vcc
	global_load_sbyte v33, v[25:26], off offset:192
	global_load_sbyte v34, v[25:26], off offset:196
	v_add_co_u32_e32 v25, vcc, v23, v14
	v_addc_co_u32_e32 v26, vcc, 0, v24, vcc
	global_load_ushort v35, v[23:24], off offset:208
	global_load_ushort v36, v[21:22], off offset:208
	global_load_sbyte v37, v[25:26], off offset:192
	global_load_sbyte v38, v[25:26], off offset:196
	s_waitcnt vmcnt(9)
	v_and_b32_e32 v22, 0xf0f0f0f, v29
	s_waitcnt vmcnt(8)
	v_ashrrev_i32_e32 v21, v13, v30
	v_lshlrev_b32_e32 v23, 4, v21
	v_and_or_b32 v22, v23, s17, v22
	v_lshrrev_b32_e32 v23, 4, v29
	v_and_b32_e32 v23, 0xf0f0f0f, v23
	v_and_or_b32 v21, v21, s17, v23
	v_and_b32_e32 v26, 0x3f00, v22
	v_and_b32_e32 v29, 0x3f00, v21
	s_waitcnt vmcnt(7)
	v_ashrrev_i32_e32 v23, v13, v31
	v_lshlrev_b32_e32 v25, 4, v23
	s_waitcnt vmcnt(6)
	v_and_b32_e32 v24, 0xf0f0f0f, v32
	v_and_or_b32 v24, v25, s17, v24
	v_lshrrev_b32_e32 v25, 4, v32
	v_and_b32_e32 v25, 0xf0f0f0f, v25
	v_and_or_b32 v23, v23, s17, v25
	v_lshlrev_b16_e32 v25, 8, v22
	v_add_u16_e32 v25, 0xe000, v25
	v_or_b32_sdwa v25, v26, v25 dst_sel:DWORD dst_unused:UNUSED_PAD src0_sel:DWORD src1_sel:BYTE_1
	v_and_b32_sdwa v26, v22, s19 dst_sel:DWORD dst_unused:UNUSED_PAD src0_sel:WORD_1 src1_sel:DWORD
	v_lshlrev_b16_sdwa v22, v20, v22 dst_sel:DWORD dst_unused:UNUSED_PAD src0_sel:DWORD src1_sel:WORD_1
	v_add_u16_e32 v22, 0xe000, v22
	v_or_b32_sdwa v22, v26, v22 dst_sel:DWORD dst_unused:UNUSED_PAD src0_sel:DWORD src1_sel:BYTE_1
	v_lshlrev_b16_e32 v26, 8, v21
	v_add_u16_e32 v26, 0xe000, v26
	v_or_b32_sdwa v26, v29, v26 dst_sel:DWORD dst_unused:UNUSED_PAD src0_sel:DWORD src1_sel:BYTE_1
	v_and_b32_sdwa v29, v21, s19 dst_sel:DWORD dst_unused:UNUSED_PAD src0_sel:WORD_1 src1_sel:DWORD
	v_lshlrev_b16_sdwa v21, v20, v21 dst_sel:DWORD dst_unused:UNUSED_PAD src0_sel:DWORD src1_sel:WORD_1
	v_add_u16_e32 v21, 0xe000, v21
	v_or_b32_sdwa v21, v29, v21 dst_sel:DWORD dst_unused:UNUSED_PAD src0_sel:DWORD src1_sel:BYTE_1
	v_lshlrev_b16_e32 v29, 8, v24
	v_add_u16_e32 v29, 0xe000, v29
	v_and_b32_e32 v30, 0x3f00, v24
	v_or_b32_sdwa v29, v30, v29 dst_sel:DWORD dst_unused:UNUSED_PAD src0_sel:DWORD src1_sel:BYTE_1
	v_and_b32_sdwa v30, v24, s19 dst_sel:DWORD dst_unused:UNUSED_PAD src0_sel:WORD_1 src1_sel:DWORD
	v_lshlrev_b16_sdwa v24, v20, v24 dst_sel:DWORD dst_unused:UNUSED_PAD src0_sel:DWORD src1_sel:WORD_1
	v_add_u16_e32 v24, 0xe000, v24
	v_or_b32_sdwa v24, v30, v24 dst_sel:DWORD dst_unused:UNUSED_PAD src0_sel:DWORD src1_sel:BYTE_1
	v_lshlrev_b16_e32 v30, 8, v23
	v_add_u16_e32 v30, 0xe000, v30
	v_and_b32_e32 v31, 0x3f00, v23
	v_or_b32_sdwa v30, v31, v30 dst_sel:DWORD dst_unused:UNUSED_PAD src0_sel:DWORD src1_sel:BYTE_1
	v_and_b32_sdwa v31, v23, s19 dst_sel:DWORD dst_unused:UNUSED_PAD src0_sel:WORD_1 src1_sel:DWORD
	v_lshlrev_b16_sdwa v23, v20, v23 dst_sel:DWORD dst_unused:UNUSED_PAD src0_sel:DWORD src1_sel:WORD_1
	v_add_u16_e32 v25, 0xe000, v25
	v_add_u16_sdwa v22, v22, s22 dst_sel:WORD_1 dst_unused:UNUSED_PAD src0_sel:DWORD src1_sel:DWORD
	v_add_u16_e32 v23, 0xe000, v23
	v_or_b32_e32 v25, v25, v22
	v_add_u16_e32 v22, 0xe000, v26
	v_add_u16_sdwa v21, v21, s22 dst_sel:WORD_1 dst_unused:UNUSED_PAD src0_sel:DWORD src1_sel:DWORD
	v_or_b32_sdwa v23, v31, v23 dst_sel:DWORD dst_unused:UNUSED_PAD src0_sel:DWORD src1_sel:BYTE_1
	v_or_b32_e32 v26, v22, v21
	v_add_u16_e32 v21, 0xe000, v29
	v_add_u16_sdwa v22, v24, s22 dst_sel:WORD_1 dst_unused:UNUSED_PAD src0_sel:DWORD src1_sel:DWORD
	v_or_b32_e32 v29, v21, v22
	v_add_u16_sdwa v22, v23, s22 dst_sel:WORD_1 dst_unused:UNUSED_PAD src0_sel:DWORD src1_sel:DWORD
	global_load_dword v23, v[4:5], off
	global_load_dword v24, v[4:5], off offset:72
	v_add_u16_e32 v21, 0xe000, v30
	v_or_b32_e32 v30, v21, v22
	v_dot4_i32_i8 v21, v25, v27, 0
	v_dot4_i32_i8 v22, v29, v27, 0
	s_waitcnt vmcnt(7)
	v_mul_lo_u32 v21, v21, v33
	s_waitcnt vmcnt(3)
	v_mul_lo_u32 v22, v22, v37
	v_cvt_f32_i32_e32 v21, v21
	v_cvt_f32_i32_e32 v22, v22
	s_waitcnt vmcnt(1)
	v_fma_mix_f32 v21, v23, v21, 0 op_sel_hi:[1,0,0]
	v_fma_mix_f32 v22, v23, v22, 0 op_sel_hi:[1,0,0]
	v_dot4_i32_i8 v23, v26, v28, 0
	v_mul_lo_u32 v23, v23, v34
	v_cvt_f32_i32_e32 v23, v23
	s_waitcnt vmcnt(0)
	v_fma_mix_f32 v27, v24, v23, v21 op_sel_hi:[1,0,0]
	v_dot4_i32_i8 v21, v30, v28, 0
	v_mul_lo_u32 v21, v21, v38
	v_fma_mix_f32 v11, v27, v36, v11 op_sel_hi:[0,1,0]
	v_cvt_f32_i32_e32 v21, v21
	v_fma_mix_f32 v28, v24, v21, v22 op_sel_hi:[1,0,0]
	v_mad_u64_u32 v[21:22], s[0:1], v16, 36, v[2:3]
	v_cmp_le_u32_e64 s[0:1], s9, v12
	v_fma_mix_f32 v10, v28, v35, v10 op_sel_hi:[0,1,0]
	v_add_co_u32_e32 v23, vcc, v21, v19
	v_addc_co_u32_e32 v24, vcc, 0, v22, vcc
	global_load_dword v31, v[23:24], off offset:4
	global_load_dword v32, v[23:24], off offset:76
	global_load_dword v39, v[21:22], off
                                        ; kill: killed $vgpr23 killed $vgpr24
	s_nop 0
	global_load_dword v21, v[21:22], off offset:72
	v_add_co_u32_e32 v4, vcc, 0x480, v4
	v_add_u32_e32 v16, 32, v16
	s_or_b64 s[12:13], s[0:1], s[12:13]
	v_addc_co_u32_e32 v5, vcc, 0, v5, vcc
	s_waitcnt vmcnt(3)
	v_dot4_i32_i8 v22, v25, v31, 0
	s_waitcnt vmcnt(2)
	v_dot4_i32_i8 v24, v26, v32, 0
	v_mul_lo_u32 v22, v22, v33
	v_mul_lo_u32 v24, v24, v34
	v_dot4_i32_i8 v23, v29, v31, 0
	v_dot4_i32_i8 v25, v30, v32, 0
	v_mul_lo_u32 v23, v23, v37
	v_cvt_f32_i32_e32 v22, v22
	v_mul_lo_u32 v25, v25, v38
	v_cvt_f32_i32_e32 v24, v24
	v_cvt_f32_i32_e32 v23, v23
	s_waitcnt vmcnt(1)
	v_fma_mix_f32 v22, v39, v22, 0 op_sel_hi:[1,0,0]
	s_waitcnt vmcnt(0)
	v_fma_mix_f32 v22, v21, v24, v22 op_sel_hi:[1,0,0]
	v_cvt_f32_i32_e32 v24, v25
	v_fma_mix_f32 v23, v39, v23, 0 op_sel_hi:[1,0,0]
	v_fma_mix_f32 v9, v22, v36, v9 op_sel_hi:[0,1,0]
	;; [unrolled: 1-line block ×4, first 2 shown]
	s_andn2_b64 exec, exec, s[12:13]
	s_cbranch_execnz .LBB149_2
; %bb.3:
	s_or_b64 exec, exec, s[12:13]
.LBB149_4:
	s_or_b64 exec, exec, s[10:11]
	v_cmp_eq_u32_e32 vcc, 0, v1
	v_cmp_ne_u32_e64 s[0:1], 0, v1
	v_lshlrev_b32_e32 v2, 2, v0
	s_and_saveexec_b64 s[10:11], s[0:1]
	s_cbranch_execz .LBB149_6
; %bb.5:
	v_lshl_or_b32 v1, v1, 10, v2
	v_add_u32_e32 v1, 0xfffffc00, v1
	ds_write2st64_b32 v1, v11, v10 offset1:1
	ds_write2st64_b32 v1, v9, v8 offset0:2 offset1:3
.LBB149_6:
	s_or_b64 exec, exec, s[10:11]
	s_waitcnt lgkmcnt(0)
	s_barrier
	s_and_saveexec_b64 s[0:1], vcc
	s_cbranch_execz .LBB149_11
; %bb.7:
	v_mbcnt_lo_u32_b32 v1, -1, 0
	v_mbcnt_hi_u32_b32 v7, -1, v1
	ds_read2st64_b32 v[5:6], v2 offset1:1
	v_and_b32_e32 v1, 64, v7
	v_add_u32_e32 v12, 64, v1
	v_xor_b32_e32 v1, 32, v7
	v_cmp_lt_i32_e32 vcc, v1, v12
	v_cndmask_b32_e32 v1, v7, v1, vcc
	v_lshlrev_b32_e32 v1, 2, v1
	s_waitcnt lgkmcnt(0)
	v_add_f32_e32 v11, v5, v11
	v_add_f32_e32 v6, v6, v10
	ds_bpermute_b32 v14, v1, v11
	ds_bpermute_b32 v10, v1, v6
	v_xor_b32_e32 v3, 16, v7
	v_cmp_lt_i32_e32 vcc, v3, v12
	v_cndmask_b32_e32 v3, v7, v3, vcc
	v_lshlrev_b32_e32 v3, 2, v3
	s_waitcnt lgkmcnt(1)
	v_add_f32_e32 v11, v11, v14
	s_waitcnt lgkmcnt(0)
	v_add_f32_e32 v6, v6, v10
	ds_bpermute_b32 v14, v3, v11
	ds_bpermute_b32 v10, v3, v6
	v_xor_b32_e32 v4, 8, v7
	v_cmp_lt_i32_e32 vcc, v4, v12
	v_cndmask_b32_e32 v4, v7, v4, vcc
	v_lshlrev_b32_e32 v4, 2, v4
	s_waitcnt lgkmcnt(1)
	v_add_f32_e32 v11, v11, v14
	s_waitcnt lgkmcnt(0)
	;; [unrolled: 10-line block ×3, first 2 shown]
	v_add_f32_e32 v10, v10, v15
	ds_bpermute_b32 v14, v5, v11
	ds_bpermute_b32 v15, v5, v10
	v_xor_b32_e32 v13, 2, v7
	v_cmp_lt_i32_e32 vcc, v13, v12
	v_cndmask_b32_e32 v13, v7, v13, vcc
	v_lshlrev_b32_e32 v6, 2, v13
	v_xor_b32_e32 v13, 1, v7
	v_cmp_lt_i32_e32 vcc, v13, v12
	s_waitcnt lgkmcnt(1)
	v_add_f32_e32 v12, v11, v14
	s_waitcnt lgkmcnt(0)
	v_add_f32_e32 v10, v10, v15
	v_cndmask_b32_e32 v7, v7, v13, vcc
	ds_bpermute_b32 v13, v6, v12
	ds_bpermute_b32 v14, v6, v10
	s_load_dwordx2 s[0:1], s[4:5], 0x38
	s_mul_i32 s4, s14, s7
	v_lshlrev_b32_e32 v11, 2, v7
	s_waitcnt lgkmcnt(0)
	v_add_f32_e32 v7, v12, v13
	v_add_f32_e32 v10, v10, v14
	s_mul_i32 s3, s18, s8
	s_add_i32 s4, s4, s6
	ds_bpermute_b32 v12, v11, v7
	ds_bpermute_b32 v13, v11, v10
	s_add_i32 s4, s4, s3
	s_mov_b32 s5, 0
	s_lshl_b64 s[4:5], s[4:5], 2
	s_add_u32 s4, s0, s4
	v_add_u32_e32 v14, s6, v0
	s_addc_u32 s5, s1, s5
	v_cmp_gt_u32_e32 vcc, 2, v0
	v_cmp_gt_u32_e64 s[0:1], s2, v14
	s_and_b64 s[0:1], vcc, s[0:1]
	s_waitcnt lgkmcnt(1)
	v_add_f32_e32 v7, v7, v12
	s_waitcnt lgkmcnt(0)
	v_add_f32_e32 v10, v10, v13
	s_and_saveexec_b64 s[6:7], s[0:1]
	s_cbranch_execz .LBB149_9
; %bb.8:
	v_cmp_eq_u32_e32 vcc, 1, v0
	v_cndmask_b32_e32 v12, v7, v10, vcc
	v_cmp_eq_u32_e32 vcc, 2, v0
	v_cndmask_b32_e32 v12, v12, v9, vcc
	;; [unrolled: 2-line block ×3, first 2 shown]
	global_store_dword v2, v12, s[4:5]
.LBB149_9:
	s_or_b64 exec, exec, s[6:7]
	ds_read2st64_b32 v[12:13], v2 offset0:2 offset1:3
	s_waitcnt lgkmcnt(0)
	v_add_f32_e32 v2, v12, v9
	v_add_f32_e32 v8, v13, v8
	ds_bpermute_b32 v9, v1, v2
	ds_bpermute_b32 v1, v1, v8
	s_waitcnt lgkmcnt(1)
	v_add_f32_e32 v2, v2, v9
	s_waitcnt lgkmcnt(0)
	v_add_f32_e32 v1, v8, v1
	ds_bpermute_b32 v8, v3, v2
	ds_bpermute_b32 v3, v3, v1
	s_waitcnt lgkmcnt(1)
	v_add_f32_e32 v2, v2, v8
	s_waitcnt lgkmcnt(0)
	;; [unrolled: 6-line block ×5, first 2 shown]
	v_add_f32_e32 v2, v3, v4
	ds_bpermute_b32 v3, v11, v1
	ds_bpermute_b32 v4, v11, v2
	s_and_b64 exec, exec, s[0:1]
	s_cbranch_execz .LBB149_11
; %bb.10:
	s_waitcnt lgkmcnt(1)
	v_add_f32_e32 v1, v1, v3
	v_add_u32_e32 v3, 2, v0
	v_cmp_eq_u32_e32 vcc, 1, v3
	s_waitcnt lgkmcnt(0)
	v_add_f32_e32 v2, v2, v4
	v_cndmask_b32_e32 v4, v7, v10, vcc
	v_cmp_eq_u32_e32 vcc, 2, v3
	v_cndmask_b32_e32 v1, v4, v1, vcc
	v_cmp_eq_u32_e32 vcc, 3, v3
	v_cndmask_b32_e32 v2, v1, v2, vcc
	v_add_u32_e32 v0, s2, v0
	v_mov_b32_e32 v1, 0
	v_lshlrev_b64 v[0:1], 2, v[0:1]
	v_mov_b32_e32 v3, s5
	v_add_co_u32_e32 v0, vcc, s4, v0
	v_addc_co_u32_e32 v1, vcc, v3, v1, vcc
	global_store_dword v[0:1], v2, off
.LBB149_11:
	s_endpgm
	.section	.rodata,"a",@progbits
	.p2align	6, 0x0
	.amdhsa_kernel _ZL13mul_mat_vec_qIL9ggml_type14ELi2ELb0ELb0EEvPKvS2_PKi31ggml_cuda_mm_fusion_args_devicePfj15HIP_vector_typeIjLj3EEjjjS8_jjjS8_jjjj
		.amdhsa_group_segment_fixed_size 1024
		.amdhsa_private_segment_fixed_size 0
		.amdhsa_kernarg_size 144
		.amdhsa_user_sgpr_count 6
		.amdhsa_user_sgpr_private_segment_buffer 1
		.amdhsa_user_sgpr_dispatch_ptr 0
		.amdhsa_user_sgpr_queue_ptr 0
		.amdhsa_user_sgpr_kernarg_segment_ptr 1
		.amdhsa_user_sgpr_dispatch_id 0
		.amdhsa_user_sgpr_flat_scratch_init 0
		.amdhsa_user_sgpr_private_segment_size 0
		.amdhsa_uses_dynamic_stack 0
		.amdhsa_system_sgpr_private_segment_wavefront_offset 0
		.amdhsa_system_sgpr_workgroup_id_x 1
		.amdhsa_system_sgpr_workgroup_id_y 1
		.amdhsa_system_sgpr_workgroup_id_z 1
		.amdhsa_system_sgpr_workgroup_info 0
		.amdhsa_system_vgpr_workitem_id 1
		.amdhsa_next_free_vgpr 40
		.amdhsa_next_free_sgpr 26
		.amdhsa_reserve_vcc 1
		.amdhsa_reserve_flat_scratch 0
		.amdhsa_float_round_mode_32 0
		.amdhsa_float_round_mode_16_64 0
		.amdhsa_float_denorm_mode_32 3
		.amdhsa_float_denorm_mode_16_64 3
		.amdhsa_dx10_clamp 1
		.amdhsa_ieee_mode 1
		.amdhsa_fp16_overflow 0
		.amdhsa_exception_fp_ieee_invalid_op 0
		.amdhsa_exception_fp_denorm_src 0
		.amdhsa_exception_fp_ieee_div_zero 0
		.amdhsa_exception_fp_ieee_overflow 0
		.amdhsa_exception_fp_ieee_underflow 0
		.amdhsa_exception_fp_ieee_inexact 0
		.amdhsa_exception_int_div_zero 0
	.end_amdhsa_kernel
	.section	.text._ZL13mul_mat_vec_qIL9ggml_type14ELi2ELb0ELb0EEvPKvS2_PKi31ggml_cuda_mm_fusion_args_devicePfj15HIP_vector_typeIjLj3EEjjjS8_jjjS8_jjjj,"axG",@progbits,_ZL13mul_mat_vec_qIL9ggml_type14ELi2ELb0ELb0EEvPKvS2_PKi31ggml_cuda_mm_fusion_args_devicePfj15HIP_vector_typeIjLj3EEjjjS8_jjjS8_jjjj,comdat
.Lfunc_end149:
	.size	_ZL13mul_mat_vec_qIL9ggml_type14ELi2ELb0ELb0EEvPKvS2_PKi31ggml_cuda_mm_fusion_args_devicePfj15HIP_vector_typeIjLj3EEjjjS8_jjjS8_jjjj, .Lfunc_end149-_ZL13mul_mat_vec_qIL9ggml_type14ELi2ELb0ELb0EEvPKvS2_PKi31ggml_cuda_mm_fusion_args_devicePfj15HIP_vector_typeIjLj3EEjjjS8_jjjS8_jjjj
                                        ; -- End function
	.set _ZL13mul_mat_vec_qIL9ggml_type14ELi2ELb0ELb0EEvPKvS2_PKi31ggml_cuda_mm_fusion_args_devicePfj15HIP_vector_typeIjLj3EEjjjS8_jjjS8_jjjj.num_vgpr, 40
	.set _ZL13mul_mat_vec_qIL9ggml_type14ELi2ELb0ELb0EEvPKvS2_PKi31ggml_cuda_mm_fusion_args_devicePfj15HIP_vector_typeIjLj3EEjjjS8_jjjS8_jjjj.num_agpr, 0
	.set _ZL13mul_mat_vec_qIL9ggml_type14ELi2ELb0ELb0EEvPKvS2_PKi31ggml_cuda_mm_fusion_args_devicePfj15HIP_vector_typeIjLj3EEjjjS8_jjjS8_jjjj.numbered_sgpr, 26
	.set _ZL13mul_mat_vec_qIL9ggml_type14ELi2ELb0ELb0EEvPKvS2_PKi31ggml_cuda_mm_fusion_args_devicePfj15HIP_vector_typeIjLj3EEjjjS8_jjjS8_jjjj.num_named_barrier, 0
	.set _ZL13mul_mat_vec_qIL9ggml_type14ELi2ELb0ELb0EEvPKvS2_PKi31ggml_cuda_mm_fusion_args_devicePfj15HIP_vector_typeIjLj3EEjjjS8_jjjS8_jjjj.private_seg_size, 0
	.set _ZL13mul_mat_vec_qIL9ggml_type14ELi2ELb0ELb0EEvPKvS2_PKi31ggml_cuda_mm_fusion_args_devicePfj15HIP_vector_typeIjLj3EEjjjS8_jjjS8_jjjj.uses_vcc, 1
	.set _ZL13mul_mat_vec_qIL9ggml_type14ELi2ELb0ELb0EEvPKvS2_PKi31ggml_cuda_mm_fusion_args_devicePfj15HIP_vector_typeIjLj3EEjjjS8_jjjS8_jjjj.uses_flat_scratch, 0
	.set _ZL13mul_mat_vec_qIL9ggml_type14ELi2ELb0ELb0EEvPKvS2_PKi31ggml_cuda_mm_fusion_args_devicePfj15HIP_vector_typeIjLj3EEjjjS8_jjjS8_jjjj.has_dyn_sized_stack, 0
	.set _ZL13mul_mat_vec_qIL9ggml_type14ELi2ELb0ELb0EEvPKvS2_PKi31ggml_cuda_mm_fusion_args_devicePfj15HIP_vector_typeIjLj3EEjjjS8_jjjS8_jjjj.has_recursion, 0
	.set _ZL13mul_mat_vec_qIL9ggml_type14ELi2ELb0ELb0EEvPKvS2_PKi31ggml_cuda_mm_fusion_args_devicePfj15HIP_vector_typeIjLj3EEjjjS8_jjjS8_jjjj.has_indirect_call, 0
	.section	.AMDGPU.csdata,"",@progbits
; Kernel info:
; codeLenInByte = 2200
; TotalNumSgprs: 30
; NumVgprs: 40
; ScratchSize: 0
; MemoryBound: 0
; FloatMode: 240
; IeeeMode: 1
; LDSByteSize: 1024 bytes/workgroup (compile time only)
; SGPRBlocks: 3
; VGPRBlocks: 9
; NumSGPRsForWavesPerEU: 30
; NumVGPRsForWavesPerEU: 40
; Occupancy: 6
; WaveLimiterHint : 0
; COMPUTE_PGM_RSRC2:SCRATCH_EN: 0
; COMPUTE_PGM_RSRC2:USER_SGPR: 6
; COMPUTE_PGM_RSRC2:TRAP_HANDLER: 0
; COMPUTE_PGM_RSRC2:TGID_X_EN: 1
; COMPUTE_PGM_RSRC2:TGID_Y_EN: 1
; COMPUTE_PGM_RSRC2:TGID_Z_EN: 1
; COMPUTE_PGM_RSRC2:TIDIG_COMP_CNT: 1
	.section	.text._ZL13mul_mat_vec_qIL9ggml_type14ELi3ELb0ELb0EEvPKvS2_PKi31ggml_cuda_mm_fusion_args_devicePfj15HIP_vector_typeIjLj3EEjjjS8_jjjS8_jjjj,"axG",@progbits,_ZL13mul_mat_vec_qIL9ggml_type14ELi3ELb0ELb0EEvPKvS2_PKi31ggml_cuda_mm_fusion_args_devicePfj15HIP_vector_typeIjLj3EEjjjS8_jjjS8_jjjj,comdat
	.globl	_ZL13mul_mat_vec_qIL9ggml_type14ELi3ELb0ELb0EEvPKvS2_PKi31ggml_cuda_mm_fusion_args_devicePfj15HIP_vector_typeIjLj3EEjjjS8_jjjS8_jjjj ; -- Begin function _ZL13mul_mat_vec_qIL9ggml_type14ELi3ELb0ELb0EEvPKvS2_PKi31ggml_cuda_mm_fusion_args_devicePfj15HIP_vector_typeIjLj3EEjjjS8_jjjS8_jjjj
	.p2align	8
	.type	_ZL13mul_mat_vec_qIL9ggml_type14ELi3ELb0ELb0EEvPKvS2_PKi31ggml_cuda_mm_fusion_args_devicePfj15HIP_vector_typeIjLj3EEjjjS8_jjjS8_jjjj,@function
_ZL13mul_mat_vec_qIL9ggml_type14ELi3ELb0ELb0EEvPKvS2_PKi31ggml_cuda_mm_fusion_args_devicePfj15HIP_vector_typeIjLj3EEjjjS8_jjjS8_jjjj: ; @_ZL13mul_mat_vec_qIL9ggml_type14ELi3ELb0ELb0EEvPKvS2_PKi31ggml_cuda_mm_fusion_args_devicePfj15HIP_vector_typeIjLj3EEjjjS8_jjjS8_jjjj
; %bb.0:
	s_load_dword s9, s[4:5], 0x40
	s_load_dwordx4 s[0:3], s[4:5], 0x50
	s_load_dword s25, s[4:5], 0x60
	s_load_dwordx4 s[12:15], s[4:5], 0x68
	;; [unrolled: 2-line block ×3, first 2 shown]
	v_lshl_add_u32 v2, v1, 6, v0
	s_waitcnt lgkmcnt(0)
	s_lshr_b32 s9, s9, 8
	v_lshrrev_b32_e32 v14, 5, v2
	v_mov_b32_e32 v12, 0
	s_lshl_b32 s6, s6, 1
	v_cmp_gt_u32_e32 vcc, s9, v14
	v_mov_b32_e32 v13, 0
	v_mov_b32_e32 v11, 0
	;; [unrolled: 1-line block ×5, first 2 shown]
	s_and_saveexec_b64 s[10:11], vcc
	s_cbranch_execz .LBB150_4
; %bb.1:
	s_mul_hi_u32 s3, s3, s7
	s_add_i32 s3, s7, s3
	s_load_dwordx4 s[20:23], s[4:5], 0x0
	s_lshr_b32 s3, s3, s25
	s_mul_i32 s3, s3, s12
	s_mul_hi_u32 s12, s15, s8
	s_add_i32 s12, s8, s12
	s_lshr_b32 s12, s12, s24
	s_mul_i32 s19, s17, s8
	s_mul_i32 s15, s12, s16
	;; [unrolled: 1-line block ×3, first 2 shown]
	s_mul_hi_u32 s12, s19, 36
	s_waitcnt lgkmcnt(0)
	s_add_u32 s16, s22, s16
	s_addc_u32 s17, s23, s12
	s_mul_i32 s12, s13, s7
	s_mul_hi_u32 s13, s12, 36
	s_mul_i32 s12, s12, 36
	v_bfe_u32 v3, v0, 4, 1
	v_and_b32_e32 v4, 15, v0
	s_add_u32 s16, s16, s12
	v_and_b32_e32 v2, 31, v0
	v_lshrrev_b16_e32 v5, 3, v4
	v_lshlrev_b32_e32 v9, 3, v3
	v_and_b32_e32 v10, 7, v0
	s_addc_u32 s17, s17, s13
	v_lshl_or_b32 v6, v3, 2, v5
	v_lshlrev_b32_e32 v7, 1, v2
	v_or_b32_e32 v2, v9, v10
	v_lshrrev_b16_e32 v4, 2, v4
	v_lshlrev_b32_e32 v11, 1, v2
	v_mad_u64_u32 v[2:3], s[16:17], v6, 36, s[16:17]
	v_lshlrev_b32_e32 v15, 1, v5
	v_or_b32_e32 v16, v9, v4
	v_mov_b32_e32 v4, s12
	s_movk_i32 s16, 0x120
	v_mov_b32_e32 v5, s13
	v_mad_u64_u32 v[4:5], s[12:13], v14, s16, v[4:5]
	s_add_i32 s16, s6, 1
	s_add_i32 s15, s15, s3
	v_mad_u64_u32 v[4:5], s[12:13], s19, 36, v[4:5]
	v_mov_b32_e32 v8, 0
	s_mul_i32 s3, s6, s0
	v_mad_u64_u32 v[4:5], s[12:13], v6, 36, v[4:5]
	v_mov_b32_e32 v6, s23
	s_mul_i32 s0, s0, s16
	v_add_co_u32_e32 v4, vcc, s22, v4
	v_addc_co_u32_e32 v5, vcc, v6, v5, vcc
	v_lshlrev_b32_e32 v6, 3, v14
	v_lshl_add_u32 v18, s1, 1, v6
	v_add_u32_e32 v19, s1, v6
	v_lshlrev_b32_e32 v20, 1, v7
	v_mov_b32_e32 v6, s20
	s_add_i32 s3, s15, s3
	s_add_i32 s15, s15, s0
	v_lshlrev_b32_e32 v17, 2, v10
	s_mov_b64 s[12:13], 0
	s_movk_i32 s16, 0xd2
	v_lshlrev_b32_e32 v21, 1, v11
	s_mov_b32 s17, 0x30303030
	s_movk_i32 s19, 0x3f00
	s_movk_i32 s22, 0xe000
	v_lshlrev_b32_e32 v22, 2, v10
	v_mov_b32_e32 v23, 8
	v_mov_b32_e32 v9, v8
	;; [unrolled: 1-line block ×7, first 2 shown]
.LBB150_2:                              ; =>This Inner Loop Header: Depth=1
	v_add_u32_e32 v26, s3, v14
	v_mad_i64_i32 v[26:27], s[0:1], v26, s16, v[6:7]
	v_add_co_u32_e32 v24, vcc, v4, v17
	v_addc_co_u32_e32 v25, vcc, 0, v5, vcc
	global_load_dword v30, v[24:25], off offset:4
	global_load_dword v31, v[24:25], off offset:76
	v_add_co_u32_e32 v24, vcc, v26, v20
	v_addc_co_u32_e32 v25, vcc, 0, v27, vcc
	global_load_dword v32, v[24:25], off
	v_add_co_u32_e32 v24, vcc, v26, v21
	v_addc_co_u32_e32 v25, vcc, 0, v27, vcc
	global_load_dword v33, v[24:25], off offset:128
	v_add_u32_e32 v24, s15, v14
	v_mad_i64_i32 v[24:25], s[0:1], v24, s16, v[6:7]
	v_add_u32_e32 v14, 4, v14
	v_add_co_u32_e32 v28, vcc, v24, v21
	v_addc_co_u32_e32 v29, vcc, 0, v25, vcc
	global_load_dword v34, v[28:29], off offset:128
	v_add_co_u32_e32 v28, vcc, v24, v20
	v_addc_co_u32_e32 v29, vcc, 0, v25, vcc
	global_load_dword v35, v[28:29], off
	v_add_co_u32_e32 v28, vcc, v26, v16
	v_addc_co_u32_e32 v29, vcc, 0, v27, vcc
	global_load_sbyte v36, v[28:29], off offset:192
	global_load_sbyte v37, v[28:29], off offset:196
	v_add_co_u32_e32 v28, vcc, v24, v16
	v_addc_co_u32_e32 v29, vcc, 0, v25, vcc
	global_load_sbyte v38, v[28:29], off offset:192
	global_load_sbyte v39, v[28:29], off offset:196
	s_waitcnt vmcnt(7)
	v_and_b32_e32 v29, 0xf0f0f0f, v32
	v_lshrrev_b32_e32 v32, 4, v32
	v_and_b32_e32 v32, 0xf0f0f0f, v32
	s_waitcnt vmcnt(6)
	v_ashrrev_i32_e32 v28, v15, v33
	v_lshlrev_b32_e32 v33, 4, v28
	v_and_or_b32 v28, v28, s17, v32
	v_and_or_b32 v29, v33, s17, v29
	v_and_b32_e32 v40, 0x3f00, v28
	s_waitcnt vmcnt(5)
	v_ashrrev_i32_e32 v32, v15, v34
	v_lshlrev_b32_e32 v34, 4, v32
	s_waitcnt vmcnt(4)
	v_and_b32_e32 v33, 0xf0f0f0f, v35
	v_and_or_b32 v33, v34, s17, v33
	v_lshrrev_b32_e32 v34, 4, v35
	v_and_b32_e32 v34, 0xf0f0f0f, v34
	v_and_or_b32 v32, v32, s17, v34
	v_lshlrev_b16_e32 v34, 8, v29
	v_add_u16_e32 v34, 0xe000, v34
	v_and_b32_e32 v35, 0x3f00, v29
	v_or_b32_sdwa v34, v35, v34 dst_sel:DWORD dst_unused:UNUSED_PAD src0_sel:DWORD src1_sel:BYTE_1
	v_and_b32_sdwa v35, v29, s19 dst_sel:DWORD dst_unused:UNUSED_PAD src0_sel:WORD_1 src1_sel:DWORD
	v_lshlrev_b16_sdwa v29, v23, v29 dst_sel:DWORD dst_unused:UNUSED_PAD src0_sel:DWORD src1_sel:WORD_1
	v_add_u16_e32 v29, 0xe000, v29
	v_or_b32_sdwa v29, v35, v29 dst_sel:DWORD dst_unused:UNUSED_PAD src0_sel:DWORD src1_sel:BYTE_1
	v_lshlrev_b16_e32 v35, 8, v28
	v_add_u16_e32 v35, 0xe000, v35
	v_or_b32_sdwa v35, v40, v35 dst_sel:DWORD dst_unused:UNUSED_PAD src0_sel:DWORD src1_sel:BYTE_1
	v_and_b32_sdwa v40, v28, s19 dst_sel:DWORD dst_unused:UNUSED_PAD src0_sel:WORD_1 src1_sel:DWORD
	v_lshlrev_b16_sdwa v28, v23, v28 dst_sel:DWORD dst_unused:UNUSED_PAD src0_sel:DWORD src1_sel:WORD_1
	v_add_u16_e32 v28, 0xe000, v28
	v_or_b32_sdwa v28, v40, v28 dst_sel:DWORD dst_unused:UNUSED_PAD src0_sel:DWORD src1_sel:BYTE_1
	v_lshlrev_b16_e32 v40, 8, v33
	v_add_u16_e32 v40, 0xe000, v40
	v_and_b32_e32 v41, 0x3f00, v33
	v_or_b32_sdwa v40, v41, v40 dst_sel:DWORD dst_unused:UNUSED_PAD src0_sel:DWORD src1_sel:BYTE_1
	v_and_b32_sdwa v41, v33, s19 dst_sel:DWORD dst_unused:UNUSED_PAD src0_sel:WORD_1 src1_sel:DWORD
	v_lshlrev_b16_sdwa v33, v23, v33 dst_sel:DWORD dst_unused:UNUSED_PAD src0_sel:DWORD src1_sel:WORD_1
	v_add_u16_e32 v33, 0xe000, v33
	v_or_b32_sdwa v33, v41, v33 dst_sel:DWORD dst_unused:UNUSED_PAD src0_sel:DWORD src1_sel:BYTE_1
	v_lshlrev_b16_e32 v41, 8, v32
	v_add_u16_e32 v41, 0xe000, v41
	v_and_b32_e32 v42, 0x3f00, v32
	v_or_b32_sdwa v41, v42, v41 dst_sel:DWORD dst_unused:UNUSED_PAD src0_sel:DWORD src1_sel:BYTE_1
	v_and_b32_sdwa v42, v32, s19 dst_sel:DWORD dst_unused:UNUSED_PAD src0_sel:WORD_1 src1_sel:DWORD
	v_lshlrev_b16_sdwa v32, v23, v32 dst_sel:DWORD dst_unused:UNUSED_PAD src0_sel:DWORD src1_sel:WORD_1
	v_add_u16_e32 v34, 0xe000, v34
	v_add_u16_sdwa v29, v29, s22 dst_sel:WORD_1 dst_unused:UNUSED_PAD src0_sel:DWORD src1_sel:DWORD
	v_add_u16_e32 v32, 0xe000, v32
	v_or_b32_e32 v34, v34, v29
	v_add_u16_e32 v29, 0xe000, v35
	v_add_u16_sdwa v28, v28, s22 dst_sel:WORD_1 dst_unused:UNUSED_PAD src0_sel:DWORD src1_sel:DWORD
	v_or_b32_sdwa v32, v42, v32 dst_sel:DWORD dst_unused:UNUSED_PAD src0_sel:DWORD src1_sel:BYTE_1
	v_or_b32_e32 v35, v29, v28
	v_add_u16_e32 v28, 0xe000, v40
	v_add_u16_sdwa v29, v33, s22 dst_sel:WORD_1 dst_unused:UNUSED_PAD src0_sel:DWORD src1_sel:DWORD
	v_or_b32_e32 v33, v28, v29
	v_add_u16_e32 v28, 0xe000, v41
	v_add_u16_sdwa v29, v32, s22 dst_sel:WORD_1 dst_unused:UNUSED_PAD src0_sel:DWORD src1_sel:DWORD
	v_or_b32_e32 v32, v28, v29
	v_dot4_i32_i8 v28, v34, v30, 0
	v_dot4_i32_i8 v29, v33, v30, 0
	global_load_dword v30, v[4:5], off
	global_load_dword v40, v[4:5], off offset:72
	s_waitcnt vmcnt(5)
	v_mul_lo_u32 v28, v28, v36
	s_waitcnt vmcnt(3)
	v_mul_lo_u32 v29, v29, v38
	v_cvt_f32_i32_e32 v28, v28
	v_cvt_f32_i32_e32 v29, v29
	s_waitcnt vmcnt(1)
	v_fma_mix_f32 v28, v30, v28, 0 op_sel_hi:[1,0,0]
	v_fma_mix_f32 v29, v30, v29, 0 op_sel_hi:[1,0,0]
	v_dot4_i32_i8 v30, v35, v31, 0
	v_mul_lo_u32 v30, v30, v37
	v_cvt_f32_i32_e32 v30, v30
	s_waitcnt vmcnt(0)
	v_fma_mix_f32 v41, v40, v30, v28 op_sel_hi:[1,0,0]
	v_dot4_i32_i8 v28, v32, v31, 0
	v_mul_lo_u32 v28, v28, v39
	v_cvt_f32_i32_e32 v28, v28
	v_fma_mix_f32 v40, v40, v28, v29 op_sel_hi:[1,0,0]
	v_mad_u64_u32 v[28:29], s[0:1], v19, 36, v[2:3]
	v_add_u32_e32 v19, 32, v19
	v_add_co_u32_e32 v30, vcc, v28, v22
	v_addc_co_u32_e32 v31, vcc, 0, v29, vcc
	global_load_dword v42, v[28:29], off
	global_load_dword v43, v[28:29], off offset:72
	global_load_dword v44, v[30:31], off offset:4
	;; [unrolled: 1-line block ×3, first 2 shown]
	s_waitcnt vmcnt(1)
	v_dot4_i32_i8 v28, v34, v44, 0
	v_dot4_i32_i8 v29, v33, v44, 0
	v_mul_lo_u32 v28, v28, v36
	s_waitcnt vmcnt(0)
	v_dot4_i32_i8 v30, v35, v45, 0
	v_mul_lo_u32 v29, v29, v38
	v_mul_lo_u32 v30, v30, v37
	v_cvt_f32_i32_e32 v28, v28
	v_cvt_f32_i32_e32 v29, v29
	;; [unrolled: 1-line block ×3, first 2 shown]
	v_fma_mix_f32 v28, v42, v28, 0 op_sel_hi:[1,0,0]
	v_fma_mix_f32 v29, v42, v29, 0 op_sel_hi:[1,0,0]
	;; [unrolled: 1-line block ×3, first 2 shown]
	v_dot4_i32_i8 v28, v32, v45, 0
	v_mul_lo_u32 v28, v28, v39
	v_cvt_f32_i32_e32 v28, v28
	v_fma_mix_f32 v43, v43, v28, v29 op_sel_hi:[1,0,0]
	v_mad_u64_u32 v[28:29], s[0:1], v18, 36, v[2:3]
	v_cmp_le_u32_e64 s[0:1], s9, v14
	v_add_u32_e32 v18, 32, v18
	v_add_co_u32_e32 v30, vcc, v28, v22
	v_addc_co_u32_e32 v31, vcc, 0, v29, vcc
	global_load_dword v44, v[28:29], off
	global_load_dword v45, v[28:29], off offset:72
	global_load_dword v46, v[30:31], off offset:4
	;; [unrolled: 1-line block ×3, first 2 shown]
	v_add_co_u32_e32 v4, vcc, 0x480, v4
	s_or_b64 s[12:13], s[0:1], s[12:13]
	v_addc_co_u32_e32 v5, vcc, 0, v5, vcc
	s_waitcnt vmcnt(1)
	v_dot4_i32_i8 v28, v34, v46, 0
	s_waitcnt vmcnt(0)
	v_dot4_i32_i8 v30, v35, v47, 0
	v_mul_lo_u32 v28, v28, v36
	v_mul_lo_u32 v30, v30, v37
	v_dot4_i32_i8 v29, v33, v46, 0
	v_dot4_i32_i8 v31, v32, v47, 0
	v_mul_lo_u32 v29, v29, v38
	v_cvt_f32_i32_e32 v28, v28
	v_mul_lo_u32 v31, v31, v39
	v_cvt_f32_i32_e32 v30, v30
	v_cvt_f32_i32_e32 v29, v29
	v_fma_mix_f32 v28, v44, v28, 0 op_sel_hi:[1,0,0]
	v_fma_mix_f32 v28, v45, v30, v28 op_sel_hi:[1,0,0]
	v_cvt_f32_i32_e32 v30, v31
	v_fma_mix_f32 v29, v44, v29, 0 op_sel_hi:[1,0,0]
	v_fma_mix_f32 v29, v45, v30, v29 op_sel_hi:[1,0,0]
	global_load_ushort v30, v[26:27], off offset:208
	global_load_ushort v31, v[24:25], off offset:208
	s_waitcnt vmcnt(1)
	v_fma_mix_f32 v13, v41, v30, v13 op_sel_hi:[0,1,0]
	v_fma_mix_f32 v11, v42, v30, v11 op_sel_hi:[0,1,0]
	;; [unrolled: 1-line block ×3, first 2 shown]
	s_waitcnt vmcnt(0)
	v_fma_mix_f32 v12, v40, v31, v12 op_sel_hi:[0,1,0]
	v_fma_mix_f32 v10, v43, v31, v10 op_sel_hi:[0,1,0]
	;; [unrolled: 1-line block ×3, first 2 shown]
	s_andn2_b64 exec, exec, s[12:13]
	s_cbranch_execnz .LBB150_2
; %bb.3:
	s_or_b64 exec, exec, s[12:13]
.LBB150_4:
	s_or_b64 exec, exec, s[10:11]
	v_cmp_eq_u32_e32 vcc, 0, v1
	v_cmp_ne_u32_e64 s[0:1], 0, v1
	s_and_saveexec_b64 s[10:11], s[0:1]
	s_cbranch_execz .LBB150_6
; %bb.5:
	v_mul_u32_u24_e32 v1, 0x600, v1
	v_lshl_or_b32 v1, v0, 2, v1
	v_add_u32_e32 v1, 0xfffffa00, v1
	ds_write2st64_b32 v1, v13, v12 offset1:1
	ds_write2st64_b32 v1, v11, v10 offset0:2 offset1:3
	ds_write2st64_b32 v1, v9, v8 offset0:4 offset1:5
.LBB150_6:
	s_or_b64 exec, exec, s[10:11]
	s_waitcnt lgkmcnt(0)
	s_barrier
	s_and_saveexec_b64 s[0:1], vcc
	s_cbranch_execz .LBB150_13
; %bb.7:
	v_lshlrev_b32_e32 v3, 2, v0
	v_mbcnt_lo_u32_b32 v1, -1, 0
	v_mbcnt_hi_u32_b32 v7, -1, v1
	ds_read2st64_b32 v[5:6], v3 offset1:1
	v_and_b32_e32 v1, 64, v7
	v_add_u32_e32 v14, 64, v1
	v_xor_b32_e32 v1, 32, v7
	v_cmp_lt_i32_e32 vcc, v1, v14
	v_cndmask_b32_e32 v1, v7, v1, vcc
	v_lshlrev_b32_e32 v1, 2, v1
	s_waitcnt lgkmcnt(0)
	v_add_f32_e32 v13, v5, v13
	v_add_f32_e32 v6, v6, v12
	ds_bpermute_b32 v16, v1, v13
	ds_bpermute_b32 v12, v1, v6
	v_xor_b32_e32 v2, 16, v7
	v_cmp_lt_i32_e32 vcc, v2, v14
	v_cndmask_b32_e32 v2, v7, v2, vcc
	v_lshlrev_b32_e32 v2, 2, v2
	s_waitcnt lgkmcnt(1)
	v_add_f32_e32 v13, v13, v16
	s_waitcnt lgkmcnt(0)
	v_add_f32_e32 v6, v6, v12
	ds_bpermute_b32 v16, v2, v13
	ds_bpermute_b32 v12, v2, v6
	v_xor_b32_e32 v4, 8, v7
	v_cmp_lt_i32_e32 vcc, v4, v14
	v_cndmask_b32_e32 v4, v7, v4, vcc
	v_lshlrev_b32_e32 v4, 2, v4
	s_waitcnt lgkmcnt(1)
	v_add_f32_e32 v13, v13, v16
	s_waitcnt lgkmcnt(0)
	;; [unrolled: 10-line block ×3, first 2 shown]
	v_add_f32_e32 v12, v12, v17
	ds_bpermute_b32 v16, v5, v13
	ds_bpermute_b32 v17, v5, v12
	v_xor_b32_e32 v15, 2, v7
	v_cmp_lt_i32_e32 vcc, v15, v14
	v_cndmask_b32_e32 v15, v7, v15, vcc
	v_lshlrev_b32_e32 v6, 2, v15
	v_xor_b32_e32 v15, 1, v7
	v_cmp_lt_i32_e32 vcc, v15, v14
	s_waitcnt lgkmcnt(1)
	v_add_f32_e32 v14, v13, v16
	s_waitcnt lgkmcnt(0)
	v_add_f32_e32 v12, v12, v17
	v_cndmask_b32_e32 v7, v7, v15, vcc
	ds_bpermute_b32 v15, v6, v14
	ds_bpermute_b32 v16, v6, v12
	s_load_dwordx2 s[0:1], s[4:5], 0x38
	s_mul_i32 s4, s14, s7
	v_lshlrev_b32_e32 v13, 2, v7
	s_waitcnt lgkmcnt(0)
	v_add_f32_e32 v7, v14, v15
	v_add_f32_e32 v12, v12, v16
	s_mul_i32 s3, s18, s8
	s_add_i32 s4, s4, s6
	ds_bpermute_b32 v14, v13, v7
	ds_bpermute_b32 v15, v13, v12
	s_add_i32 s4, s4, s3
	s_mov_b32 s5, 0
	s_lshl_b64 s[4:5], s[4:5], 2
	s_add_u32 s4, s0, s4
	v_add_u32_e32 v16, s6, v0
	s_addc_u32 s5, s1, s5
	v_cmp_gt_u32_e32 vcc, 2, v0
	v_cmp_gt_u32_e64 s[0:1], s2, v16
	s_and_b64 s[0:1], vcc, s[0:1]
	s_waitcnt lgkmcnt(1)
	v_add_f32_e32 v7, v7, v14
	s_waitcnt lgkmcnt(0)
	v_add_f32_e32 v12, v12, v15
	s_and_saveexec_b64 s[6:7], s[0:1]
	s_cbranch_execz .LBB150_9
; %bb.8:
	v_cmp_eq_u32_e32 vcc, 1, v0
	v_cndmask_b32_e32 v14, v7, v12, vcc
	v_cmp_eq_u32_e32 vcc, 2, v0
	v_cndmask_b32_e32 v14, v14, v11, vcc
	;; [unrolled: 2-line block ×5, first 2 shown]
	global_store_dword v3, v14, s[4:5]
.LBB150_9:
	s_or_b64 exec, exec, s[6:7]
	ds_read2st64_b32 v[14:15], v3 offset0:2 offset1:3
	s_waitcnt lgkmcnt(0)
	v_add_f32_e32 v11, v14, v11
	v_add_f32_e32 v10, v15, v10
	ds_bpermute_b32 v14, v1, v11
	ds_bpermute_b32 v15, v1, v10
	s_waitcnt lgkmcnt(1)
	v_add_f32_e32 v11, v11, v14
	s_waitcnt lgkmcnt(0)
	v_add_f32_e32 v10, v10, v15
	ds_bpermute_b32 v14, v2, v11
	ds_bpermute_b32 v15, v2, v10
	s_waitcnt lgkmcnt(1)
	v_add_f32_e32 v11, v11, v14
	s_waitcnt lgkmcnt(0)
	;; [unrolled: 6-line block ×6, first 2 shown]
	v_add_f32_e32 v10, v10, v15
	s_and_saveexec_b64 s[6:7], s[0:1]
	s_cbranch_execz .LBB150_11
; %bb.10:
	v_add_u32_e32 v14, 2, v0
	v_cmp_eq_u32_e32 vcc, 1, v14
	v_cndmask_b32_e32 v15, v7, v12, vcc
	v_cmp_eq_u32_e32 vcc, 2, v14
	v_cndmask_b32_e32 v15, v15, v11, vcc
	;; [unrolled: 2-line block ×5, first 2 shown]
	v_add_u32_e32 v14, s2, v0
	v_mov_b32_e32 v15, 0
	v_lshlrev_b64 v[14:15], 2, v[14:15]
	v_mov_b32_e32 v17, s5
	v_add_co_u32_e32 v14, vcc, s4, v14
	v_addc_co_u32_e32 v15, vcc, v17, v15, vcc
	global_store_dword v[14:15], v16, off
.LBB150_11:
	s_or_b64 exec, exec, s[6:7]
	ds_read2st64_b32 v[14:15], v3 offset0:4 offset1:5
	s_waitcnt lgkmcnt(0)
	v_add_f32_e32 v3, v14, v9
	v_add_f32_e32 v8, v15, v8
	ds_bpermute_b32 v9, v1, v3
	ds_bpermute_b32 v1, v1, v8
	s_waitcnt lgkmcnt(1)
	v_add_f32_e32 v3, v3, v9
	s_waitcnt lgkmcnt(0)
	v_add_f32_e32 v1, v8, v1
	ds_bpermute_b32 v8, v2, v3
	ds_bpermute_b32 v2, v2, v1
	s_waitcnt lgkmcnt(1)
	v_add_f32_e32 v3, v3, v8
	s_waitcnt lgkmcnt(0)
	;; [unrolled: 6-line block ×5, first 2 shown]
	v_add_f32_e32 v2, v3, v4
	ds_bpermute_b32 v3, v13, v1
	ds_bpermute_b32 v4, v13, v2
	s_and_b64 exec, exec, s[0:1]
	s_cbranch_execz .LBB150_13
; %bb.12:
	s_waitcnt lgkmcnt(1)
	v_add_f32_e32 v1, v1, v3
	v_add_u32_e32 v3, 4, v0
	v_cmp_eq_u32_e32 vcc, 1, v3
	s_waitcnt lgkmcnt(0)
	v_add_f32_e32 v2, v2, v4
	v_cndmask_b32_e32 v4, v7, v12, vcc
	v_cmp_eq_u32_e32 vcc, 2, v3
	v_cndmask_b32_e32 v4, v4, v11, vcc
	v_cmp_eq_u32_e32 vcc, 3, v3
	;; [unrolled: 2-line block ×4, first 2 shown]
	v_cndmask_b32_e32 v2, v1, v2, vcc
	v_lshl_or_b32 v0, s2, 1, v0
	v_mov_b32_e32 v1, 0
	v_lshlrev_b64 v[0:1], 2, v[0:1]
	v_mov_b32_e32 v3, s5
	v_add_co_u32_e32 v0, vcc, s4, v0
	v_addc_co_u32_e32 v1, vcc, v3, v1, vcc
	global_store_dword v[0:1], v2, off
.LBB150_13:
	s_endpgm
	.section	.rodata,"a",@progbits
	.p2align	6, 0x0
	.amdhsa_kernel _ZL13mul_mat_vec_qIL9ggml_type14ELi3ELb0ELb0EEvPKvS2_PKi31ggml_cuda_mm_fusion_args_devicePfj15HIP_vector_typeIjLj3EEjjjS8_jjjS8_jjjj
		.amdhsa_group_segment_fixed_size 1536
		.amdhsa_private_segment_fixed_size 0
		.amdhsa_kernarg_size 144
		.amdhsa_user_sgpr_count 6
		.amdhsa_user_sgpr_private_segment_buffer 1
		.amdhsa_user_sgpr_dispatch_ptr 0
		.amdhsa_user_sgpr_queue_ptr 0
		.amdhsa_user_sgpr_kernarg_segment_ptr 1
		.amdhsa_user_sgpr_dispatch_id 0
		.amdhsa_user_sgpr_flat_scratch_init 0
		.amdhsa_user_sgpr_private_segment_size 0
		.amdhsa_uses_dynamic_stack 0
		.amdhsa_system_sgpr_private_segment_wavefront_offset 0
		.amdhsa_system_sgpr_workgroup_id_x 1
		.amdhsa_system_sgpr_workgroup_id_y 1
		.amdhsa_system_sgpr_workgroup_id_z 1
		.amdhsa_system_sgpr_workgroup_info 0
		.amdhsa_system_vgpr_workitem_id 1
		.amdhsa_next_free_vgpr 48
		.amdhsa_next_free_sgpr 26
		.amdhsa_reserve_vcc 1
		.amdhsa_reserve_flat_scratch 0
		.amdhsa_float_round_mode_32 0
		.amdhsa_float_round_mode_16_64 0
		.amdhsa_float_denorm_mode_32 3
		.amdhsa_float_denorm_mode_16_64 3
		.amdhsa_dx10_clamp 1
		.amdhsa_ieee_mode 1
		.amdhsa_fp16_overflow 0
		.amdhsa_exception_fp_ieee_invalid_op 0
		.amdhsa_exception_fp_denorm_src 0
		.amdhsa_exception_fp_ieee_div_zero 0
		.amdhsa_exception_fp_ieee_overflow 0
		.amdhsa_exception_fp_ieee_underflow 0
		.amdhsa_exception_fp_ieee_inexact 0
		.amdhsa_exception_int_div_zero 0
	.end_amdhsa_kernel
	.section	.text._ZL13mul_mat_vec_qIL9ggml_type14ELi3ELb0ELb0EEvPKvS2_PKi31ggml_cuda_mm_fusion_args_devicePfj15HIP_vector_typeIjLj3EEjjjS8_jjjS8_jjjj,"axG",@progbits,_ZL13mul_mat_vec_qIL9ggml_type14ELi3ELb0ELb0EEvPKvS2_PKi31ggml_cuda_mm_fusion_args_devicePfj15HIP_vector_typeIjLj3EEjjjS8_jjjS8_jjjj,comdat
.Lfunc_end150:
	.size	_ZL13mul_mat_vec_qIL9ggml_type14ELi3ELb0ELb0EEvPKvS2_PKi31ggml_cuda_mm_fusion_args_devicePfj15HIP_vector_typeIjLj3EEjjjS8_jjjS8_jjjj, .Lfunc_end150-_ZL13mul_mat_vec_qIL9ggml_type14ELi3ELb0ELb0EEvPKvS2_PKi31ggml_cuda_mm_fusion_args_devicePfj15HIP_vector_typeIjLj3EEjjjS8_jjjS8_jjjj
                                        ; -- End function
	.set _ZL13mul_mat_vec_qIL9ggml_type14ELi3ELb0ELb0EEvPKvS2_PKi31ggml_cuda_mm_fusion_args_devicePfj15HIP_vector_typeIjLj3EEjjjS8_jjjS8_jjjj.num_vgpr, 48
	.set _ZL13mul_mat_vec_qIL9ggml_type14ELi3ELb0ELb0EEvPKvS2_PKi31ggml_cuda_mm_fusion_args_devicePfj15HIP_vector_typeIjLj3EEjjjS8_jjjS8_jjjj.num_agpr, 0
	.set _ZL13mul_mat_vec_qIL9ggml_type14ELi3ELb0ELb0EEvPKvS2_PKi31ggml_cuda_mm_fusion_args_devicePfj15HIP_vector_typeIjLj3EEjjjS8_jjjS8_jjjj.numbered_sgpr, 26
	.set _ZL13mul_mat_vec_qIL9ggml_type14ELi3ELb0ELb0EEvPKvS2_PKi31ggml_cuda_mm_fusion_args_devicePfj15HIP_vector_typeIjLj3EEjjjS8_jjjS8_jjjj.num_named_barrier, 0
	.set _ZL13mul_mat_vec_qIL9ggml_type14ELi3ELb0ELb0EEvPKvS2_PKi31ggml_cuda_mm_fusion_args_devicePfj15HIP_vector_typeIjLj3EEjjjS8_jjjS8_jjjj.private_seg_size, 0
	.set _ZL13mul_mat_vec_qIL9ggml_type14ELi3ELb0ELb0EEvPKvS2_PKi31ggml_cuda_mm_fusion_args_devicePfj15HIP_vector_typeIjLj3EEjjjS8_jjjS8_jjjj.uses_vcc, 1
	.set _ZL13mul_mat_vec_qIL9ggml_type14ELi3ELb0ELb0EEvPKvS2_PKi31ggml_cuda_mm_fusion_args_devicePfj15HIP_vector_typeIjLj3EEjjjS8_jjjS8_jjjj.uses_flat_scratch, 0
	.set _ZL13mul_mat_vec_qIL9ggml_type14ELi3ELb0ELb0EEvPKvS2_PKi31ggml_cuda_mm_fusion_args_devicePfj15HIP_vector_typeIjLj3EEjjjS8_jjjS8_jjjj.has_dyn_sized_stack, 0
	.set _ZL13mul_mat_vec_qIL9ggml_type14ELi3ELb0ELb0EEvPKvS2_PKi31ggml_cuda_mm_fusion_args_devicePfj15HIP_vector_typeIjLj3EEjjjS8_jjjS8_jjjj.has_recursion, 0
	.set _ZL13mul_mat_vec_qIL9ggml_type14ELi3ELb0ELb0EEvPKvS2_PKi31ggml_cuda_mm_fusion_args_devicePfj15HIP_vector_typeIjLj3EEjjjS8_jjjS8_jjjj.has_indirect_call, 0
	.section	.AMDGPU.csdata,"",@progbits
; Kernel info:
; codeLenInByte = 2764
; TotalNumSgprs: 30
; NumVgprs: 48
; ScratchSize: 0
; MemoryBound: 0
; FloatMode: 240
; IeeeMode: 1
; LDSByteSize: 1536 bytes/workgroup (compile time only)
; SGPRBlocks: 3
; VGPRBlocks: 11
; NumSGPRsForWavesPerEU: 30
; NumVGPRsForWavesPerEU: 48
; Occupancy: 5
; WaveLimiterHint : 0
; COMPUTE_PGM_RSRC2:SCRATCH_EN: 0
; COMPUTE_PGM_RSRC2:USER_SGPR: 6
; COMPUTE_PGM_RSRC2:TRAP_HANDLER: 0
; COMPUTE_PGM_RSRC2:TGID_X_EN: 1
; COMPUTE_PGM_RSRC2:TGID_Y_EN: 1
; COMPUTE_PGM_RSRC2:TGID_Z_EN: 1
; COMPUTE_PGM_RSRC2:TIDIG_COMP_CNT: 1
	.section	.text._ZL13mul_mat_vec_qIL9ggml_type14ELi4ELb0ELb0EEvPKvS2_PKi31ggml_cuda_mm_fusion_args_devicePfj15HIP_vector_typeIjLj3EEjjjS8_jjjS8_jjjj,"axG",@progbits,_ZL13mul_mat_vec_qIL9ggml_type14ELi4ELb0ELb0EEvPKvS2_PKi31ggml_cuda_mm_fusion_args_devicePfj15HIP_vector_typeIjLj3EEjjjS8_jjjS8_jjjj,comdat
	.globl	_ZL13mul_mat_vec_qIL9ggml_type14ELi4ELb0ELb0EEvPKvS2_PKi31ggml_cuda_mm_fusion_args_devicePfj15HIP_vector_typeIjLj3EEjjjS8_jjjS8_jjjj ; -- Begin function _ZL13mul_mat_vec_qIL9ggml_type14ELi4ELb0ELb0EEvPKvS2_PKi31ggml_cuda_mm_fusion_args_devicePfj15HIP_vector_typeIjLj3EEjjjS8_jjjS8_jjjj
	.p2align	8
	.type	_ZL13mul_mat_vec_qIL9ggml_type14ELi4ELb0ELb0EEvPKvS2_PKi31ggml_cuda_mm_fusion_args_devicePfj15HIP_vector_typeIjLj3EEjjjS8_jjjS8_jjjj,@function
_ZL13mul_mat_vec_qIL9ggml_type14ELi4ELb0ELb0EEvPKvS2_PKi31ggml_cuda_mm_fusion_args_devicePfj15HIP_vector_typeIjLj3EEjjjS8_jjjS8_jjjj: ; @_ZL13mul_mat_vec_qIL9ggml_type14ELi4ELb0ELb0EEvPKvS2_PKi31ggml_cuda_mm_fusion_args_devicePfj15HIP_vector_typeIjLj3EEjjjS8_jjjS8_jjjj
; %bb.0:
	s_load_dword s9, s[4:5], 0x40
	s_load_dwordx4 s[0:3], s[4:5], 0x50
	s_load_dword s25, s[4:5], 0x60
	s_load_dwordx4 s[12:15], s[4:5], 0x68
	;; [unrolled: 2-line block ×3, first 2 shown]
	v_lshl_add_u32 v2, v1, 6, v0
	s_waitcnt lgkmcnt(0)
	s_lshr_b32 s9, s9, 8
	v_lshrrev_b32_e32 v14, 5, v2
	v_mov_b32_e32 v10, 0
	s_lshl_b32 s6, s6, 1
	v_cmp_gt_u32_e32 vcc, s9, v14
	v_mov_b32_e32 v11, v10
	v_mov_b32_e32 v12, v10
	v_mov_b32_e32 v13, v10
	v_mov_b32_e32 v15, v10
	v_mov_b32_e32 v9, v10
	v_mov_b32_e32 v7, v10
	v_mov_b32_e32 v8, v10
	s_and_saveexec_b64 s[10:11], vcc
	s_cbranch_execz .LBB151_4
; %bb.1:
	s_mul_hi_u32 s3, s3, s7
	s_add_i32 s3, s7, s3
	s_load_dwordx4 s[20:23], s[4:5], 0x0
	s_lshr_b32 s3, s3, s25
	s_mul_i32 s3, s3, s12
	s_mul_hi_u32 s12, s15, s8
	s_add_i32 s12, s8, s12
	s_lshr_b32 s12, s12, s24
	s_mul_i32 s19, s17, s8
	s_mul_i32 s15, s12, s16
	;; [unrolled: 1-line block ×3, first 2 shown]
	s_mul_hi_u32 s12, s19, 36
	s_waitcnt lgkmcnt(0)
	s_add_u32 s16, s22, s16
	s_addc_u32 s17, s23, s12
	s_mul_i32 s12, s13, s7
	s_mul_hi_u32 s13, s12, 36
	s_mul_i32 s12, s12, 36
	v_bfe_u32 v3, v0, 4, 1
	v_and_b32_e32 v4, 15, v0
	s_add_u32 s16, s16, s12
	v_and_b32_e32 v2, 31, v0
	v_lshrrev_b16_e32 v5, 3, v4
	v_lshlrev_b32_e32 v7, 3, v3
	v_and_b32_e32 v11, 7, v0
	s_addc_u32 s17, s17, s13
	v_lshl_or_b32 v6, v3, 2, v5
	v_lshlrev_b32_e32 v10, 1, v2
	v_or_b32_e32 v2, v7, v11
	v_lshrrev_b16_e32 v4, 2, v4
	v_lshlrev_b32_e32 v12, 1, v2
	v_mad_u64_u32 v[2:3], s[16:17], v6, 36, s[16:17]
	v_lshlrev_b32_e32 v16, 1, v5
	v_or_b32_e32 v17, v7, v4
	v_mov_b32_e32 v4, s12
	s_movk_i32 s16, 0x120
	v_mov_b32_e32 v5, s13
	v_mad_u64_u32 v[4:5], s[12:13], v14, s16, v[4:5]
	s_add_i32 s16, s6, 1
	s_add_i32 s15, s15, s3
	v_mad_u64_u32 v[4:5], s[12:13], s19, 36, v[4:5]
	s_mul_i32 s3, s6, s0
	s_mul_i32 s0, s0, s16
	v_mad_u64_u32 v[4:5], s[16:17], v6, 36, v[4:5]
	v_mov_b32_e32 v6, s23
	v_lshlrev_b32_e32 v9, 3, v14
	v_add_co_u32_e32 v4, vcc, s22, v4
	v_addc_co_u32_e32 v5, vcc, v6, v5, vcc
	v_mad_u64_u32 v[6:7], s[16:17], s1, 3, v[9:10]
	v_mov_b32_e32 v8, 0
	s_add_i32 s3, s15, s3
	s_add_i32 s12, s15, s0
	v_lshlrev_b32_e32 v18, 2, v11
	v_lshl_add_u32 v19, s1, 1, v9
	v_add_u32_e32 v20, s1, v9
	s_mov_b64 s[0:1], 0
	s_movk_i32 s13, 0xd2
	v_lshlrev_b32_e32 v21, 1, v10
	v_lshlrev_b32_e32 v22, 1, v12
	s_mov_b32 s15, 0x30303030
	s_movk_i32 s16, 0x3f00
	s_movk_i32 s17, 0xe000
	v_lshlrev_b32_e32 v23, 2, v11
	v_mov_b32_e32 v24, 8
	v_mov_b32_e32 v7, v8
	;; [unrolled: 1-line block ×8, first 2 shown]
.LBB151_2:                              ; =>This Inner Loop Header: Depth=1
	v_add_co_u32_e32 v25, vcc, v4, v18
	v_addc_co_u32_e32 v26, vcc, 0, v5, vcc
	global_load_dword v34, v[25:26], off offset:4
	global_load_dword v35, v[25:26], off offset:76
	v_mov_b32_e32 v26, s21
	v_add_u32_e32 v27, s3, v14
	v_mov_b32_e32 v25, s20
	v_mad_i64_i32 v[28:29], s[22:23], v27, s13, v[25:26]
	v_add_u32_e32 v30, s12, v14
	v_mad_i64_i32 v[30:31], s[22:23], v30, s13, v[25:26]
	v_add_co_u32_e32 v25, vcc, v28, v21
	v_addc_co_u32_e32 v26, vcc, 0, v29, vcc
	global_load_dword v36, v[25:26], off
	v_add_co_u32_e32 v25, vcc, v28, v22
	v_addc_co_u32_e32 v26, vcc, 0, v29, vcc
	global_load_dword v37, v[25:26], off offset:128
	v_add_co_u32_e32 v25, vcc, v30, v22
	v_addc_co_u32_e32 v26, vcc, 0, v31, vcc
	global_load_dword v38, v[25:26], off offset:128
	v_add_co_u32_e32 v25, vcc, v30, v21
	v_addc_co_u32_e32 v26, vcc, 0, v31, vcc
	global_load_dword v39, v[25:26], off
	v_add_co_u32_e32 v25, vcc, v28, v17
	v_addc_co_u32_e32 v26, vcc, 0, v29, vcc
	v_add_co_u32_e32 v32, vcc, v30, v17
	global_load_sbyte v40, v[25:26], off offset:192
	global_load_sbyte v27, v[25:26], off offset:196
	v_addc_co_u32_e32 v33, vcc, 0, v31, vcc
	global_load_ushort v25, v[30:31], off offset:208
	global_load_ushort v26, v[28:29], off offset:208
	global_load_sbyte v41, v[32:33], off offset:192
	global_load_sbyte v42, v[32:33], off offset:196
	v_add_u32_e32 v14, 4, v14
	s_waitcnt vmcnt(9)
	v_and_b32_e32 v29, 0xf0f0f0f, v36
	s_waitcnt vmcnt(8)
	v_ashrrev_i32_e32 v28, v16, v37
	v_lshlrev_b32_e32 v30, 4, v28
	v_and_or_b32 v29, v30, s15, v29
	v_lshrrev_b32_e32 v30, 4, v36
	v_and_b32_e32 v30, 0xf0f0f0f, v30
	v_and_or_b32 v28, v28, s15, v30
	s_waitcnt vmcnt(7)
	v_ashrrev_i32_e32 v30, v16, v38
	v_lshlrev_b32_e32 v32, 4, v30
	v_and_b32_e32 v33, 0x3f00, v29
	v_and_b32_e32 v36, 0x3f00, v28
	s_waitcnt vmcnt(6)
	v_and_b32_e32 v31, 0xf0f0f0f, v39
	v_and_or_b32 v31, v32, s15, v31
	v_lshrrev_b32_e32 v32, 4, v39
	v_and_b32_e32 v32, 0xf0f0f0f, v32
	v_and_or_b32 v30, v30, s15, v32
	v_lshlrev_b16_e32 v32, 8, v29
	v_add_u16_e32 v32, 0xe000, v32
	v_or_b32_sdwa v32, v33, v32 dst_sel:DWORD dst_unused:UNUSED_PAD src0_sel:DWORD src1_sel:BYTE_1
	v_and_b32_sdwa v33, v29, s16 dst_sel:DWORD dst_unused:UNUSED_PAD src0_sel:WORD_1 src1_sel:DWORD
	v_lshlrev_b16_sdwa v29, v24, v29 dst_sel:DWORD dst_unused:UNUSED_PAD src0_sel:DWORD src1_sel:WORD_1
	v_add_u16_e32 v29, 0xe000, v29
	v_or_b32_sdwa v29, v33, v29 dst_sel:DWORD dst_unused:UNUSED_PAD src0_sel:DWORD src1_sel:BYTE_1
	v_lshlrev_b16_e32 v33, 8, v28
	v_add_u16_e32 v33, 0xe000, v33
	v_or_b32_sdwa v33, v36, v33 dst_sel:DWORD dst_unused:UNUSED_PAD src0_sel:DWORD src1_sel:BYTE_1
	v_and_b32_sdwa v36, v28, s16 dst_sel:DWORD dst_unused:UNUSED_PAD src0_sel:WORD_1 src1_sel:DWORD
	v_lshlrev_b16_sdwa v28, v24, v28 dst_sel:DWORD dst_unused:UNUSED_PAD src0_sel:DWORD src1_sel:WORD_1
	v_add_u16_e32 v28, 0xe000, v28
	v_or_b32_sdwa v28, v36, v28 dst_sel:DWORD dst_unused:UNUSED_PAD src0_sel:DWORD src1_sel:BYTE_1
	v_lshlrev_b16_e32 v36, 8, v31
	v_add_u16_e32 v36, 0xe000, v36
	v_and_b32_e32 v37, 0x3f00, v31
	v_or_b32_sdwa v36, v37, v36 dst_sel:DWORD dst_unused:UNUSED_PAD src0_sel:DWORD src1_sel:BYTE_1
	v_and_b32_sdwa v37, v31, s16 dst_sel:DWORD dst_unused:UNUSED_PAD src0_sel:WORD_1 src1_sel:DWORD
	v_lshlrev_b16_sdwa v31, v24, v31 dst_sel:DWORD dst_unused:UNUSED_PAD src0_sel:DWORD src1_sel:WORD_1
	v_add_u16_e32 v31, 0xe000, v31
	v_or_b32_sdwa v31, v37, v31 dst_sel:DWORD dst_unused:UNUSED_PAD src0_sel:DWORD src1_sel:BYTE_1
	v_lshlrev_b16_e32 v37, 8, v30
	v_add_u16_e32 v37, 0xe000, v37
	v_and_b32_e32 v38, 0x3f00, v30
	v_or_b32_sdwa v37, v38, v37 dst_sel:DWORD dst_unused:UNUSED_PAD src0_sel:DWORD src1_sel:BYTE_1
	v_and_b32_sdwa v38, v30, s16 dst_sel:DWORD dst_unused:UNUSED_PAD src0_sel:WORD_1 src1_sel:DWORD
	v_lshlrev_b16_sdwa v30, v24, v30 dst_sel:DWORD dst_unused:UNUSED_PAD src0_sel:DWORD src1_sel:WORD_1
	v_add_u16_e32 v30, 0xe000, v30
	v_add_u16_e32 v32, 0xe000, v32
	v_add_u16_sdwa v29, v29, s17 dst_sel:WORD_1 dst_unused:UNUSED_PAD src0_sel:DWORD src1_sel:DWORD
	v_or_b32_sdwa v30, v38, v30 dst_sel:DWORD dst_unused:UNUSED_PAD src0_sel:DWORD src1_sel:BYTE_1
	v_or_b32_e32 v38, v32, v29
	v_add_u16_e32 v29, 0xe000, v33
	v_add_u16_sdwa v28, v28, s17 dst_sel:WORD_1 dst_unused:UNUSED_PAD src0_sel:DWORD src1_sel:DWORD
	v_or_b32_e32 v39, v29, v28
	v_add_u16_e32 v28, 0xe000, v36
	v_add_u16_sdwa v29, v31, s17 dst_sel:WORD_1 dst_unused:UNUSED_PAD src0_sel:DWORD src1_sel:DWORD
	v_or_b32_e32 v36, v28, v29
	v_add_u16_sdwa v29, v30, s17 dst_sel:WORD_1 dst_unused:UNUSED_PAD src0_sel:DWORD src1_sel:DWORD
	global_load_dword v30, v[4:5], off
	global_load_dword v31, v[4:5], off offset:72
	v_add_u16_e32 v28, 0xe000, v37
	v_or_b32_e32 v37, v28, v29
	v_dot4_i32_i8 v28, v38, v34, 0
	v_dot4_i32_i8 v29, v36, v34, 0
	s_waitcnt vmcnt(7)
	v_mul_lo_u32 v28, v28, v40
	s_waitcnt vmcnt(3)
	v_mul_lo_u32 v29, v29, v41
	v_cvt_f32_i32_e32 v28, v28
	v_cvt_f32_i32_e32 v29, v29
	s_waitcnt vmcnt(1)
	v_fma_mix_f32 v28, v30, v28, 0 op_sel_hi:[1,0,0]
	v_fma_mix_f32 v29, v30, v29, 0 op_sel_hi:[1,0,0]
	v_dot4_i32_i8 v30, v39, v35, 0
	v_mul_lo_u32 v30, v30, v27
	v_cvt_f32_i32_e32 v30, v30
	s_waitcnt vmcnt(0)
	v_fma_mix_f32 v34, v31, v30, v28 op_sel_hi:[1,0,0]
	v_dot4_i32_i8 v28, v37, v35, 0
	v_mul_lo_u32 v28, v28, v42
	v_fma_mix_f32 v15, v34, v26, v15 op_sel_hi:[0,1,0]
	v_cvt_f32_i32_e32 v28, v28
	v_fma_mix_f32 v35, v31, v28, v29 op_sel_hi:[1,0,0]
	v_mad_u64_u32 v[28:29], s[22:23], v20, 36, v[2:3]
	v_fma_mix_f32 v13, v35, v25, v13 op_sel_hi:[0,1,0]
	v_add_u32_e32 v20, 32, v20
	v_add_co_u32_e32 v30, vcc, v28, v23
	v_addc_co_u32_e32 v31, vcc, 0, v29, vcc
	global_load_dword v43, v[30:31], off offset:4
	global_load_dword v44, v[30:31], off offset:76
	v_mad_u64_u32 v[30:31], s[22:23], v19, 36, v[2:3]
	v_add_u32_e32 v19, 32, v19
	v_add_co_u32_e32 v32, vcc, v30, v23
	v_addc_co_u32_e32 v33, vcc, 0, v31, vcc
	global_load_dword v45, v[30:31], off
	global_load_dword v46, v[32:33], off offset:76
	global_load_dword v47, v[30:31], off offset:72
                                        ; kill: killed $vgpr30 killed $vgpr31
	s_nop 0
	global_load_dword v30, v[28:29], off
	global_load_dword v31, v[28:29], off offset:72
	s_waitcnt vmcnt(6)
	v_dot4_i32_i8 v28, v38, v43, 0
	v_dot4_i32_i8 v29, v36, v43, 0
	v_mul_lo_u32 v28, v28, v40
	v_mul_lo_u32 v29, v29, v41
	v_cvt_f32_i32_e32 v28, v28
	v_cvt_f32_i32_e32 v29, v29
	s_waitcnt vmcnt(1)
	v_fma_mix_f32 v28, v30, v28, 0 op_sel_hi:[1,0,0]
	v_fma_mix_f32 v29, v30, v29, 0 op_sel_hi:[1,0,0]
	v_dot4_i32_i8 v30, v39, v44, 0
	v_mul_lo_u32 v30, v30, v27
	v_cvt_f32_i32_e32 v30, v30
	s_waitcnt vmcnt(0)
	v_fma_mix_f32 v43, v31, v30, v28 op_sel_hi:[1,0,0]
	v_dot4_i32_i8 v28, v37, v44, 0
	v_mul_lo_u32 v28, v28, v42
	v_dot4_i32_i8 v30, v39, v46, 0
	v_mul_lo_u32 v30, v30, v27
	v_fma_mix_f32 v12, v43, v26, v12 op_sel_hi:[0,1,0]
	v_cvt_f32_i32_e32 v28, v28
	v_cvt_f32_i32_e32 v30, v30
	v_fma_mix_f32 v44, v31, v28, v29 op_sel_hi:[1,0,0]
	global_load_dword v28, v[32:33], off offset:4
	v_fma_mix_f32 v11, v44, v25, v11 op_sel_hi:[0,1,0]
	s_waitcnt vmcnt(0)
	v_dot4_i32_i8 v29, v38, v28, 0
	v_mul_lo_u32 v29, v29, v40
	v_dot4_i32_i8 v28, v36, v28, 0
	v_mul_lo_u32 v28, v28, v41
	v_cvt_f32_i32_e32 v29, v29
	v_cvt_f32_i32_e32 v28, v28
	v_fma_mix_f32 v29, v45, v29, 0 op_sel_hi:[1,0,0]
	v_fma_mix_f32 v32, v47, v30, v29 op_sel_hi:[1,0,0]
	v_dot4_i32_i8 v29, v37, v46, 0
	v_mul_lo_u32 v29, v29, v42
	v_fma_mix_f32 v28, v45, v28, 0 op_sel_hi:[1,0,0]
	v_fma_mix_f32 v10, v32, v26, v10 op_sel_hi:[0,1,0]
	v_cvt_f32_i32_e32 v29, v29
	v_fma_mix_f32 v33, v47, v29, v28 op_sel_hi:[1,0,0]
	v_mad_u64_u32 v[28:29], s[22:23], v6, 36, v[2:3]
	v_fma_mix_f32 v9, v33, v25, v9 op_sel_hi:[0,1,0]
	v_add_u32_e32 v6, 32, v6
	v_add_co_u32_e32 v30, vcc, v28, v23
	v_addc_co_u32_e32 v31, vcc, 0, v29, vcc
	global_load_dword v45, v[30:31], off offset:4
	global_load_dword v46, v[30:31], off offset:76
	global_load_dword v47, v[28:29], off
                                        ; kill: killed $vgpr30 killed $vgpr31
	s_nop 0
	global_load_dword v28, v[28:29], off offset:72
	v_add_co_u32_e32 v4, vcc, 0x480, v4
	v_addc_co_u32_e32 v5, vcc, 0, v5, vcc
	v_cmp_le_u32_e32 vcc, s9, v14
	s_or_b64 s[0:1], vcc, s[0:1]
	s_waitcnt vmcnt(3)
	v_dot4_i32_i8 v29, v38, v45, 0
	s_waitcnt vmcnt(2)
	v_dot4_i32_i8 v31, v39, v46, 0
	v_mul_lo_u32 v29, v29, v40
	v_mul_lo_u32 v27, v31, v27
	v_dot4_i32_i8 v30, v36, v45, 0
	v_dot4_i32_i8 v36, v37, v46, 0
	v_mul_lo_u32 v30, v30, v41
	v_cvt_f32_i32_e32 v29, v29
	v_mul_lo_u32 v31, v36, v42
	v_cvt_f32_i32_e32 v27, v27
	v_cvt_f32_i32_e32 v30, v30
	s_waitcnt vmcnt(1)
	v_fma_mix_f32 v29, v47, v29, 0 op_sel_hi:[1,0,0]
	s_waitcnt vmcnt(0)
	v_fma_mix_f32 v27, v28, v27, v29 op_sel_hi:[1,0,0]
	v_cvt_f32_i32_e32 v29, v31
	v_fma_mix_f32 v30, v47, v30, 0 op_sel_hi:[1,0,0]
	v_fma_mix_f32 v7, v27, v26, v7 op_sel_hi:[0,1,0]
	;; [unrolled: 1-line block ×4, first 2 shown]
	s_andn2_b64 exec, exec, s[0:1]
	s_cbranch_execnz .LBB151_2
; %bb.3:
	s_or_b64 exec, exec, s[0:1]
.LBB151_4:
	s_or_b64 exec, exec, s[10:11]
	v_cmp_eq_u32_e32 vcc, 0, v1
	v_cmp_ne_u32_e64 s[0:1], 0, v1
	v_lshlrev_b32_e32 v2, 2, v0
	s_and_saveexec_b64 s[10:11], s[0:1]
	s_cbranch_execz .LBB151_6
; %bb.5:
	v_lshl_or_b32 v1, v1, 11, v2
	v_add_u32_e32 v1, 0xfffff800, v1
	ds_write2st64_b32 v1, v15, v13 offset1:1
	ds_write2st64_b32 v1, v12, v11 offset0:2 offset1:3
	ds_write2st64_b32 v1, v10, v9 offset0:4 offset1:5
	;; [unrolled: 1-line block ×3, first 2 shown]
.LBB151_6:
	s_or_b64 exec, exec, s[10:11]
	s_waitcnt lgkmcnt(0)
	s_barrier
	s_and_saveexec_b64 s[0:1], vcc
	s_cbranch_execz .LBB151_15
; %bb.7:
	v_mbcnt_lo_u32_b32 v1, -1, 0
	v_mbcnt_hi_u32_b32 v14, -1, v1
	ds_read2st64_b32 v[5:6], v2 offset1:1
	v_and_b32_e32 v1, 64, v14
	v_add_u32_e32 v16, 64, v1
	v_xor_b32_e32 v1, 32, v14
	v_cmp_lt_i32_e32 vcc, v1, v16
	v_cndmask_b32_e32 v1, v14, v1, vcc
	v_lshlrev_b32_e32 v1, 2, v1
	s_waitcnt lgkmcnt(0)
	v_add_f32_e32 v15, v5, v15
	v_add_f32_e32 v6, v6, v13
	ds_bpermute_b32 v18, v1, v15
	ds_bpermute_b32 v13, v1, v6
	v_xor_b32_e32 v3, 16, v14
	v_cmp_lt_i32_e32 vcc, v3, v16
	v_cndmask_b32_e32 v3, v14, v3, vcc
	v_lshlrev_b32_e32 v3, 2, v3
	s_waitcnt lgkmcnt(1)
	v_add_f32_e32 v15, v15, v18
	s_waitcnt lgkmcnt(0)
	v_add_f32_e32 v6, v6, v13
	ds_bpermute_b32 v18, v3, v15
	ds_bpermute_b32 v13, v3, v6
	v_xor_b32_e32 v4, 8, v14
	v_cmp_lt_i32_e32 vcc, v4, v16
	v_cndmask_b32_e32 v4, v14, v4, vcc
	v_lshlrev_b32_e32 v4, 2, v4
	s_waitcnt lgkmcnt(1)
	v_add_f32_e32 v15, v15, v18
	s_waitcnt lgkmcnt(0)
	;; [unrolled: 10-line block ×3, first 2 shown]
	v_add_f32_e32 v13, v13, v19
	ds_bpermute_b32 v18, v5, v15
	ds_bpermute_b32 v19, v5, v13
	v_xor_b32_e32 v17, 2, v14
	v_cmp_lt_i32_e32 vcc, v17, v16
	v_cndmask_b32_e32 v17, v14, v17, vcc
	v_lshlrev_b32_e32 v6, 2, v17
	v_xor_b32_e32 v17, 1, v14
	v_cmp_lt_i32_e32 vcc, v17, v16
	s_waitcnt lgkmcnt(1)
	v_add_f32_e32 v16, v15, v18
	s_waitcnt lgkmcnt(0)
	v_add_f32_e32 v13, v13, v19
	v_cndmask_b32_e32 v14, v14, v17, vcc
	ds_bpermute_b32 v17, v6, v16
	ds_bpermute_b32 v18, v6, v13
	s_load_dwordx2 s[0:1], s[4:5], 0x38
	s_mul_i32 s4, s14, s7
	v_lshlrev_b32_e32 v15, 2, v14
	s_waitcnt lgkmcnt(0)
	v_add_f32_e32 v14, v16, v17
	v_add_f32_e32 v17, v13, v18
	s_mul_i32 s3, s18, s8
	s_add_i32 s4, s4, s6
	ds_bpermute_b32 v16, v15, v14
	ds_bpermute_b32 v18, v15, v17
	s_add_i32 s4, s4, s3
	s_mov_b32 s5, 0
	s_lshl_b64 s[4:5], s[4:5], 2
	s_add_u32 s4, s0, s4
	v_add_u32_e32 v13, s6, v0
	s_addc_u32 s5, s1, s5
	v_cmp_gt_u32_e32 vcc, 2, v0
	v_cmp_gt_u32_e64 s[0:1], s2, v13
	s_and_b64 s[0:1], vcc, s[0:1]
	s_waitcnt lgkmcnt(1)
	v_add_f32_e32 v13, v14, v16
	s_waitcnt lgkmcnt(0)
	v_add_f32_e32 v14, v17, v18
	s_and_saveexec_b64 s[6:7], s[0:1]
	s_cbranch_execz .LBB151_9
; %bb.8:
	v_cmp_eq_u32_e32 vcc, 1, v0
	v_cndmask_b32_e32 v16, v13, v14, vcc
	v_cmp_eq_u32_e32 vcc, 2, v0
	v_cndmask_b32_e32 v16, v16, v12, vcc
	;; [unrolled: 2-line block ×7, first 2 shown]
	global_store_dword v2, v16, s[4:5]
.LBB151_9:
	s_or_b64 exec, exec, s[6:7]
	ds_read2st64_b32 v[16:17], v2 offset0:2 offset1:3
	s_waitcnt lgkmcnt(0)
	v_add_f32_e32 v12, v16, v12
	v_add_f32_e32 v11, v17, v11
	ds_bpermute_b32 v16, v1, v12
	ds_bpermute_b32 v17, v1, v11
	s_waitcnt lgkmcnt(1)
	v_add_f32_e32 v12, v12, v16
	s_waitcnt lgkmcnt(0)
	v_add_f32_e32 v11, v11, v17
	ds_bpermute_b32 v16, v3, v12
	ds_bpermute_b32 v17, v3, v11
	s_waitcnt lgkmcnt(1)
	v_add_f32_e32 v12, v12, v16
	s_waitcnt lgkmcnt(0)
	;; [unrolled: 6-line block ×6, first 2 shown]
	v_add_f32_e32 v11, v11, v17
	s_and_saveexec_b64 s[6:7], s[0:1]
	s_cbranch_execz .LBB151_11
; %bb.10:
	v_add_u32_e32 v16, 2, v0
	v_cmp_eq_u32_e32 vcc, 1, v16
	v_cndmask_b32_e32 v17, v13, v14, vcc
	v_cmp_eq_u32_e32 vcc, 2, v16
	v_cndmask_b32_e32 v17, v17, v12, vcc
	;; [unrolled: 2-line block ×7, first 2 shown]
	v_add_u32_e32 v16, s2, v0
	v_mov_b32_e32 v17, 0
	v_lshlrev_b64 v[16:17], 2, v[16:17]
	v_mov_b32_e32 v19, s5
	v_add_co_u32_e32 v16, vcc, s4, v16
	v_addc_co_u32_e32 v17, vcc, v19, v17, vcc
	global_store_dword v[16:17], v18, off
.LBB151_11:
	s_or_b64 exec, exec, s[6:7]
	ds_read2st64_b32 v[16:17], v2 offset0:4 offset1:5
	s_waitcnt lgkmcnt(0)
	v_add_f32_e32 v10, v16, v10
	v_add_f32_e32 v9, v17, v9
	ds_bpermute_b32 v16, v1, v10
	ds_bpermute_b32 v17, v1, v9
	s_waitcnt lgkmcnt(1)
	v_add_f32_e32 v10, v10, v16
	s_waitcnt lgkmcnt(0)
	v_add_f32_e32 v9, v9, v17
	ds_bpermute_b32 v16, v3, v10
	ds_bpermute_b32 v17, v3, v9
	s_waitcnt lgkmcnt(1)
	v_add_f32_e32 v10, v10, v16
	s_waitcnt lgkmcnt(0)
	;; [unrolled: 6-line block ×6, first 2 shown]
	v_add_f32_e32 v9, v9, v17
	s_and_saveexec_b64 s[6:7], s[0:1]
	s_cbranch_execz .LBB151_13
; %bb.12:
	v_add_u32_e32 v16, 4, v0
	v_cmp_eq_u32_e32 vcc, 1, v16
	v_cndmask_b32_e32 v17, v13, v14, vcc
	v_cmp_eq_u32_e32 vcc, 2, v16
	v_cndmask_b32_e32 v17, v17, v12, vcc
	;; [unrolled: 2-line block ×7, first 2 shown]
	v_lshl_or_b32 v16, s2, 1, v0
	v_mov_b32_e32 v17, 0
	v_lshlrev_b64 v[16:17], 2, v[16:17]
	v_mov_b32_e32 v19, s5
	v_add_co_u32_e32 v16, vcc, s4, v16
	v_addc_co_u32_e32 v17, vcc, v19, v17, vcc
	global_store_dword v[16:17], v18, off
.LBB151_13:
	s_or_b64 exec, exec, s[6:7]
	ds_read2st64_b32 v[16:17], v2 offset0:6 offset1:7
	s_waitcnt lgkmcnt(0)
	v_add_f32_e32 v2, v16, v7
	v_add_f32_e32 v7, v17, v8
	ds_bpermute_b32 v8, v1, v2
	ds_bpermute_b32 v1, v1, v7
	s_waitcnt lgkmcnt(1)
	v_add_f32_e32 v2, v2, v8
	s_waitcnt lgkmcnt(0)
	v_add_f32_e32 v1, v7, v1
	ds_bpermute_b32 v7, v3, v2
	ds_bpermute_b32 v3, v3, v1
	s_waitcnt lgkmcnt(1)
	v_add_f32_e32 v2, v2, v7
	s_waitcnt lgkmcnt(0)
	;; [unrolled: 6-line block ×5, first 2 shown]
	v_add_f32_e32 v2, v3, v4
	ds_bpermute_b32 v3, v15, v1
	ds_bpermute_b32 v4, v15, v2
	s_and_b64 exec, exec, s[0:1]
	s_cbranch_execz .LBB151_15
; %bb.14:
	s_waitcnt lgkmcnt(1)
	v_add_f32_e32 v1, v1, v3
	v_add_u32_e32 v3, 6, v0
	v_cmp_eq_u32_e32 vcc, 1, v3
	s_waitcnt lgkmcnt(0)
	v_add_f32_e32 v2, v2, v4
	v_cndmask_b32_e32 v4, v13, v14, vcc
	v_cmp_eq_u32_e32 vcc, 2, v3
	v_cndmask_b32_e32 v4, v4, v12, vcc
	v_cmp_eq_u32_e32 vcc, 3, v3
	;; [unrolled: 2-line block ×5, first 2 shown]
	v_cndmask_b32_e32 v4, v4, v1, vcc
	v_mad_u64_u32 v[0:1], s[0:1], s2, 3, v[0:1]
	v_mov_b32_e32 v1, 0
	v_cmp_eq_u32_e32 vcc, 7, v3
	v_lshlrev_b64 v[0:1], 2, v[0:1]
	v_cndmask_b32_e32 v2, v4, v2, vcc
	v_mov_b32_e32 v3, s5
	v_add_co_u32_e32 v0, vcc, s4, v0
	v_addc_co_u32_e32 v1, vcc, v3, v1, vcc
	global_store_dword v[0:1], v2, off
.LBB151_15:
	s_endpgm
	.section	.rodata,"a",@progbits
	.p2align	6, 0x0
	.amdhsa_kernel _ZL13mul_mat_vec_qIL9ggml_type14ELi4ELb0ELb0EEvPKvS2_PKi31ggml_cuda_mm_fusion_args_devicePfj15HIP_vector_typeIjLj3EEjjjS8_jjjS8_jjjj
		.amdhsa_group_segment_fixed_size 2048
		.amdhsa_private_segment_fixed_size 0
		.amdhsa_kernarg_size 144
		.amdhsa_user_sgpr_count 6
		.amdhsa_user_sgpr_private_segment_buffer 1
		.amdhsa_user_sgpr_dispatch_ptr 0
		.amdhsa_user_sgpr_queue_ptr 0
		.amdhsa_user_sgpr_kernarg_segment_ptr 1
		.amdhsa_user_sgpr_dispatch_id 0
		.amdhsa_user_sgpr_flat_scratch_init 0
		.amdhsa_user_sgpr_private_segment_size 0
		.amdhsa_uses_dynamic_stack 0
		.amdhsa_system_sgpr_private_segment_wavefront_offset 0
		.amdhsa_system_sgpr_workgroup_id_x 1
		.amdhsa_system_sgpr_workgroup_id_y 1
		.amdhsa_system_sgpr_workgroup_id_z 1
		.amdhsa_system_sgpr_workgroup_info 0
		.amdhsa_system_vgpr_workitem_id 1
		.amdhsa_next_free_vgpr 48
		.amdhsa_next_free_sgpr 61
		.amdhsa_reserve_vcc 1
		.amdhsa_reserve_flat_scratch 0
		.amdhsa_float_round_mode_32 0
		.amdhsa_float_round_mode_16_64 0
		.amdhsa_float_denorm_mode_32 3
		.amdhsa_float_denorm_mode_16_64 3
		.amdhsa_dx10_clamp 1
		.amdhsa_ieee_mode 1
		.amdhsa_fp16_overflow 0
		.amdhsa_exception_fp_ieee_invalid_op 0
		.amdhsa_exception_fp_denorm_src 0
		.amdhsa_exception_fp_ieee_div_zero 0
		.amdhsa_exception_fp_ieee_overflow 0
		.amdhsa_exception_fp_ieee_underflow 0
		.amdhsa_exception_fp_ieee_inexact 0
		.amdhsa_exception_int_div_zero 0
	.end_amdhsa_kernel
	.section	.text._ZL13mul_mat_vec_qIL9ggml_type14ELi4ELb0ELb0EEvPKvS2_PKi31ggml_cuda_mm_fusion_args_devicePfj15HIP_vector_typeIjLj3EEjjjS8_jjjS8_jjjj,"axG",@progbits,_ZL13mul_mat_vec_qIL9ggml_type14ELi4ELb0ELb0EEvPKvS2_PKi31ggml_cuda_mm_fusion_args_devicePfj15HIP_vector_typeIjLj3EEjjjS8_jjjS8_jjjj,comdat
.Lfunc_end151:
	.size	_ZL13mul_mat_vec_qIL9ggml_type14ELi4ELb0ELb0EEvPKvS2_PKi31ggml_cuda_mm_fusion_args_devicePfj15HIP_vector_typeIjLj3EEjjjS8_jjjS8_jjjj, .Lfunc_end151-_ZL13mul_mat_vec_qIL9ggml_type14ELi4ELb0ELb0EEvPKvS2_PKi31ggml_cuda_mm_fusion_args_devicePfj15HIP_vector_typeIjLj3EEjjjS8_jjjS8_jjjj
                                        ; -- End function
	.set _ZL13mul_mat_vec_qIL9ggml_type14ELi4ELb0ELb0EEvPKvS2_PKi31ggml_cuda_mm_fusion_args_devicePfj15HIP_vector_typeIjLj3EEjjjS8_jjjS8_jjjj.num_vgpr, 48
	.set _ZL13mul_mat_vec_qIL9ggml_type14ELi4ELb0ELb0EEvPKvS2_PKi31ggml_cuda_mm_fusion_args_devicePfj15HIP_vector_typeIjLj3EEjjjS8_jjjS8_jjjj.num_agpr, 0
	.set _ZL13mul_mat_vec_qIL9ggml_type14ELi4ELb0ELb0EEvPKvS2_PKi31ggml_cuda_mm_fusion_args_devicePfj15HIP_vector_typeIjLj3EEjjjS8_jjjS8_jjjj.numbered_sgpr, 26
	.set _ZL13mul_mat_vec_qIL9ggml_type14ELi4ELb0ELb0EEvPKvS2_PKi31ggml_cuda_mm_fusion_args_devicePfj15HIP_vector_typeIjLj3EEjjjS8_jjjS8_jjjj.num_named_barrier, 0
	.set _ZL13mul_mat_vec_qIL9ggml_type14ELi4ELb0ELb0EEvPKvS2_PKi31ggml_cuda_mm_fusion_args_devicePfj15HIP_vector_typeIjLj3EEjjjS8_jjjS8_jjjj.private_seg_size, 0
	.set _ZL13mul_mat_vec_qIL9ggml_type14ELi4ELb0ELb0EEvPKvS2_PKi31ggml_cuda_mm_fusion_args_devicePfj15HIP_vector_typeIjLj3EEjjjS8_jjjS8_jjjj.uses_vcc, 1
	.set _ZL13mul_mat_vec_qIL9ggml_type14ELi4ELb0ELb0EEvPKvS2_PKi31ggml_cuda_mm_fusion_args_devicePfj15HIP_vector_typeIjLj3EEjjjS8_jjjS8_jjjj.uses_flat_scratch, 0
	.set _ZL13mul_mat_vec_qIL9ggml_type14ELi4ELb0ELb0EEvPKvS2_PKi31ggml_cuda_mm_fusion_args_devicePfj15HIP_vector_typeIjLj3EEjjjS8_jjjS8_jjjj.has_dyn_sized_stack, 0
	.set _ZL13mul_mat_vec_qIL9ggml_type14ELi4ELb0ELb0EEvPKvS2_PKi31ggml_cuda_mm_fusion_args_devicePfj15HIP_vector_typeIjLj3EEjjjS8_jjjS8_jjjj.has_recursion, 0
	.set _ZL13mul_mat_vec_qIL9ggml_type14ELi4ELb0ELb0EEvPKvS2_PKi31ggml_cuda_mm_fusion_args_devicePfj15HIP_vector_typeIjLj3EEjjjS8_jjjS8_jjjj.has_indirect_call, 0
	.section	.AMDGPU.csdata,"",@progbits
; Kernel info:
; codeLenInByte = 3352
; TotalNumSgprs: 30
; NumVgprs: 48
; ScratchSize: 0
; MemoryBound: 0
; FloatMode: 240
; IeeeMode: 1
; LDSByteSize: 2048 bytes/workgroup (compile time only)
; SGPRBlocks: 8
; VGPRBlocks: 11
; NumSGPRsForWavesPerEU: 65
; NumVGPRsForWavesPerEU: 48
; Occupancy: 5
; WaveLimiterHint : 0
; COMPUTE_PGM_RSRC2:SCRATCH_EN: 0
; COMPUTE_PGM_RSRC2:USER_SGPR: 6
; COMPUTE_PGM_RSRC2:TRAP_HANDLER: 0
; COMPUTE_PGM_RSRC2:TGID_X_EN: 1
; COMPUTE_PGM_RSRC2:TGID_Y_EN: 1
; COMPUTE_PGM_RSRC2:TGID_Z_EN: 1
; COMPUTE_PGM_RSRC2:TIDIG_COMP_CNT: 1
	.section	.text._ZL13mul_mat_vec_qIL9ggml_type14ELi5ELb0ELb0EEvPKvS2_PKi31ggml_cuda_mm_fusion_args_devicePfj15HIP_vector_typeIjLj3EEjjjS8_jjjS8_jjjj,"axG",@progbits,_ZL13mul_mat_vec_qIL9ggml_type14ELi5ELb0ELb0EEvPKvS2_PKi31ggml_cuda_mm_fusion_args_devicePfj15HIP_vector_typeIjLj3EEjjjS8_jjjS8_jjjj,comdat
	.globl	_ZL13mul_mat_vec_qIL9ggml_type14ELi5ELb0ELb0EEvPKvS2_PKi31ggml_cuda_mm_fusion_args_devicePfj15HIP_vector_typeIjLj3EEjjjS8_jjjS8_jjjj ; -- Begin function _ZL13mul_mat_vec_qIL9ggml_type14ELi5ELb0ELb0EEvPKvS2_PKi31ggml_cuda_mm_fusion_args_devicePfj15HIP_vector_typeIjLj3EEjjjS8_jjjS8_jjjj
	.p2align	8
	.type	_ZL13mul_mat_vec_qIL9ggml_type14ELi5ELb0ELb0EEvPKvS2_PKi31ggml_cuda_mm_fusion_args_devicePfj15HIP_vector_typeIjLj3EEjjjS8_jjjS8_jjjj,@function
_ZL13mul_mat_vec_qIL9ggml_type14ELi5ELb0ELb0EEvPKvS2_PKi31ggml_cuda_mm_fusion_args_devicePfj15HIP_vector_typeIjLj3EEjjjS8_jjjS8_jjjj: ; @_ZL13mul_mat_vec_qIL9ggml_type14ELi5ELb0ELb0EEvPKvS2_PKi31ggml_cuda_mm_fusion_args_devicePfj15HIP_vector_typeIjLj3EEjjjS8_jjjS8_jjjj
; %bb.0:
	s_load_dword s9, s[4:5], 0x40
	s_load_dwordx4 s[0:3], s[4:5], 0x50
	s_load_dword s25, s[4:5], 0x60
	s_load_dwordx4 s[12:15], s[4:5], 0x68
	;; [unrolled: 2-line block ×3, first 2 shown]
	v_lshl_or_b32 v2, v1, 6, v0
	s_waitcnt lgkmcnt(0)
	s_lshr_b32 s9, s9, 8
	v_lshrrev_b32_e32 v14, 5, v2
	v_mov_b32_e32 v6, 0
	s_lshl_b32 s6, s6, 1
	v_cmp_gt_u32_e32 vcc, s9, v14
	v_mov_b32_e32 v7, v6
	v_mov_b32_e32 v8, v6
	;; [unrolled: 1-line block ×9, first 2 shown]
	s_and_saveexec_b64 s[10:11], vcc
	s_cbranch_execz .LBB152_4
; %bb.1:
	s_mul_hi_u32 s3, s3, s7
	s_add_i32 s3, s7, s3
	s_load_dwordx4 s[20:23], s[4:5], 0x0
	s_lshr_b32 s3, s3, s25
	s_mul_i32 s3, s3, s12
	s_mul_hi_u32 s12, s15, s8
	s_add_i32 s12, s8, s12
	s_lshr_b32 s12, s12, s24
	s_mul_i32 s19, s17, s8
	s_mul_i32 s15, s12, s16
	;; [unrolled: 1-line block ×3, first 2 shown]
	s_mul_hi_u32 s12, s19, 36
	s_waitcnt lgkmcnt(0)
	s_add_u32 s16, s22, s16
	s_addc_u32 s17, s23, s12
	s_mul_i32 s12, s13, s7
	s_mul_hi_u32 s13, s12, 36
	s_mul_i32 s12, s12, 36
	v_bfe_u32 v3, v0, 4, 1
	v_and_b32_e32 v4, 15, v0
	s_add_u32 s16, s16, s12
	v_and_b32_e32 v2, 31, v0
	v_lshrrev_b16_e32 v5, 3, v4
	v_lshlrev_b32_e32 v9, 3, v3
	v_and_b32_e32 v10, 7, v0
	s_addc_u32 s17, s17, s13
	v_lshl_or_b32 v7, v3, 2, v5
	v_lshlrev_b32_e32 v8, 1, v2
	v_or_b32_e32 v2, v9, v10
	v_lshrrev_b16_e32 v4, 2, v4
	v_lshlrev_b32_e32 v11, 1, v2
	v_mad_u64_u32 v[2:3], s[16:17], v7, 36, s[16:17]
	v_lshlrev_b32_e32 v17, 1, v5
	v_or_b32_e32 v18, v9, v4
	v_mov_b32_e32 v4, s12
	s_movk_i32 s16, 0x120
	v_mov_b32_e32 v5, s13
	v_mad_u64_u32 v[4:5], s[12:13], v14, s16, v[4:5]
	s_add_i32 s16, s6, 1
	s_add_i32 s15, s15, s3
	v_mad_u64_u32 v[4:5], s[12:13], s19, 36, v[4:5]
	v_mov_b32_e32 v6, 0
	s_mul_i32 s3, s6, s0
	v_mad_u64_u32 v[4:5], s[12:13], v7, 36, v[4:5]
	s_mul_i32 s0, s0, s16
	v_mov_b32_e32 v7, s23
	v_add_co_u32_e32 v4, vcc, s22, v4
	s_add_i32 s3, s15, s3
	s_add_i32 s0, s15, s0
	v_lshlrev_b32_e32 v19, 2, v10
	v_addc_co_u32_e32 v5, vcc, v7, v5, vcc
	s_lshl_b32 s15, s1, 1
	v_lshlrev_b32_e32 v20, 3, v14
	s_mul_i32 s16, s1, 3
	s_lshl_b32 s17, s1, 2
	s_mov_b64 s[12:13], 0
	s_movk_i32 s19, 0xd2
	v_lshlrev_b32_e32 v21, 1, v8
	v_lshlrev_b32_e32 v22, 1, v11
	s_mov_b32 s22, 0x30303030
	s_movk_i32 s23, 0x3f00
	s_movk_i32 s24, 0xe000
	v_lshlrev_b32_e32 v23, 2, v10
	v_mov_b32_e32 v24, 8
	v_mov_b32_e32 v7, v6
	;; [unrolled: 1-line block ×10, first 2 shown]
.LBB152_2:                              ; =>This Inner Loop Header: Depth=1
	v_mov_b32_e32 v31, s21
	v_add_u32_e32 v27, s3, v14
	v_mov_b32_e32 v30, s20
	v_mad_i64_i32 v[27:28], s[26:27], v27, s19, v[30:31]
	v_add_co_u32_e32 v25, vcc, v4, v19
	v_addc_co_u32_e32 v26, vcc, 0, v5, vcc
	global_load_dword v37, v[25:26], off offset:4
	global_load_dword v38, v[4:5], off
	global_load_dword v39, v[25:26], off offset:76
	global_load_dword v40, v[4:5], off offset:72
	v_add_co_u32_e32 v25, vcc, v27, v21
	v_addc_co_u32_e32 v26, vcc, 0, v28, vcc
	global_load_dword v29, v[25:26], off
	v_add_co_u32_e32 v25, vcc, v27, v22
	v_addc_co_u32_e32 v26, vcc, 0, v28, vcc
	global_load_dword v25, v[25:26], off offset:128
	v_add_co_u32_e32 v32, vcc, v27, v18
	v_addc_co_u32_e32 v33, vcc, 0, v28, vcc
	s_waitcnt vmcnt(0)
	v_ashrrev_i32_e32 v34, v17, v25
	global_load_ushort v25, v[27:28], off offset:208
	global_load_sbyte v26, v[32:33], off offset:192
	v_and_b32_e32 v27, 0xf0f0f0f, v29
	v_lshlrev_b32_e32 v28, 4, v34
	v_and_or_b32 v27, v28, s22, v27
	v_lshlrev_b16_e32 v35, 8, v27
	v_and_b32_e32 v28, 0x3f00, v27
	v_add_u16_e32 v35, 0xe000, v35
	v_or_b32_sdwa v28, v28, v35 dst_sel:DWORD dst_unused:UNUSED_PAD src0_sel:DWORD src1_sel:BYTE_1
	v_and_b32_sdwa v35, v27, s23 dst_sel:DWORD dst_unused:UNUSED_PAD src0_sel:WORD_1 src1_sel:DWORD
	v_lshlrev_b16_sdwa v27, v24, v27 dst_sel:DWORD dst_unused:UNUSED_PAD src0_sel:DWORD src1_sel:WORD_1
	v_add_u16_e32 v27, 0xe000, v27
	v_or_b32_sdwa v27, v35, v27 dst_sel:DWORD dst_unused:UNUSED_PAD src0_sel:DWORD src1_sel:BYTE_1
	v_add_u16_e32 v28, 0xe000, v28
	v_add_u16_sdwa v27, v27, s24 dst_sel:WORD_1 dst_unused:UNUSED_PAD src0_sel:DWORD src1_sel:DWORD
	v_or_b32_e32 v27, v28, v27
	v_dot4_i32_i8 v28, v27, v37, 0
	v_lshrrev_b32_e32 v29, 4, v29
	v_and_b32_e32 v29, 0xf0f0f0f, v29
	v_and_or_b32 v29, v34, s22, v29
	s_waitcnt vmcnt(0)
	v_mul_lo_u32 v28, v28, v26
	v_cvt_f32_i32_e32 v28, v28
	v_fma_mix_f32 v35, v38, v28, 0 op_sel_hi:[1,0,0]
	global_load_sbyte v28, v[32:33], off offset:196
	v_lshlrev_b16_e32 v33, 8, v29
	v_and_b32_e32 v32, 0x3f00, v29
	v_add_u16_e32 v33, 0xe000, v33
	v_or_b32_sdwa v32, v32, v33 dst_sel:DWORD dst_unused:UNUSED_PAD src0_sel:DWORD src1_sel:BYTE_1
	v_and_b32_sdwa v33, v29, s23 dst_sel:DWORD dst_unused:UNUSED_PAD src0_sel:WORD_1 src1_sel:DWORD
	v_lshlrev_b16_sdwa v29, v24, v29 dst_sel:DWORD dst_unused:UNUSED_PAD src0_sel:DWORD src1_sel:WORD_1
	v_add_u16_e32 v29, 0xe000, v29
	v_or_b32_sdwa v29, v33, v29 dst_sel:DWORD dst_unused:UNUSED_PAD src0_sel:DWORD src1_sel:BYTE_1
	v_add_u16_e32 v32, 0xe000, v32
	v_add_u16_sdwa v29, v29, s24 dst_sel:WORD_1 dst_unused:UNUSED_PAD src0_sel:DWORD src1_sel:DWORD
	v_or_b32_e32 v29, v32, v29
	v_dot4_i32_i8 v32, v29, v39, 0
	s_waitcnt vmcnt(0)
	v_mul_lo_u32 v32, v32, v28
	v_cvt_f32_i32_e32 v32, v32
	v_fma_mix_f32 v32, v40, v32, v35 op_sel_hi:[1,0,0]
	v_fma_mix_f32 v16, v32, v25, v16 op_sel_hi:[0,1,0]
	v_add_u32_e32 v32, s0, v14
	v_mad_i64_i32 v[33:34], s[26:27], v32, s19, v[30:31]
	v_add_u32_e32 v14, 2, v14
	v_add_co_u32_e32 v30, vcc, v33, v21
	v_addc_co_u32_e32 v31, vcc, 0, v34, vcc
	global_load_dword v41, v[30:31], off
	v_add_co_u32_e32 v30, vcc, v33, v22
	v_addc_co_u32_e32 v31, vcc, 0, v34, vcc
	global_load_dword v30, v[30:31], off offset:128
	v_add_co_u32_e32 v35, vcc, v33, v18
	v_addc_co_u32_e32 v36, vcc, 0, v34, vcc
	s_waitcnt vmcnt(1)
	v_and_b32_e32 v31, 0xf0f0f0f, v41
	s_waitcnt vmcnt(0)
	v_ashrrev_i32_e32 v42, v17, v30
	global_load_ushort v30, v[33:34], off offset:208
	global_load_sbyte v32, v[35:36], off offset:192
	v_lshlrev_b32_e32 v33, 4, v42
	v_and_or_b32 v31, v33, s22, v31
	v_lshlrev_b16_e32 v34, 8, v31
	v_and_b32_e32 v33, 0x3f00, v31
	v_add_u16_e32 v34, 0xe000, v34
	v_or_b32_sdwa v33, v33, v34 dst_sel:DWORD dst_unused:UNUSED_PAD src0_sel:DWORD src1_sel:BYTE_1
	v_and_b32_sdwa v34, v31, s23 dst_sel:DWORD dst_unused:UNUSED_PAD src0_sel:WORD_1 src1_sel:DWORD
	v_lshlrev_b16_sdwa v31, v24, v31 dst_sel:DWORD dst_unused:UNUSED_PAD src0_sel:DWORD src1_sel:WORD_1
	v_add_u16_e32 v31, 0xe000, v31
	v_or_b32_sdwa v31, v34, v31 dst_sel:DWORD dst_unused:UNUSED_PAD src0_sel:DWORD src1_sel:BYTE_1
	v_add_u16_e32 v33, 0xe000, v33
	v_add_u16_sdwa v31, v31, s24 dst_sel:WORD_1 dst_unused:UNUSED_PAD src0_sel:DWORD src1_sel:DWORD
	v_or_b32_e32 v34, v33, v31
	v_dot4_i32_i8 v31, v34, v37, 0
	v_lshrrev_b32_e32 v33, 4, v41
	v_and_b32_e32 v33, 0xf0f0f0f, v33
	v_and_or_b32 v33, v42, s22, v33
	s_waitcnt vmcnt(0)
	v_mul_lo_u32 v31, v31, v32
	v_cvt_f32_i32_e32 v31, v31
	v_fma_mix_f32 v37, v38, v31, 0 op_sel_hi:[1,0,0]
	global_load_sbyte v31, v[35:36], off offset:196
	v_lshlrev_b16_e32 v36, 8, v33
	v_and_b32_e32 v35, 0x3f00, v33
	v_add_u16_e32 v36, 0xe000, v36
	v_or_b32_sdwa v35, v35, v36 dst_sel:DWORD dst_unused:UNUSED_PAD src0_sel:DWORD src1_sel:BYTE_1
	v_and_b32_sdwa v36, v33, s23 dst_sel:DWORD dst_unused:UNUSED_PAD src0_sel:WORD_1 src1_sel:DWORD
	v_lshlrev_b16_sdwa v33, v24, v33 dst_sel:DWORD dst_unused:UNUSED_PAD src0_sel:DWORD src1_sel:WORD_1
	v_add_u16_e32 v33, 0xe000, v33
	v_or_b32_sdwa v33, v36, v33 dst_sel:DWORD dst_unused:UNUSED_PAD src0_sel:DWORD src1_sel:BYTE_1
	v_add_u16_e32 v35, 0xe000, v35
	v_add_u16_sdwa v33, v33, s24 dst_sel:WORD_1 dst_unused:UNUSED_PAD src0_sel:DWORD src1_sel:DWORD
	v_or_b32_e32 v33, v35, v33
	v_dot4_i32_i8 v35, v33, v39, 0
	s_waitcnt vmcnt(0)
	v_mul_lo_u32 v35, v35, v31
	v_cvt_f32_i32_e32 v35, v35
	v_fma_mix_f32 v35, v40, v35, v37 op_sel_hi:[1,0,0]
	v_fma_mix_f32 v15, v35, v30, v15 op_sel_hi:[0,1,0]
	v_add_u32_e32 v35, s1, v20
	v_mad_u64_u32 v[35:36], s[26:27], v35, 36, v[2:3]
	v_add_co_u32_e32 v37, vcc, v35, v23
	v_addc_co_u32_e32 v38, vcc, 0, v36, vcc
	global_load_dword v39, v[37:38], off offset:4
	global_load_dword v40, v[35:36], off
	global_load_dword v41, v[37:38], off offset:76
	global_load_dword v42, v[35:36], off offset:72
	s_waitcnt vmcnt(3)
	v_dot4_i32_i8 v35, v27, v39, 0
	v_mul_lo_u32 v35, v35, v26
	s_waitcnt vmcnt(1)
	v_dot4_i32_i8 v36, v29, v41, 0
	v_mul_lo_u32 v36, v36, v28
	v_cvt_f32_i32_e32 v35, v35
	v_cvt_f32_i32_e32 v36, v36
	v_fma_mix_f32 v35, v40, v35, 0 op_sel_hi:[1,0,0]
	s_waitcnt vmcnt(0)
	v_fma_mix_f32 v35, v42, v36, v35 op_sel_hi:[1,0,0]
	v_fma_mix_f32 v13, v35, v25, v13 op_sel_hi:[0,1,0]
	v_dot4_i32_i8 v35, v34, v39, 0
	v_mul_lo_u32 v35, v35, v32
	v_dot4_i32_i8 v36, v33, v41, 0
	v_mul_lo_u32 v36, v36, v31
	v_cvt_f32_i32_e32 v35, v35
	v_cvt_f32_i32_e32 v36, v36
	v_fma_mix_f32 v35, v40, v35, 0 op_sel_hi:[1,0,0]
	v_fma_mix_f32 v35, v42, v36, v35 op_sel_hi:[1,0,0]
	v_fma_mix_f32 v12, v35, v30, v12 op_sel_hi:[0,1,0]
	v_add_u32_e32 v35, s15, v20
	v_mad_u64_u32 v[35:36], s[26:27], v35, 36, v[2:3]
	v_add_co_u32_e32 v37, vcc, v35, v23
	v_addc_co_u32_e32 v38, vcc, 0, v36, vcc
	global_load_dword v39, v[37:38], off offset:4
	global_load_dword v40, v[35:36], off
	global_load_dword v41, v[37:38], off offset:76
	global_load_dword v42, v[35:36], off offset:72
	s_waitcnt vmcnt(3)
	v_dot4_i32_i8 v35, v27, v39, 0
	v_mul_lo_u32 v35, v35, v26
	s_waitcnt vmcnt(1)
	v_dot4_i32_i8 v36, v29, v41, 0
	v_mul_lo_u32 v36, v36, v28
	v_cvt_f32_i32_e32 v35, v35
	v_cvt_f32_i32_e32 v36, v36
	v_fma_mix_f32 v35, v40, v35, 0 op_sel_hi:[1,0,0]
	s_waitcnt vmcnt(0)
	v_fma_mix_f32 v35, v42, v36, v35 op_sel_hi:[1,0,0]
	v_fma_mix_f32 v11, v35, v25, v11 op_sel_hi:[0,1,0]
	v_dot4_i32_i8 v35, v34, v39, 0
	v_mul_lo_u32 v35, v35, v32
	v_dot4_i32_i8 v36, v33, v41, 0
	v_mul_lo_u32 v36, v36, v31
	v_cvt_f32_i32_e32 v35, v35
	v_cvt_f32_i32_e32 v36, v36
	v_fma_mix_f32 v35, v40, v35, 0 op_sel_hi:[1,0,0]
	;; [unrolled: 29-line block ×3, first 2 shown]
	v_fma_mix_f32 v35, v42, v36, v35 op_sel_hi:[1,0,0]
	v_fma_mix_f32 v8, v35, v30, v8 op_sel_hi:[0,1,0]
	v_add_u32_e32 v35, s17, v20
	v_mad_u64_u32 v[35:36], s[26:27], v35, 36, v[2:3]
	v_add_u32_e32 v20, 16, v20
	v_add_co_u32_e32 v37, vcc, v35, v23
	v_addc_co_u32_e32 v38, vcc, 0, v36, vcc
	global_load_dword v39, v[37:38], off offset:4
	global_load_dword v40, v[35:36], off
	global_load_dword v41, v[37:38], off offset:76
	global_load_dword v42, v[35:36], off offset:72
	v_add_co_u32_e32 v4, vcc, 0x240, v4
	v_addc_co_u32_e32 v5, vcc, 0, v5, vcc
	v_cmp_le_u32_e32 vcc, s9, v14
	s_or_b64 s[12:13], vcc, s[12:13]
	s_waitcnt vmcnt(3)
	v_dot4_i32_i8 v27, v27, v39, 0
	v_mul_lo_u32 v26, v27, v26
	s_waitcnt vmcnt(1)
	v_dot4_i32_i8 v27, v29, v41, 0
	v_mul_lo_u32 v27, v27, v28
	v_cvt_f32_i32_e32 v26, v26
	v_cvt_f32_i32_e32 v27, v27
	v_fma_mix_f32 v26, v40, v26, 0 op_sel_hi:[1,0,0]
	s_waitcnt vmcnt(0)
	v_fma_mix_f32 v26, v42, v27, v26 op_sel_hi:[1,0,0]
	v_fma_mix_f32 v7, v26, v25, v7 op_sel_hi:[0,1,0]
	v_dot4_i32_i8 v25, v34, v39, 0
	v_mul_lo_u32 v25, v25, v32
	v_dot4_i32_i8 v26, v33, v41, 0
	v_mul_lo_u32 v26, v26, v31
	v_cvt_f32_i32_e32 v25, v25
	v_cvt_f32_i32_e32 v26, v26
	v_fma_mix_f32 v25, v40, v25, 0 op_sel_hi:[1,0,0]
	v_fma_mix_f32 v25, v42, v26, v25 op_sel_hi:[1,0,0]
	;; [unrolled: 1-line block ×3, first 2 shown]
	s_andn2_b64 exec, exec, s[12:13]
	s_cbranch_execnz .LBB152_2
; %bb.3:
	s_or_b64 exec, exec, s[12:13]
.LBB152_4:
	s_or_b64 exec, exec, s[10:11]
	s_mov_b32 s1, 0
	v_cmp_eq_u32_e32 vcc, 0, v1
	; wave barrier
	s_and_saveexec_b64 s[10:11], vcc
	s_cbranch_execz .LBB152_15
; %bb.5:
	v_mbcnt_lo_u32_b32 v1, -1, 0
	v_mbcnt_hi_u32_b32 v14, -1, v1
	v_and_b32_e32 v1, 64, v14
	v_add_u32_e32 v17, 64, v1
	v_xor_b32_e32 v1, 32, v14
	v_cmp_lt_i32_e32 vcc, v1, v17
	v_cndmask_b32_e32 v1, v14, v1, vcc
	v_lshlrev_b32_e32 v1, 2, v1
	ds_bpermute_b32 v5, v1, v16
	ds_bpermute_b32 v18, v1, v15
	v_xor_b32_e32 v2, 16, v14
	v_cmp_lt_i32_e32 vcc, v2, v17
	v_cndmask_b32_e32 v2, v14, v2, vcc
	v_lshlrev_b32_e32 v2, 2, v2
	s_waitcnt lgkmcnt(1)
	v_add_f32_e32 v5, v16, v5
	s_waitcnt lgkmcnt(0)
	v_add_f32_e32 v15, v15, v18
	ds_bpermute_b32 v16, v2, v5
	ds_bpermute_b32 v18, v2, v15
	v_xor_b32_e32 v3, 8, v14
	v_cmp_lt_i32_e32 vcc, v3, v17
	v_cndmask_b32_e32 v3, v14, v3, vcc
	v_lshlrev_b32_e32 v3, 2, v3
	s_waitcnt lgkmcnt(1)
	v_add_f32_e32 v16, v5, v16
	s_waitcnt lgkmcnt(0)
	v_add_f32_e32 v15, v15, v18
	;; [unrolled: 10-line block ×3, first 2 shown]
	ds_bpermute_b32 v20, v4, v16
	ds_bpermute_b32 v18, v4, v15
	v_xor_b32_e32 v19, 2, v14
	v_cmp_lt_i32_e32 vcc, v19, v17
	v_cndmask_b32_e32 v19, v14, v19, vcc
	v_lshlrev_b32_e32 v5, 2, v19
	v_xor_b32_e32 v19, 1, v14
	v_cmp_lt_i32_e32 vcc, v19, v17
	s_waitcnt lgkmcnt(1)
	v_add_f32_e32 v17, v16, v20
	s_waitcnt lgkmcnt(0)
	v_add_f32_e32 v15, v15, v18
	v_cndmask_b32_e32 v14, v14, v19, vcc
	ds_bpermute_b32 v19, v5, v17
	ds_bpermute_b32 v18, v5, v15
	s_load_dwordx2 s[4:5], s[4:5], 0x38
	s_mul_i32 s3, s14, s7
	v_lshlrev_b32_e32 v16, 2, v14
	s_waitcnt lgkmcnt(0)
	v_add_f32_e32 v14, v17, v19
	v_add_f32_e32 v15, v15, v18
	s_mul_i32 s0, s18, s8
	s_add_i32 s3, s3, s6
	ds_bpermute_b32 v17, v16, v14
	ds_bpermute_b32 v18, v16, v15
	s_add_i32 s0, s3, s0
	s_lshl_b64 s[0:1], s[0:1], 2
	s_add_u32 s4, s4, s0
	v_add_u32_e32 v19, s6, v0
	s_addc_u32 s5, s5, s1
	v_cmp_gt_u32_e32 vcc, 2, v0
	v_cmp_gt_u32_e64 s[0:1], s2, v19
	s_and_b64 s[0:1], vcc, s[0:1]
	s_waitcnt lgkmcnt(1)
	v_add_f32_e32 v14, v14, v17
	s_waitcnt lgkmcnt(0)
	v_add_f32_e32 v15, v15, v18
	s_and_saveexec_b64 s[6:7], s[0:1]
	s_cbranch_execz .LBB152_7
; %bb.6:
	v_cmp_eq_u32_e32 vcc, 1, v0
	v_cndmask_b32_e32 v17, v14, v15, vcc
	v_cmp_eq_u32_e32 vcc, 2, v0
	v_cndmask_b32_e32 v17, v17, v13, vcc
	;; [unrolled: 2-line block ×9, first 2 shown]
	v_lshlrev_b32_e32 v18, 2, v0
	global_store_dword v18, v17, s[4:5]
.LBB152_7:
	s_or_b64 exec, exec, s[6:7]
	ds_bpermute_b32 v17, v1, v13
	ds_bpermute_b32 v18, v1, v12
	s_waitcnt lgkmcnt(1)
	v_add_f32_e32 v13, v13, v17
	s_waitcnt lgkmcnt(0)
	v_add_f32_e32 v12, v12, v18
	ds_bpermute_b32 v17, v2, v13
	ds_bpermute_b32 v18, v2, v12
	s_waitcnt lgkmcnt(1)
	v_add_f32_e32 v13, v13, v17
	s_waitcnt lgkmcnt(0)
	v_add_f32_e32 v12, v12, v18
	;; [unrolled: 6-line block ×6, first 2 shown]
	s_and_saveexec_b64 s[6:7], s[0:1]
	s_cbranch_execz .LBB152_9
; %bb.8:
	v_add_u32_e32 v17, 2, v0
	v_cmp_eq_u32_e32 vcc, 1, v17
	v_cndmask_b32_e32 v18, v14, v15, vcc
	v_cmp_eq_u32_e32 vcc, 2, v17
	v_cndmask_b32_e32 v18, v18, v13, vcc
	;; [unrolled: 2-line block ×9, first 2 shown]
	v_add_u32_e32 v17, s2, v0
	v_mov_b32_e32 v18, 0
	v_lshlrev_b64 v[17:18], 2, v[17:18]
	v_mov_b32_e32 v20, s5
	v_add_co_u32_e32 v17, vcc, s4, v17
	v_addc_co_u32_e32 v18, vcc, v20, v18, vcc
	global_store_dword v[17:18], v19, off
.LBB152_9:
	s_or_b64 exec, exec, s[6:7]
	ds_bpermute_b32 v17, v1, v11
	ds_bpermute_b32 v18, v1, v10
	s_waitcnt lgkmcnt(1)
	v_add_f32_e32 v11, v11, v17
	s_waitcnt lgkmcnt(0)
	v_add_f32_e32 v10, v10, v18
	ds_bpermute_b32 v17, v2, v11
	ds_bpermute_b32 v18, v2, v10
	s_waitcnt lgkmcnt(1)
	v_add_f32_e32 v11, v11, v17
	s_waitcnt lgkmcnt(0)
	v_add_f32_e32 v10, v10, v18
	;; [unrolled: 6-line block ×6, first 2 shown]
	s_and_saveexec_b64 s[6:7], s[0:1]
	s_cbranch_execz .LBB152_11
; %bb.10:
	v_add_u32_e32 v17, 4, v0
	v_cmp_eq_u32_e32 vcc, 1, v17
	v_cndmask_b32_e32 v18, v14, v15, vcc
	v_cmp_eq_u32_e32 vcc, 2, v17
	v_cndmask_b32_e32 v18, v18, v13, vcc
	;; [unrolled: 2-line block ×9, first 2 shown]
	v_lshl_or_b32 v17, s2, 1, v0
	v_mov_b32_e32 v18, 0
	v_lshlrev_b64 v[17:18], 2, v[17:18]
	v_mov_b32_e32 v20, s5
	v_add_co_u32_e32 v17, vcc, s4, v17
	v_addc_co_u32_e32 v18, vcc, v20, v18, vcc
	global_store_dword v[17:18], v19, off
.LBB152_11:
	s_or_b64 exec, exec, s[6:7]
	ds_bpermute_b32 v17, v1, v9
	ds_bpermute_b32 v18, v1, v8
	s_waitcnt lgkmcnt(1)
	v_add_f32_e32 v9, v9, v17
	s_waitcnt lgkmcnt(0)
	v_add_f32_e32 v8, v8, v18
	ds_bpermute_b32 v17, v2, v9
	ds_bpermute_b32 v18, v2, v8
	s_waitcnt lgkmcnt(1)
	v_add_f32_e32 v9, v9, v17
	s_waitcnt lgkmcnt(0)
	v_add_f32_e32 v8, v8, v18
	;; [unrolled: 6-line block ×6, first 2 shown]
	s_and_saveexec_b64 s[6:7], s[0:1]
	s_cbranch_execz .LBB152_13
; %bb.12:
	v_add_u32_e32 v19, 6, v0
	v_cmp_eq_u32_e32 vcc, 1, v19
	v_cndmask_b32_e32 v17, v14, v15, vcc
	v_cmp_eq_u32_e32 vcc, 2, v19
	v_cndmask_b32_e32 v17, v17, v13, vcc
	;; [unrolled: 2-line block ×8, first 2 shown]
	v_mad_u64_u32 v[17:18], s[8:9], s2, 3, v[0:1]
	v_mov_b32_e32 v18, 0
	v_cmp_eq_u32_e32 vcc, 9, v19
	v_lshlrev_b64 v[17:18], 2, v[17:18]
	v_cndmask_b32_e32 v19, v20, v6, vcc
	v_mov_b32_e32 v20, s5
	v_add_co_u32_e32 v17, vcc, s4, v17
	v_addc_co_u32_e32 v18, vcc, v20, v18, vcc
	global_store_dword v[17:18], v19, off
.LBB152_13:
	s_or_b64 exec, exec, s[6:7]
	ds_bpermute_b32 v17, v1, v7
	ds_bpermute_b32 v1, v1, v6
	s_waitcnt lgkmcnt(1)
	v_add_f32_e32 v7, v7, v17
	s_waitcnt lgkmcnt(0)
	v_add_f32_e32 v1, v6, v1
	ds_bpermute_b32 v6, v2, v7
	ds_bpermute_b32 v2, v2, v1
	s_waitcnt lgkmcnt(1)
	v_add_f32_e32 v6, v7, v6
	s_waitcnt lgkmcnt(0)
	v_add_f32_e32 v1, v1, v2
	;; [unrolled: 6-line block ×5, first 2 shown]
	ds_bpermute_b32 v3, v16, v1
	ds_bpermute_b32 v4, v16, v2
	s_and_b64 exec, exec, s[0:1]
	s_cbranch_execz .LBB152_15
; %bb.14:
	s_waitcnt lgkmcnt(1)
	v_add_f32_e32 v1, v1, v3
	v_add_u32_e32 v3, 8, v0
	v_cmp_eq_u32_e32 vcc, 1, v3
	s_waitcnt lgkmcnt(0)
	v_add_f32_e32 v2, v2, v4
	v_cndmask_b32_e32 v4, v14, v15, vcc
	v_cmp_eq_u32_e32 vcc, 2, v3
	v_cndmask_b32_e32 v4, v4, v13, vcc
	v_cmp_eq_u32_e32 vcc, 3, v3
	;; [unrolled: 2-line block ×8, first 2 shown]
	v_cndmask_b32_e32 v2, v1, v2, vcc
	v_lshl_or_b32 v0, s2, 2, v0
	v_mov_b32_e32 v1, 0
	v_lshlrev_b64 v[0:1], 2, v[0:1]
	v_mov_b32_e32 v3, s5
	v_add_co_u32_e32 v0, vcc, s4, v0
	v_addc_co_u32_e32 v1, vcc, v3, v1, vcc
	global_store_dword v[0:1], v2, off
.LBB152_15:
	s_endpgm
	.section	.rodata,"a",@progbits
	.p2align	6, 0x0
	.amdhsa_kernel _ZL13mul_mat_vec_qIL9ggml_type14ELi5ELb0ELb0EEvPKvS2_PKi31ggml_cuda_mm_fusion_args_devicePfj15HIP_vector_typeIjLj3EEjjjS8_jjjS8_jjjj
		.amdhsa_group_segment_fixed_size 0
		.amdhsa_private_segment_fixed_size 0
		.amdhsa_kernarg_size 144
		.amdhsa_user_sgpr_count 6
		.amdhsa_user_sgpr_private_segment_buffer 1
		.amdhsa_user_sgpr_dispatch_ptr 0
		.amdhsa_user_sgpr_queue_ptr 0
		.amdhsa_user_sgpr_kernarg_segment_ptr 1
		.amdhsa_user_sgpr_dispatch_id 0
		.amdhsa_user_sgpr_flat_scratch_init 0
		.amdhsa_user_sgpr_private_segment_size 0
		.amdhsa_uses_dynamic_stack 0
		.amdhsa_system_sgpr_private_segment_wavefront_offset 0
		.amdhsa_system_sgpr_workgroup_id_x 1
		.amdhsa_system_sgpr_workgroup_id_y 1
		.amdhsa_system_sgpr_workgroup_id_z 1
		.amdhsa_system_sgpr_workgroup_info 0
		.amdhsa_system_vgpr_workitem_id 1
		.amdhsa_next_free_vgpr 43
		.amdhsa_next_free_sgpr 28
		.amdhsa_reserve_vcc 1
		.amdhsa_reserve_flat_scratch 0
		.amdhsa_float_round_mode_32 0
		.amdhsa_float_round_mode_16_64 0
		.amdhsa_float_denorm_mode_32 3
		.amdhsa_float_denorm_mode_16_64 3
		.amdhsa_dx10_clamp 1
		.amdhsa_ieee_mode 1
		.amdhsa_fp16_overflow 0
		.amdhsa_exception_fp_ieee_invalid_op 0
		.amdhsa_exception_fp_denorm_src 0
		.amdhsa_exception_fp_ieee_div_zero 0
		.amdhsa_exception_fp_ieee_overflow 0
		.amdhsa_exception_fp_ieee_underflow 0
		.amdhsa_exception_fp_ieee_inexact 0
		.amdhsa_exception_int_div_zero 0
	.end_amdhsa_kernel
	.section	.text._ZL13mul_mat_vec_qIL9ggml_type14ELi5ELb0ELb0EEvPKvS2_PKi31ggml_cuda_mm_fusion_args_devicePfj15HIP_vector_typeIjLj3EEjjjS8_jjjS8_jjjj,"axG",@progbits,_ZL13mul_mat_vec_qIL9ggml_type14ELi5ELb0ELb0EEvPKvS2_PKi31ggml_cuda_mm_fusion_args_devicePfj15HIP_vector_typeIjLj3EEjjjS8_jjjS8_jjjj,comdat
.Lfunc_end152:
	.size	_ZL13mul_mat_vec_qIL9ggml_type14ELi5ELb0ELb0EEvPKvS2_PKi31ggml_cuda_mm_fusion_args_devicePfj15HIP_vector_typeIjLj3EEjjjS8_jjjS8_jjjj, .Lfunc_end152-_ZL13mul_mat_vec_qIL9ggml_type14ELi5ELb0ELb0EEvPKvS2_PKi31ggml_cuda_mm_fusion_args_devicePfj15HIP_vector_typeIjLj3EEjjjS8_jjjS8_jjjj
                                        ; -- End function
	.set _ZL13mul_mat_vec_qIL9ggml_type14ELi5ELb0ELb0EEvPKvS2_PKi31ggml_cuda_mm_fusion_args_devicePfj15HIP_vector_typeIjLj3EEjjjS8_jjjS8_jjjj.num_vgpr, 43
	.set _ZL13mul_mat_vec_qIL9ggml_type14ELi5ELb0ELb0EEvPKvS2_PKi31ggml_cuda_mm_fusion_args_devicePfj15HIP_vector_typeIjLj3EEjjjS8_jjjS8_jjjj.num_agpr, 0
	.set _ZL13mul_mat_vec_qIL9ggml_type14ELi5ELb0ELb0EEvPKvS2_PKi31ggml_cuda_mm_fusion_args_devicePfj15HIP_vector_typeIjLj3EEjjjS8_jjjS8_jjjj.numbered_sgpr, 28
	.set _ZL13mul_mat_vec_qIL9ggml_type14ELi5ELb0ELb0EEvPKvS2_PKi31ggml_cuda_mm_fusion_args_devicePfj15HIP_vector_typeIjLj3EEjjjS8_jjjS8_jjjj.num_named_barrier, 0
	.set _ZL13mul_mat_vec_qIL9ggml_type14ELi5ELb0ELb0EEvPKvS2_PKi31ggml_cuda_mm_fusion_args_devicePfj15HIP_vector_typeIjLj3EEjjjS8_jjjS8_jjjj.private_seg_size, 0
	.set _ZL13mul_mat_vec_qIL9ggml_type14ELi5ELb0ELb0EEvPKvS2_PKi31ggml_cuda_mm_fusion_args_devicePfj15HIP_vector_typeIjLj3EEjjjS8_jjjS8_jjjj.uses_vcc, 1
	.set _ZL13mul_mat_vec_qIL9ggml_type14ELi5ELb0ELb0EEvPKvS2_PKi31ggml_cuda_mm_fusion_args_devicePfj15HIP_vector_typeIjLj3EEjjjS8_jjjS8_jjjj.uses_flat_scratch, 0
	.set _ZL13mul_mat_vec_qIL9ggml_type14ELi5ELb0ELb0EEvPKvS2_PKi31ggml_cuda_mm_fusion_args_devicePfj15HIP_vector_typeIjLj3EEjjjS8_jjjS8_jjjj.has_dyn_sized_stack, 0
	.set _ZL13mul_mat_vec_qIL9ggml_type14ELi5ELb0ELb0EEvPKvS2_PKi31ggml_cuda_mm_fusion_args_devicePfj15HIP_vector_typeIjLj3EEjjjS8_jjjS8_jjjj.has_recursion, 0
	.set _ZL13mul_mat_vec_qIL9ggml_type14ELi5ELb0ELb0EEvPKvS2_PKi31ggml_cuda_mm_fusion_args_devicePfj15HIP_vector_typeIjLj3EEjjjS8_jjjS8_jjjj.has_indirect_call, 0
	.section	.AMDGPU.csdata,"",@progbits
; Kernel info:
; codeLenInByte = 3776
; TotalNumSgprs: 32
; NumVgprs: 43
; ScratchSize: 0
; MemoryBound: 0
; FloatMode: 240
; IeeeMode: 1
; LDSByteSize: 0 bytes/workgroup (compile time only)
; SGPRBlocks: 3
; VGPRBlocks: 10
; NumSGPRsForWavesPerEU: 32
; NumVGPRsForWavesPerEU: 43
; Occupancy: 5
; WaveLimiterHint : 0
; COMPUTE_PGM_RSRC2:SCRATCH_EN: 0
; COMPUTE_PGM_RSRC2:USER_SGPR: 6
; COMPUTE_PGM_RSRC2:TRAP_HANDLER: 0
; COMPUTE_PGM_RSRC2:TGID_X_EN: 1
; COMPUTE_PGM_RSRC2:TGID_Y_EN: 1
; COMPUTE_PGM_RSRC2:TGID_Z_EN: 1
; COMPUTE_PGM_RSRC2:TIDIG_COMP_CNT: 1
	.section	.text._ZL13mul_mat_vec_qIL9ggml_type14ELi6ELb0ELb0EEvPKvS2_PKi31ggml_cuda_mm_fusion_args_devicePfj15HIP_vector_typeIjLj3EEjjjS8_jjjS8_jjjj,"axG",@progbits,_ZL13mul_mat_vec_qIL9ggml_type14ELi6ELb0ELb0EEvPKvS2_PKi31ggml_cuda_mm_fusion_args_devicePfj15HIP_vector_typeIjLj3EEjjjS8_jjjS8_jjjj,comdat
	.globl	_ZL13mul_mat_vec_qIL9ggml_type14ELi6ELb0ELb0EEvPKvS2_PKi31ggml_cuda_mm_fusion_args_devicePfj15HIP_vector_typeIjLj3EEjjjS8_jjjS8_jjjj ; -- Begin function _ZL13mul_mat_vec_qIL9ggml_type14ELi6ELb0ELb0EEvPKvS2_PKi31ggml_cuda_mm_fusion_args_devicePfj15HIP_vector_typeIjLj3EEjjjS8_jjjS8_jjjj
	.p2align	8
	.type	_ZL13mul_mat_vec_qIL9ggml_type14ELi6ELb0ELb0EEvPKvS2_PKi31ggml_cuda_mm_fusion_args_devicePfj15HIP_vector_typeIjLj3EEjjjS8_jjjS8_jjjj,@function
_ZL13mul_mat_vec_qIL9ggml_type14ELi6ELb0ELb0EEvPKvS2_PKi31ggml_cuda_mm_fusion_args_devicePfj15HIP_vector_typeIjLj3EEjjjS8_jjjS8_jjjj: ; @_ZL13mul_mat_vec_qIL9ggml_type14ELi6ELb0ELb0EEvPKvS2_PKi31ggml_cuda_mm_fusion_args_devicePfj15HIP_vector_typeIjLj3EEjjjS8_jjjS8_jjjj
; %bb.0:
	s_load_dword s9, s[4:5], 0x40
	s_load_dwordx4 s[0:3], s[4:5], 0x50
	s_load_dword s25, s[4:5], 0x60
	s_load_dwordx4 s[12:15], s[4:5], 0x68
	;; [unrolled: 2-line block ×3, first 2 shown]
	v_lshl_or_b32 v2, v1, 6, v0
	s_waitcnt lgkmcnt(0)
	s_lshr_b32 s9, s9, 8
	v_lshrrev_b32_e32 v16, 5, v2
	v_mov_b32_e32 v6, 0
	s_lshl_b32 s6, s6, 1
	v_cmp_gt_u32_e32 vcc, s9, v16
	v_mov_b32_e32 v7, v6
	v_mov_b32_e32 v8, v6
	;; [unrolled: 1-line block ×11, first 2 shown]
	s_and_saveexec_b64 s[10:11], vcc
	s_cbranch_execz .LBB153_4
; %bb.1:
	s_mul_hi_u32 s3, s3, s7
	s_add_i32 s3, s7, s3
	s_load_dwordx4 s[20:23], s[4:5], 0x0
	s_lshr_b32 s3, s3, s25
	s_mul_i32 s3, s3, s12
	s_mul_hi_u32 s12, s15, s8
	s_add_i32 s12, s8, s12
	s_lshr_b32 s12, s12, s24
	s_mul_i32 s19, s17, s8
	s_mul_i32 s15, s12, s16
	;; [unrolled: 1-line block ×3, first 2 shown]
	s_mul_hi_u32 s12, s19, 36
	s_waitcnt lgkmcnt(0)
	s_add_u32 s16, s22, s16
	s_addc_u32 s17, s23, s12
	s_mul_i32 s12, s13, s7
	s_mul_hi_u32 s13, s12, 36
	s_mul_i32 s12, s12, 36
	v_bfe_u32 v3, v0, 4, 1
	v_and_b32_e32 v4, 15, v0
	s_add_u32 s16, s16, s12
	v_and_b32_e32 v2, 31, v0
	v_lshrrev_b16_e32 v5, 3, v4
	v_lshlrev_b32_e32 v9, 3, v3
	v_and_b32_e32 v10, 7, v0
	s_addc_u32 s17, s17, s13
	v_lshl_or_b32 v7, v3, 2, v5
	v_lshlrev_b32_e32 v8, 1, v2
	v_or_b32_e32 v2, v9, v10
	v_lshrrev_b16_e32 v4, 2, v4
	v_lshlrev_b32_e32 v11, 1, v2
	v_mad_u64_u32 v[2:3], s[16:17], v7, 36, s[16:17]
	v_lshlrev_b32_e32 v19, 1, v5
	v_or_b32_e32 v20, v9, v4
	v_mov_b32_e32 v4, s12
	s_movk_i32 s16, 0x120
	v_mov_b32_e32 v5, s13
	v_mad_u64_u32 v[4:5], s[12:13], v16, s16, v[4:5]
	s_add_i32 s16, s6, 1
	s_add_i32 s15, s15, s3
	v_mad_u64_u32 v[4:5], s[12:13], s19, 36, v[4:5]
	v_mov_b32_e32 v6, 0
	s_mul_i32 s3, s6, s0
	v_mad_u64_u32 v[4:5], s[12:13], v7, 36, v[4:5]
	s_mul_i32 s0, s0, s16
	v_mov_b32_e32 v7, s23
	v_add_co_u32_e32 v4, vcc, s22, v4
	s_add_i32 s3, s15, s3
	s_add_i32 s0, s15, s0
	v_lshlrev_b32_e32 v21, 2, v10
	v_addc_co_u32_e32 v5, vcc, v7, v5, vcc
	s_lshl_b32 s15, s1, 1
	v_lshlrev_b32_e32 v22, 3, v16
	s_mul_i32 s16, s1, 3
	s_lshl_b32 s17, s1, 2
	s_mul_i32 s19, s1, 5
	s_mov_b64 s[12:13], 0
	s_movk_i32 s22, 0xd2
	v_lshlrev_b32_e32 v23, 1, v8
	v_lshlrev_b32_e32 v24, 1, v11
	s_mov_b32 s23, 0x30303030
	s_movk_i32 s24, 0x3f00
	s_movk_i32 s25, 0xe000
	v_lshlrev_b32_e32 v25, 2, v10
	v_mov_b32_e32 v26, 8
	v_mov_b32_e32 v7, v6
	v_mov_b32_e32 v8, v6
	v_mov_b32_e32 v9, v6
	v_mov_b32_e32 v10, v6
	v_mov_b32_e32 v11, v6
	v_mov_b32_e32 v12, v6
	v_mov_b32_e32 v13, v6
	v_mov_b32_e32 v14, v6
	v_mov_b32_e32 v15, v6
	v_mov_b32_e32 v17, v6
	v_mov_b32_e32 v18, v6
.LBB153_2:                              ; =>This Inner Loop Header: Depth=1
	v_mov_b32_e32 v33, s21
	v_add_u32_e32 v29, s3, v16
	v_mov_b32_e32 v32, s20
	v_mad_i64_i32 v[29:30], s[26:27], v29, s22, v[32:33]
	v_add_co_u32_e32 v27, vcc, v4, v21
	v_addc_co_u32_e32 v28, vcc, 0, v5, vcc
	global_load_dword v36, v[27:28], off offset:4
	global_load_dword v41, v[4:5], off
	global_load_dword v38, v[27:28], off offset:76
	global_load_dword v37, v[4:5], off offset:72
	v_add_co_u32_e32 v27, vcc, v29, v23
	v_addc_co_u32_e32 v28, vcc, 0, v30, vcc
	global_load_dword v31, v[27:28], off
	v_add_co_u32_e32 v27, vcc, v29, v24
	v_addc_co_u32_e32 v28, vcc, 0, v30, vcc
	global_load_dword v27, v[27:28], off offset:128
	v_add_co_u32_e32 v34, vcc, v29, v20
	v_addc_co_u32_e32 v35, vcc, 0, v30, vcc
	s_waitcnt vmcnt(0)
	v_ashrrev_i32_e32 v39, v19, v27
	global_load_ushort v27, v[29:30], off offset:208
	global_load_sbyte v28, v[34:35], off offset:192
	v_and_b32_e32 v29, 0xf0f0f0f, v31
	v_lshlrev_b32_e32 v30, 4, v39
	v_and_or_b32 v29, v30, s23, v29
	v_lshlrev_b16_e32 v40, 8, v29
	v_and_b32_e32 v30, 0x3f00, v29
	v_add_u16_e32 v40, 0xe000, v40
	v_or_b32_sdwa v30, v30, v40 dst_sel:DWORD dst_unused:UNUSED_PAD src0_sel:DWORD src1_sel:BYTE_1
	v_and_b32_sdwa v40, v29, s24 dst_sel:DWORD dst_unused:UNUSED_PAD src0_sel:WORD_1 src1_sel:DWORD
	v_lshlrev_b16_sdwa v29, v26, v29 dst_sel:DWORD dst_unused:UNUSED_PAD src0_sel:DWORD src1_sel:WORD_1
	v_add_u16_e32 v29, 0xe000, v29
	v_or_b32_sdwa v29, v40, v29 dst_sel:DWORD dst_unused:UNUSED_PAD src0_sel:DWORD src1_sel:BYTE_1
	v_add_u16_e32 v30, 0xe000, v30
	v_add_u16_sdwa v29, v29, s25 dst_sel:WORD_1 dst_unused:UNUSED_PAD src0_sel:DWORD src1_sel:DWORD
	v_or_b32_e32 v29, v30, v29
	v_dot4_i32_i8 v30, v29, v36, 0
	v_lshrrev_b32_e32 v31, 4, v31
	v_and_b32_e32 v31, 0xf0f0f0f, v31
	v_and_or_b32 v31, v39, s23, v31
	s_waitcnt vmcnt(0)
	v_mul_lo_u32 v30, v30, v28
	v_cvt_f32_i32_e32 v30, v30
	v_fma_mix_f32 v40, v41, v30, 0 op_sel_hi:[1,0,0]
	global_load_sbyte v30, v[34:35], off offset:196
	v_lshlrev_b16_e32 v35, 8, v31
	v_and_b32_e32 v34, 0x3f00, v31
	v_add_u16_e32 v35, 0xe000, v35
	v_or_b32_sdwa v34, v34, v35 dst_sel:DWORD dst_unused:UNUSED_PAD src0_sel:DWORD src1_sel:BYTE_1
	v_and_b32_sdwa v35, v31, s24 dst_sel:DWORD dst_unused:UNUSED_PAD src0_sel:WORD_1 src1_sel:DWORD
	v_lshlrev_b16_sdwa v31, v26, v31 dst_sel:DWORD dst_unused:UNUSED_PAD src0_sel:DWORD src1_sel:WORD_1
	v_add_u16_e32 v31, 0xe000, v31
	v_or_b32_sdwa v31, v35, v31 dst_sel:DWORD dst_unused:UNUSED_PAD src0_sel:DWORD src1_sel:BYTE_1
	v_add_u16_e32 v34, 0xe000, v34
	v_add_u16_sdwa v31, v31, s25 dst_sel:WORD_1 dst_unused:UNUSED_PAD src0_sel:DWORD src1_sel:DWORD
	v_or_b32_e32 v31, v34, v31
	v_dot4_i32_i8 v34, v31, v38, 0
	s_waitcnt vmcnt(0)
	v_mul_lo_u32 v34, v34, v30
	v_cvt_f32_i32_e32 v34, v34
	v_fma_mix_f32 v34, v37, v34, v40 op_sel_hi:[1,0,0]
	v_fma_mix_f32 v18, v34, v27, v18 op_sel_hi:[0,1,0]
	v_add_u32_e32 v34, s0, v16
	v_mad_i64_i32 v[34:35], s[26:27], v34, s22, v[32:33]
	v_add_u32_e32 v16, 2, v16
	v_add_co_u32_e32 v32, vcc, v34, v23
	v_addc_co_u32_e32 v33, vcc, 0, v35, vcc
	global_load_dword v42, v[32:33], off
	v_add_co_u32_e32 v32, vcc, v34, v24
	v_addc_co_u32_e32 v33, vcc, 0, v35, vcc
	global_load_dword v32, v[32:33], off offset:128
	v_add_co_u32_e32 v39, vcc, v34, v20
	v_addc_co_u32_e32 v40, vcc, 0, v35, vcc
	s_waitcnt vmcnt(0)
	v_ashrrev_i32_e32 v43, v19, v32
	global_load_ushort v32, v[34:35], off offset:208
	global_load_sbyte v33, v[39:40], off offset:192
	v_and_b32_e32 v34, 0xf0f0f0f, v42
	v_lshlrev_b32_e32 v35, 4, v43
	v_and_or_b32 v34, v35, s23, v34
	v_lshlrev_b16_e32 v44, 8, v34
	v_and_b32_e32 v35, 0x3f00, v34
	v_add_u16_e32 v44, 0xe000, v44
	v_or_b32_sdwa v35, v35, v44 dst_sel:DWORD dst_unused:UNUSED_PAD src0_sel:DWORD src1_sel:BYTE_1
	v_and_b32_sdwa v44, v34, s24 dst_sel:DWORD dst_unused:UNUSED_PAD src0_sel:WORD_1 src1_sel:DWORD
	v_lshlrev_b16_sdwa v34, v26, v34 dst_sel:DWORD dst_unused:UNUSED_PAD src0_sel:DWORD src1_sel:WORD_1
	v_add_u16_e32 v34, 0xe000, v34
	v_or_b32_sdwa v34, v44, v34 dst_sel:DWORD dst_unused:UNUSED_PAD src0_sel:DWORD src1_sel:BYTE_1
	v_add_u16_e32 v35, 0xe000, v35
	v_add_u16_sdwa v34, v34, s25 dst_sel:WORD_1 dst_unused:UNUSED_PAD src0_sel:DWORD src1_sel:DWORD
	v_or_b32_e32 v34, v35, v34
	v_dot4_i32_i8 v35, v34, v36, 0
	v_lshrrev_b32_e32 v36, 4, v42
	v_and_b32_e32 v36, 0xf0f0f0f, v36
	v_and_or_b32 v36, v43, s23, v36
	s_waitcnt vmcnt(0)
	v_mul_lo_u32 v35, v35, v33
	v_cvt_f32_i32_e32 v35, v35
	v_fma_mix_f32 v41, v41, v35, 0 op_sel_hi:[1,0,0]
	global_load_sbyte v35, v[39:40], off offset:196
	v_lshlrev_b16_e32 v40, 8, v36
	v_and_b32_e32 v39, 0x3f00, v36
	v_add_u16_e32 v40, 0xe000, v40
	v_or_b32_sdwa v39, v39, v40 dst_sel:DWORD dst_unused:UNUSED_PAD src0_sel:DWORD src1_sel:BYTE_1
	v_and_b32_sdwa v40, v36, s24 dst_sel:DWORD dst_unused:UNUSED_PAD src0_sel:WORD_1 src1_sel:DWORD
	v_lshlrev_b16_sdwa v36, v26, v36 dst_sel:DWORD dst_unused:UNUSED_PAD src0_sel:DWORD src1_sel:WORD_1
	v_add_u16_e32 v36, 0xe000, v36
	v_or_b32_sdwa v36, v40, v36 dst_sel:DWORD dst_unused:UNUSED_PAD src0_sel:DWORD src1_sel:BYTE_1
	v_add_u16_e32 v39, 0xe000, v39
	v_add_u16_sdwa v36, v36, s25 dst_sel:WORD_1 dst_unused:UNUSED_PAD src0_sel:DWORD src1_sel:DWORD
	v_or_b32_e32 v36, v39, v36
	v_dot4_i32_i8 v38, v36, v38, 0
	s_waitcnt vmcnt(0)
	v_mul_lo_u32 v38, v38, v35
	v_cvt_f32_i32_e32 v38, v38
	v_fma_mix_f32 v37, v37, v38, v41 op_sel_hi:[1,0,0]
	v_fma_mix_f32 v17, v37, v32, v17 op_sel_hi:[0,1,0]
	v_add_u32_e32 v37, s1, v22
	v_mad_u64_u32 v[37:38], s[26:27], v37, 36, v[2:3]
	v_add_co_u32_e32 v39, vcc, v37, v25
	v_addc_co_u32_e32 v40, vcc, 0, v38, vcc
	global_load_dword v41, v[39:40], off offset:4
	global_load_dword v42, v[37:38], off
	global_load_dword v43, v[39:40], off offset:76
	global_load_dword v44, v[37:38], off offset:72
	s_waitcnt vmcnt(3)
	v_dot4_i32_i8 v37, v29, v41, 0
	v_mul_lo_u32 v37, v37, v28
	s_waitcnt vmcnt(1)
	v_dot4_i32_i8 v38, v31, v43, 0
	v_mul_lo_u32 v38, v38, v30
	v_cvt_f32_i32_e32 v37, v37
	v_cvt_f32_i32_e32 v38, v38
	v_fma_mix_f32 v37, v42, v37, 0 op_sel_hi:[1,0,0]
	s_waitcnt vmcnt(0)
	v_fma_mix_f32 v37, v44, v38, v37 op_sel_hi:[1,0,0]
	v_fma_mix_f32 v15, v37, v27, v15 op_sel_hi:[0,1,0]
	v_dot4_i32_i8 v37, v34, v41, 0
	v_mul_lo_u32 v37, v37, v33
	v_dot4_i32_i8 v38, v36, v43, 0
	v_mul_lo_u32 v38, v38, v35
	v_cvt_f32_i32_e32 v37, v37
	v_cvt_f32_i32_e32 v38, v38
	v_fma_mix_f32 v37, v42, v37, 0 op_sel_hi:[1,0,0]
	v_fma_mix_f32 v37, v44, v38, v37 op_sel_hi:[1,0,0]
	v_fma_mix_f32 v14, v37, v32, v14 op_sel_hi:[0,1,0]
	v_add_u32_e32 v37, s15, v22
	v_mad_u64_u32 v[37:38], s[26:27], v37, 36, v[2:3]
	v_add_co_u32_e32 v39, vcc, v37, v25
	v_addc_co_u32_e32 v40, vcc, 0, v38, vcc
	global_load_dword v41, v[39:40], off offset:4
	global_load_dword v42, v[37:38], off
	global_load_dword v43, v[39:40], off offset:76
	global_load_dword v44, v[37:38], off offset:72
	s_waitcnt vmcnt(3)
	v_dot4_i32_i8 v37, v29, v41, 0
	v_mul_lo_u32 v37, v37, v28
	s_waitcnt vmcnt(1)
	v_dot4_i32_i8 v38, v31, v43, 0
	v_mul_lo_u32 v38, v38, v30
	v_cvt_f32_i32_e32 v37, v37
	v_cvt_f32_i32_e32 v38, v38
	v_fma_mix_f32 v37, v42, v37, 0 op_sel_hi:[1,0,0]
	s_waitcnt vmcnt(0)
	v_fma_mix_f32 v37, v44, v38, v37 op_sel_hi:[1,0,0]
	v_fma_mix_f32 v13, v37, v27, v13 op_sel_hi:[0,1,0]
	v_dot4_i32_i8 v37, v34, v41, 0
	v_mul_lo_u32 v37, v37, v33
	v_dot4_i32_i8 v38, v36, v43, 0
	v_mul_lo_u32 v38, v38, v35
	v_cvt_f32_i32_e32 v37, v37
	v_cvt_f32_i32_e32 v38, v38
	v_fma_mix_f32 v37, v42, v37, 0 op_sel_hi:[1,0,0]
	v_fma_mix_f32 v37, v44, v38, v37 op_sel_hi:[1,0,0]
	v_fma_mix_f32 v12, v37, v32, v12 op_sel_hi:[0,1,0]
	v_add_u32_e32 v37, s16, v22
	v_mad_u64_u32 v[37:38], s[26:27], v37, 36, v[2:3]
	v_add_co_u32_e32 v39, vcc, v37, v25
	v_addc_co_u32_e32 v40, vcc, 0, v38, vcc
	global_load_dword v41, v[39:40], off offset:4
	global_load_dword v42, v[37:38], off
	global_load_dword v43, v[39:40], off offset:76
	global_load_dword v44, v[37:38], off offset:72
	s_waitcnt vmcnt(3)
	v_dot4_i32_i8 v37, v29, v41, 0
	v_mul_lo_u32 v37, v37, v28
	s_waitcnt vmcnt(1)
	v_dot4_i32_i8 v38, v31, v43, 0
	v_mul_lo_u32 v38, v38, v30
	v_cvt_f32_i32_e32 v37, v37
	v_cvt_f32_i32_e32 v38, v38
	v_fma_mix_f32 v37, v42, v37, 0 op_sel_hi:[1,0,0]
	s_waitcnt vmcnt(0)
	v_fma_mix_f32 v37, v44, v38, v37 op_sel_hi:[1,0,0]
	v_fma_mix_f32 v11, v37, v27, v11 op_sel_hi:[0,1,0]
	v_dot4_i32_i8 v37, v34, v41, 0
	v_mul_lo_u32 v37, v37, v33
	v_dot4_i32_i8 v38, v36, v43, 0
	v_mul_lo_u32 v38, v38, v35
	v_cvt_f32_i32_e32 v37, v37
	v_cvt_f32_i32_e32 v38, v38
	v_fma_mix_f32 v37, v42, v37, 0 op_sel_hi:[1,0,0]
	v_fma_mix_f32 v37, v44, v38, v37 op_sel_hi:[1,0,0]
	v_fma_mix_f32 v10, v37, v32, v10 op_sel_hi:[0,1,0]
	v_add_u32_e32 v37, s17, v22
	v_mad_u64_u32 v[37:38], s[26:27], v37, 36, v[2:3]
	v_add_co_u32_e32 v39, vcc, v37, v25
	v_addc_co_u32_e32 v40, vcc, 0, v38, vcc
	global_load_dword v41, v[39:40], off offset:4
	global_load_dword v42, v[37:38], off
	global_load_dword v43, v[39:40], off offset:76
	global_load_dword v44, v[37:38], off offset:72
	s_waitcnt vmcnt(3)
	v_dot4_i32_i8 v37, v29, v41, 0
	v_mul_lo_u32 v37, v37, v28
	s_waitcnt vmcnt(1)
	v_dot4_i32_i8 v38, v31, v43, 0
	v_mul_lo_u32 v38, v38, v30
	v_cvt_f32_i32_e32 v37, v37
	v_cvt_f32_i32_e32 v38, v38
	v_fma_mix_f32 v37, v42, v37, 0 op_sel_hi:[1,0,0]
	s_waitcnt vmcnt(0)
	v_fma_mix_f32 v37, v44, v38, v37 op_sel_hi:[1,0,0]
	v_fma_mix_f32 v9, v37, v27, v9 op_sel_hi:[0,1,0]
	v_dot4_i32_i8 v37, v34, v41, 0
	v_mul_lo_u32 v37, v37, v33
	v_dot4_i32_i8 v38, v36, v43, 0
	v_mul_lo_u32 v38, v38, v35
	v_cvt_f32_i32_e32 v37, v37
	v_cvt_f32_i32_e32 v38, v38
	v_fma_mix_f32 v37, v42, v37, 0 op_sel_hi:[1,0,0]
	v_fma_mix_f32 v37, v44, v38, v37 op_sel_hi:[1,0,0]
	v_fma_mix_f32 v8, v37, v32, v8 op_sel_hi:[0,1,0]
	v_add_u32_e32 v37, s19, v22
	v_mad_u64_u32 v[37:38], s[26:27], v37, 36, v[2:3]
	v_add_u32_e32 v22, 16, v22
	v_add_co_u32_e32 v39, vcc, v37, v25
	v_addc_co_u32_e32 v40, vcc, 0, v38, vcc
	global_load_dword v41, v[39:40], off offset:4
	global_load_dword v42, v[37:38], off
	global_load_dword v43, v[39:40], off offset:76
	global_load_dword v44, v[37:38], off offset:72
	v_add_co_u32_e32 v4, vcc, 0x240, v4
	v_addc_co_u32_e32 v5, vcc, 0, v5, vcc
	v_cmp_le_u32_e32 vcc, s9, v16
	s_or_b64 s[12:13], vcc, s[12:13]
	s_waitcnt vmcnt(3)
	v_dot4_i32_i8 v29, v29, v41, 0
	v_mul_lo_u32 v28, v29, v28
	s_waitcnt vmcnt(1)
	v_dot4_i32_i8 v29, v31, v43, 0
	v_mul_lo_u32 v29, v29, v30
	v_cvt_f32_i32_e32 v28, v28
	v_cvt_f32_i32_e32 v29, v29
	v_fma_mix_f32 v28, v42, v28, 0 op_sel_hi:[1,0,0]
	s_waitcnt vmcnt(0)
	v_fma_mix_f32 v28, v44, v29, v28 op_sel_hi:[1,0,0]
	v_fma_mix_f32 v7, v28, v27, v7 op_sel_hi:[0,1,0]
	v_dot4_i32_i8 v27, v34, v41, 0
	v_mul_lo_u32 v27, v27, v33
	v_dot4_i32_i8 v28, v36, v43, 0
	v_mul_lo_u32 v28, v28, v35
	v_cvt_f32_i32_e32 v27, v27
	v_cvt_f32_i32_e32 v28, v28
	v_fma_mix_f32 v27, v42, v27, 0 op_sel_hi:[1,0,0]
	v_fma_mix_f32 v27, v44, v28, v27 op_sel_hi:[1,0,0]
	;; [unrolled: 1-line block ×3, first 2 shown]
	s_andn2_b64 exec, exec, s[12:13]
	s_cbranch_execnz .LBB153_2
; %bb.3:
	s_or_b64 exec, exec, s[12:13]
.LBB153_4:
	s_or_b64 exec, exec, s[10:11]
	s_mov_b32 s1, 0
	v_cmp_eq_u32_e32 vcc, 0, v1
	; wave barrier
	s_and_saveexec_b64 s[10:11], vcc
	s_cbranch_execz .LBB153_17
; %bb.5:
	v_mbcnt_lo_u32_b32 v1, -1, 0
	v_mbcnt_hi_u32_b32 v16, -1, v1
	v_and_b32_e32 v1, 64, v16
	v_add_u32_e32 v19, 64, v1
	v_xor_b32_e32 v1, 32, v16
	v_cmp_lt_i32_e32 vcc, v1, v19
	v_cndmask_b32_e32 v1, v16, v1, vcc
	v_lshlrev_b32_e32 v1, 2, v1
	ds_bpermute_b32 v5, v1, v18
	ds_bpermute_b32 v20, v1, v17
	v_xor_b32_e32 v2, 16, v16
	v_cmp_lt_i32_e32 vcc, v2, v19
	v_cndmask_b32_e32 v2, v16, v2, vcc
	v_lshlrev_b32_e32 v2, 2, v2
	s_waitcnt lgkmcnt(1)
	v_add_f32_e32 v5, v18, v5
	s_waitcnt lgkmcnt(0)
	v_add_f32_e32 v17, v17, v20
	ds_bpermute_b32 v18, v2, v5
	ds_bpermute_b32 v20, v2, v17
	v_xor_b32_e32 v3, 8, v16
	v_cmp_lt_i32_e32 vcc, v3, v19
	v_cndmask_b32_e32 v3, v16, v3, vcc
	v_lshlrev_b32_e32 v3, 2, v3
	s_waitcnt lgkmcnt(1)
	v_add_f32_e32 v18, v5, v18
	s_waitcnt lgkmcnt(0)
	v_add_f32_e32 v17, v17, v20
	;; [unrolled: 10-line block ×3, first 2 shown]
	ds_bpermute_b32 v22, v4, v18
	ds_bpermute_b32 v20, v4, v17
	v_xor_b32_e32 v21, 2, v16
	v_cmp_lt_i32_e32 vcc, v21, v19
	v_cndmask_b32_e32 v21, v16, v21, vcc
	v_lshlrev_b32_e32 v5, 2, v21
	v_xor_b32_e32 v21, 1, v16
	v_cmp_lt_i32_e32 vcc, v21, v19
	s_waitcnt lgkmcnt(1)
	v_add_f32_e32 v19, v18, v22
	s_waitcnt lgkmcnt(0)
	v_add_f32_e32 v17, v17, v20
	v_cndmask_b32_e32 v16, v16, v21, vcc
	ds_bpermute_b32 v21, v5, v19
	ds_bpermute_b32 v20, v5, v17
	s_load_dwordx2 s[4:5], s[4:5], 0x38
	s_mul_i32 s3, s14, s7
	v_lshlrev_b32_e32 v18, 2, v16
	s_waitcnt lgkmcnt(0)
	v_add_f32_e32 v16, v19, v21
	v_add_f32_e32 v17, v17, v20
	s_mul_i32 s0, s18, s8
	s_add_i32 s3, s3, s6
	ds_bpermute_b32 v19, v18, v16
	ds_bpermute_b32 v20, v18, v17
	s_add_i32 s0, s3, s0
	s_lshl_b64 s[0:1], s[0:1], 2
	s_add_u32 s4, s4, s0
	v_add_u32_e32 v21, s6, v0
	s_addc_u32 s5, s5, s1
	v_cmp_gt_u32_e32 vcc, 2, v0
	v_cmp_gt_u32_e64 s[0:1], s2, v21
	s_and_b64 s[0:1], vcc, s[0:1]
	s_waitcnt lgkmcnt(1)
	v_add_f32_e32 v16, v16, v19
	s_waitcnt lgkmcnt(0)
	v_add_f32_e32 v17, v17, v20
	s_and_saveexec_b64 s[6:7], s[0:1]
	s_cbranch_execz .LBB153_7
; %bb.6:
	v_cmp_eq_u32_e32 vcc, 1, v0
	v_cndmask_b32_e32 v19, v16, v17, vcc
	v_cmp_eq_u32_e32 vcc, 2, v0
	v_cndmask_b32_e32 v19, v19, v15, vcc
	;; [unrolled: 2-line block ×11, first 2 shown]
	v_lshlrev_b32_e32 v20, 2, v0
	global_store_dword v20, v19, s[4:5]
.LBB153_7:
	s_or_b64 exec, exec, s[6:7]
	ds_bpermute_b32 v19, v1, v15
	ds_bpermute_b32 v20, v1, v14
	s_waitcnt lgkmcnt(1)
	v_add_f32_e32 v15, v15, v19
	s_waitcnt lgkmcnt(0)
	v_add_f32_e32 v14, v14, v20
	ds_bpermute_b32 v19, v2, v15
	ds_bpermute_b32 v20, v2, v14
	s_waitcnt lgkmcnt(1)
	v_add_f32_e32 v15, v15, v19
	s_waitcnt lgkmcnt(0)
	v_add_f32_e32 v14, v14, v20
	;; [unrolled: 6-line block ×6, first 2 shown]
	s_and_saveexec_b64 s[6:7], s[0:1]
	s_cbranch_execz .LBB153_9
; %bb.8:
	v_add_u32_e32 v19, 2, v0
	v_cmp_eq_u32_e32 vcc, 1, v19
	v_cndmask_b32_e32 v20, v16, v17, vcc
	v_cmp_eq_u32_e32 vcc, 2, v19
	v_cndmask_b32_e32 v20, v20, v15, vcc
	;; [unrolled: 2-line block ×11, first 2 shown]
	v_add_u32_e32 v19, s2, v0
	v_mov_b32_e32 v20, 0
	v_lshlrev_b64 v[19:20], 2, v[19:20]
	v_mov_b32_e32 v22, s5
	v_add_co_u32_e32 v19, vcc, s4, v19
	v_addc_co_u32_e32 v20, vcc, v22, v20, vcc
	global_store_dword v[19:20], v21, off
.LBB153_9:
	s_or_b64 exec, exec, s[6:7]
	ds_bpermute_b32 v19, v1, v13
	ds_bpermute_b32 v20, v1, v12
	s_waitcnt lgkmcnt(1)
	v_add_f32_e32 v13, v13, v19
	s_waitcnt lgkmcnt(0)
	v_add_f32_e32 v12, v12, v20
	ds_bpermute_b32 v19, v2, v13
	ds_bpermute_b32 v20, v2, v12
	s_waitcnt lgkmcnt(1)
	v_add_f32_e32 v13, v13, v19
	s_waitcnt lgkmcnt(0)
	v_add_f32_e32 v12, v12, v20
	;; [unrolled: 6-line block ×6, first 2 shown]
	s_and_saveexec_b64 s[6:7], s[0:1]
	s_cbranch_execz .LBB153_11
; %bb.10:
	v_add_u32_e32 v19, 4, v0
	v_cmp_eq_u32_e32 vcc, 1, v19
	v_cndmask_b32_e32 v20, v16, v17, vcc
	v_cmp_eq_u32_e32 vcc, 2, v19
	v_cndmask_b32_e32 v20, v20, v15, vcc
	v_cmp_eq_u32_e32 vcc, 3, v19
	v_cndmask_b32_e32 v20, v20, v14, vcc
	v_cmp_eq_u32_e32 vcc, 4, v19
	v_cndmask_b32_e32 v20, v20, v13, vcc
	v_cmp_eq_u32_e32 vcc, 5, v19
	v_cndmask_b32_e32 v20, v20, v12, vcc
	v_cmp_eq_u32_e32 vcc, 6, v19
	v_cndmask_b32_e32 v20, v20, v11, vcc
	v_cmp_eq_u32_e32 vcc, 7, v19
	v_cndmask_b32_e32 v20, v20, v10, vcc
	v_cmp_eq_u32_e32 vcc, 8, v19
	v_cndmask_b32_e32 v20, v20, v9, vcc
	v_cmp_eq_u32_e32 vcc, 9, v19
	v_cndmask_b32_e32 v20, v20, v8, vcc
	v_cmp_eq_u32_e32 vcc, 10, v19
	v_cndmask_b32_e32 v20, v20, v7, vcc
	v_cmp_eq_u32_e32 vcc, 11, v19
	v_cndmask_b32_e32 v21, v20, v6, vcc
	v_lshl_or_b32 v19, s2, 1, v0
	v_mov_b32_e32 v20, 0
	v_lshlrev_b64 v[19:20], 2, v[19:20]
	v_mov_b32_e32 v22, s5
	v_add_co_u32_e32 v19, vcc, s4, v19
	v_addc_co_u32_e32 v20, vcc, v22, v20, vcc
	global_store_dword v[19:20], v21, off
.LBB153_11:
	s_or_b64 exec, exec, s[6:7]
	ds_bpermute_b32 v19, v1, v11
	ds_bpermute_b32 v20, v1, v10
	s_waitcnt lgkmcnt(1)
	v_add_f32_e32 v11, v11, v19
	s_waitcnt lgkmcnt(0)
	v_add_f32_e32 v10, v10, v20
	ds_bpermute_b32 v19, v2, v11
	ds_bpermute_b32 v20, v2, v10
	s_waitcnt lgkmcnt(1)
	v_add_f32_e32 v11, v11, v19
	s_waitcnt lgkmcnt(0)
	v_add_f32_e32 v10, v10, v20
	;; [unrolled: 6-line block ×6, first 2 shown]
	s_and_saveexec_b64 s[6:7], s[0:1]
	s_cbranch_execz .LBB153_13
; %bb.12:
	v_add_u32_e32 v21, 6, v0
	v_cmp_eq_u32_e32 vcc, 1, v21
	v_cndmask_b32_e32 v19, v16, v17, vcc
	v_cmp_eq_u32_e32 vcc, 2, v21
	v_cndmask_b32_e32 v19, v19, v15, vcc
	;; [unrolled: 2-line block ×10, first 2 shown]
	v_mad_u64_u32 v[19:20], s[8:9], s2, 3, v[0:1]
	v_mov_b32_e32 v20, 0
	v_cmp_eq_u32_e32 vcc, 11, v21
	v_lshlrev_b64 v[19:20], 2, v[19:20]
	v_cndmask_b32_e32 v21, v22, v6, vcc
	v_mov_b32_e32 v22, s5
	v_add_co_u32_e32 v19, vcc, s4, v19
	v_addc_co_u32_e32 v20, vcc, v22, v20, vcc
	global_store_dword v[19:20], v21, off
.LBB153_13:
	s_or_b64 exec, exec, s[6:7]
	ds_bpermute_b32 v19, v1, v9
	ds_bpermute_b32 v20, v1, v8
	s_waitcnt lgkmcnt(1)
	v_add_f32_e32 v9, v9, v19
	s_waitcnt lgkmcnt(0)
	v_add_f32_e32 v8, v8, v20
	ds_bpermute_b32 v19, v2, v9
	ds_bpermute_b32 v20, v2, v8
	s_waitcnt lgkmcnt(1)
	v_add_f32_e32 v9, v9, v19
	s_waitcnt lgkmcnt(0)
	v_add_f32_e32 v8, v8, v20
	ds_bpermute_b32 v19, v3, v9
	ds_bpermute_b32 v20, v3, v8
	s_waitcnt lgkmcnt(1)
	v_add_f32_e32 v9, v9, v19
	s_waitcnt lgkmcnt(0)
	v_add_f32_e32 v8, v8, v20
	ds_bpermute_b32 v19, v4, v9
	ds_bpermute_b32 v20, v4, v8
	s_waitcnt lgkmcnt(1)
	v_add_f32_e32 v9, v9, v19
	s_waitcnt lgkmcnt(0)
	v_add_f32_e32 v8, v8, v20
	ds_bpermute_b32 v19, v5, v9
	ds_bpermute_b32 v20, v5, v8
	s_waitcnt lgkmcnt(1)
	v_add_f32_e32 v9, v9, v19
	s_waitcnt lgkmcnt(0)
	v_add_f32_e32 v8, v8, v20
	ds_bpermute_b32 v19, v18, v9
	ds_bpermute_b32 v20, v18, v8
	s_waitcnt lgkmcnt(1)
	v_add_f32_e32 v9, v9, v19
	s_waitcnt lgkmcnt(0)
	v_add_f32_e32 v8, v8, v20
	s_and_saveexec_b64 s[6:7], s[0:1]
	s_cbranch_execz .LBB153_15
; %bb.14:
	v_add_u32_e32 v19, 8, v0
	v_cmp_eq_u32_e32 vcc, 1, v19
	v_cndmask_b32_e32 v20, v16, v17, vcc
	v_cmp_eq_u32_e32 vcc, 2, v19
	v_cndmask_b32_e32 v20, v20, v15, vcc
	;; [unrolled: 2-line block ×11, first 2 shown]
	v_lshl_or_b32 v19, s2, 2, v0
	v_mov_b32_e32 v20, 0
	v_lshlrev_b64 v[19:20], 2, v[19:20]
	v_mov_b32_e32 v22, s5
	v_add_co_u32_e32 v19, vcc, s4, v19
	v_addc_co_u32_e32 v20, vcc, v22, v20, vcc
	global_store_dword v[19:20], v21, off
.LBB153_15:
	s_or_b64 exec, exec, s[6:7]
	ds_bpermute_b32 v19, v1, v7
	ds_bpermute_b32 v1, v1, v6
	s_waitcnt lgkmcnt(1)
	v_add_f32_e32 v7, v7, v19
	s_waitcnt lgkmcnt(0)
	v_add_f32_e32 v1, v6, v1
	ds_bpermute_b32 v6, v2, v7
	ds_bpermute_b32 v2, v2, v1
	s_waitcnt lgkmcnt(1)
	v_add_f32_e32 v6, v7, v6
	s_waitcnt lgkmcnt(0)
	v_add_f32_e32 v1, v1, v2
	;; [unrolled: 6-line block ×5, first 2 shown]
	ds_bpermute_b32 v3, v18, v1
	ds_bpermute_b32 v4, v18, v2
	s_and_b64 exec, exec, s[0:1]
	s_cbranch_execz .LBB153_17
; %bb.16:
	s_waitcnt lgkmcnt(1)
	v_add_f32_e32 v1, v1, v3
	v_add_u32_e32 v3, 10, v0
	v_cmp_eq_u32_e32 vcc, 1, v3
	s_waitcnt lgkmcnt(0)
	v_add_f32_e32 v2, v2, v4
	v_cndmask_b32_e32 v4, v16, v17, vcc
	v_cmp_eq_u32_e32 vcc, 2, v3
	v_cndmask_b32_e32 v4, v4, v15, vcc
	v_cmp_eq_u32_e32 vcc, 3, v3
	;; [unrolled: 2-line block ×9, first 2 shown]
	v_cndmask_b32_e32 v4, v4, v1, vcc
	v_mad_u64_u32 v[0:1], s[0:1], s2, 5, v[0:1]
	v_mov_b32_e32 v1, 0
	v_cmp_eq_u32_e32 vcc, 11, v3
	v_lshlrev_b64 v[0:1], 2, v[0:1]
	v_cndmask_b32_e32 v2, v4, v2, vcc
	v_mov_b32_e32 v3, s5
	v_add_co_u32_e32 v0, vcc, s4, v0
	v_addc_co_u32_e32 v1, vcc, v3, v1, vcc
	global_store_dword v[0:1], v2, off
.LBB153_17:
	s_endpgm
	.section	.rodata,"a",@progbits
	.p2align	6, 0x0
	.amdhsa_kernel _ZL13mul_mat_vec_qIL9ggml_type14ELi6ELb0ELb0EEvPKvS2_PKi31ggml_cuda_mm_fusion_args_devicePfj15HIP_vector_typeIjLj3EEjjjS8_jjjS8_jjjj
		.amdhsa_group_segment_fixed_size 0
		.amdhsa_private_segment_fixed_size 0
		.amdhsa_kernarg_size 144
		.amdhsa_user_sgpr_count 6
		.amdhsa_user_sgpr_private_segment_buffer 1
		.amdhsa_user_sgpr_dispatch_ptr 0
		.amdhsa_user_sgpr_queue_ptr 0
		.amdhsa_user_sgpr_kernarg_segment_ptr 1
		.amdhsa_user_sgpr_dispatch_id 0
		.amdhsa_user_sgpr_flat_scratch_init 0
		.amdhsa_user_sgpr_private_segment_size 0
		.amdhsa_uses_dynamic_stack 0
		.amdhsa_system_sgpr_private_segment_wavefront_offset 0
		.amdhsa_system_sgpr_workgroup_id_x 1
		.amdhsa_system_sgpr_workgroup_id_y 1
		.amdhsa_system_sgpr_workgroup_id_z 1
		.amdhsa_system_sgpr_workgroup_info 0
		.amdhsa_system_vgpr_workitem_id 1
		.amdhsa_next_free_vgpr 45
		.amdhsa_next_free_sgpr 28
		.amdhsa_reserve_vcc 1
		.amdhsa_reserve_flat_scratch 0
		.amdhsa_float_round_mode_32 0
		.amdhsa_float_round_mode_16_64 0
		.amdhsa_float_denorm_mode_32 3
		.amdhsa_float_denorm_mode_16_64 3
		.amdhsa_dx10_clamp 1
		.amdhsa_ieee_mode 1
		.amdhsa_fp16_overflow 0
		.amdhsa_exception_fp_ieee_invalid_op 0
		.amdhsa_exception_fp_denorm_src 0
		.amdhsa_exception_fp_ieee_div_zero 0
		.amdhsa_exception_fp_ieee_overflow 0
		.amdhsa_exception_fp_ieee_underflow 0
		.amdhsa_exception_fp_ieee_inexact 0
		.amdhsa_exception_int_div_zero 0
	.end_amdhsa_kernel
	.section	.text._ZL13mul_mat_vec_qIL9ggml_type14ELi6ELb0ELb0EEvPKvS2_PKi31ggml_cuda_mm_fusion_args_devicePfj15HIP_vector_typeIjLj3EEjjjS8_jjjS8_jjjj,"axG",@progbits,_ZL13mul_mat_vec_qIL9ggml_type14ELi6ELb0ELb0EEvPKvS2_PKi31ggml_cuda_mm_fusion_args_devicePfj15HIP_vector_typeIjLj3EEjjjS8_jjjS8_jjjj,comdat
.Lfunc_end153:
	.size	_ZL13mul_mat_vec_qIL9ggml_type14ELi6ELb0ELb0EEvPKvS2_PKi31ggml_cuda_mm_fusion_args_devicePfj15HIP_vector_typeIjLj3EEjjjS8_jjjS8_jjjj, .Lfunc_end153-_ZL13mul_mat_vec_qIL9ggml_type14ELi6ELb0ELb0EEvPKvS2_PKi31ggml_cuda_mm_fusion_args_devicePfj15HIP_vector_typeIjLj3EEjjjS8_jjjS8_jjjj
                                        ; -- End function
	.set _ZL13mul_mat_vec_qIL9ggml_type14ELi6ELb0ELb0EEvPKvS2_PKi31ggml_cuda_mm_fusion_args_devicePfj15HIP_vector_typeIjLj3EEjjjS8_jjjS8_jjjj.num_vgpr, 45
	.set _ZL13mul_mat_vec_qIL9ggml_type14ELi6ELb0ELb0EEvPKvS2_PKi31ggml_cuda_mm_fusion_args_devicePfj15HIP_vector_typeIjLj3EEjjjS8_jjjS8_jjjj.num_agpr, 0
	.set _ZL13mul_mat_vec_qIL9ggml_type14ELi6ELb0ELb0EEvPKvS2_PKi31ggml_cuda_mm_fusion_args_devicePfj15HIP_vector_typeIjLj3EEjjjS8_jjjS8_jjjj.numbered_sgpr, 28
	.set _ZL13mul_mat_vec_qIL9ggml_type14ELi6ELb0ELb0EEvPKvS2_PKi31ggml_cuda_mm_fusion_args_devicePfj15HIP_vector_typeIjLj3EEjjjS8_jjjS8_jjjj.num_named_barrier, 0
	.set _ZL13mul_mat_vec_qIL9ggml_type14ELi6ELb0ELb0EEvPKvS2_PKi31ggml_cuda_mm_fusion_args_devicePfj15HIP_vector_typeIjLj3EEjjjS8_jjjS8_jjjj.private_seg_size, 0
	.set _ZL13mul_mat_vec_qIL9ggml_type14ELi6ELb0ELb0EEvPKvS2_PKi31ggml_cuda_mm_fusion_args_devicePfj15HIP_vector_typeIjLj3EEjjjS8_jjjS8_jjjj.uses_vcc, 1
	.set _ZL13mul_mat_vec_qIL9ggml_type14ELi6ELb0ELb0EEvPKvS2_PKi31ggml_cuda_mm_fusion_args_devicePfj15HIP_vector_typeIjLj3EEjjjS8_jjjS8_jjjj.uses_flat_scratch, 0
	.set _ZL13mul_mat_vec_qIL9ggml_type14ELi6ELb0ELb0EEvPKvS2_PKi31ggml_cuda_mm_fusion_args_devicePfj15HIP_vector_typeIjLj3EEjjjS8_jjjS8_jjjj.has_dyn_sized_stack, 0
	.set _ZL13mul_mat_vec_qIL9ggml_type14ELi6ELb0ELb0EEvPKvS2_PKi31ggml_cuda_mm_fusion_args_devicePfj15HIP_vector_typeIjLj3EEjjjS8_jjjS8_jjjj.has_recursion, 0
	.set _ZL13mul_mat_vec_qIL9ggml_type14ELi6ELb0ELb0EEvPKvS2_PKi31ggml_cuda_mm_fusion_args_devicePfj15HIP_vector_typeIjLj3EEjjjS8_jjjS8_jjjj.has_indirect_call, 0
	.section	.AMDGPU.csdata,"",@progbits
; Kernel info:
; codeLenInByte = 4400
; TotalNumSgprs: 32
; NumVgprs: 45
; ScratchSize: 0
; MemoryBound: 0
; FloatMode: 240
; IeeeMode: 1
; LDSByteSize: 0 bytes/workgroup (compile time only)
; SGPRBlocks: 3
; VGPRBlocks: 11
; NumSGPRsForWavesPerEU: 32
; NumVGPRsForWavesPerEU: 45
; Occupancy: 5
; WaveLimiterHint : 0
; COMPUTE_PGM_RSRC2:SCRATCH_EN: 0
; COMPUTE_PGM_RSRC2:USER_SGPR: 6
; COMPUTE_PGM_RSRC2:TRAP_HANDLER: 0
; COMPUTE_PGM_RSRC2:TGID_X_EN: 1
; COMPUTE_PGM_RSRC2:TGID_Y_EN: 1
; COMPUTE_PGM_RSRC2:TGID_Z_EN: 1
; COMPUTE_PGM_RSRC2:TIDIG_COMP_CNT: 1
	.section	.text._ZL13mul_mat_vec_qIL9ggml_type14ELi7ELb0ELb0EEvPKvS2_PKi31ggml_cuda_mm_fusion_args_devicePfj15HIP_vector_typeIjLj3EEjjjS8_jjjS8_jjjj,"axG",@progbits,_ZL13mul_mat_vec_qIL9ggml_type14ELi7ELb0ELb0EEvPKvS2_PKi31ggml_cuda_mm_fusion_args_devicePfj15HIP_vector_typeIjLj3EEjjjS8_jjjS8_jjjj,comdat
	.globl	_ZL13mul_mat_vec_qIL9ggml_type14ELi7ELb0ELb0EEvPKvS2_PKi31ggml_cuda_mm_fusion_args_devicePfj15HIP_vector_typeIjLj3EEjjjS8_jjjS8_jjjj ; -- Begin function _ZL13mul_mat_vec_qIL9ggml_type14ELi7ELb0ELb0EEvPKvS2_PKi31ggml_cuda_mm_fusion_args_devicePfj15HIP_vector_typeIjLj3EEjjjS8_jjjS8_jjjj
	.p2align	8
	.type	_ZL13mul_mat_vec_qIL9ggml_type14ELi7ELb0ELb0EEvPKvS2_PKi31ggml_cuda_mm_fusion_args_devicePfj15HIP_vector_typeIjLj3EEjjjS8_jjjS8_jjjj,@function
_ZL13mul_mat_vec_qIL9ggml_type14ELi7ELb0ELb0EEvPKvS2_PKi31ggml_cuda_mm_fusion_args_devicePfj15HIP_vector_typeIjLj3EEjjjS8_jjjS8_jjjj: ; @_ZL13mul_mat_vec_qIL9ggml_type14ELi7ELb0ELb0EEvPKvS2_PKi31ggml_cuda_mm_fusion_args_devicePfj15HIP_vector_typeIjLj3EEjjjS8_jjjS8_jjjj
; %bb.0:
	s_load_dword s9, s[4:5], 0x40
	s_load_dwordx4 s[0:3], s[4:5], 0x50
	s_load_dword s25, s[4:5], 0x60
	s_load_dwordx4 s[12:15], s[4:5], 0x68
	;; [unrolled: 2-line block ×3, first 2 shown]
	v_lshl_or_b32 v2, v1, 6, v0
	s_waitcnt lgkmcnt(0)
	s_lshr_b32 s9, s9, 8
	v_lshrrev_b32_e32 v18, 5, v2
	s_lshl_b32 s6, s6, 1
	v_cmp_gt_u32_e32 vcc, s9, v18
	v_mov_b32_e32 v6, 0
	v_mov_b32_e32 v7, 0
	;; [unrolled: 1-line block ×14, first 2 shown]
	s_and_saveexec_b64 s[10:11], vcc
	s_cbranch_execz .LBB154_4
; %bb.1:
	s_mul_hi_u32 s3, s3, s7
	s_add_i32 s3, s7, s3
	s_load_dwordx4 s[20:23], s[4:5], 0x0
	s_lshr_b32 s3, s3, s25
	s_mul_i32 s3, s3, s12
	s_mul_hi_u32 s12, s15, s8
	s_add_i32 s12, s8, s12
	s_lshr_b32 s12, s12, s24
	s_mul_i32 s19, s17, s8
	s_mul_i32 s15, s12, s16
	;; [unrolled: 1-line block ×3, first 2 shown]
	s_mul_hi_u32 s12, s19, 36
	s_waitcnt lgkmcnt(0)
	s_add_u32 s16, s22, s16
	s_addc_u32 s17, s23, s12
	s_mul_i32 s12, s13, s7
	s_mul_hi_u32 s13, s12, 36
	s_mul_i32 s12, s12, 36
	v_bfe_u32 v3, v0, 4, 1
	v_and_b32_e32 v4, 15, v0
	s_add_u32 s16, s16, s12
	v_and_b32_e32 v2, 31, v0
	v_lshrrev_b16_e32 v5, 3, v4
	v_lshlrev_b32_e32 v9, 3, v3
	v_and_b32_e32 v10, 7, v0
	s_addc_u32 s17, s17, s13
	v_lshl_or_b32 v7, v3, 2, v5
	v_lshlrev_b32_e32 v8, 1, v2
	v_or_b32_e32 v2, v9, v10
	v_lshrrev_b16_e32 v4, 2, v4
	v_lshlrev_b32_e32 v11, 1, v2
	v_mad_u64_u32 v[2:3], s[16:17], v7, 36, s[16:17]
	v_lshlrev_b32_e32 v21, 1, v5
	v_or_b32_e32 v22, v9, v4
	v_mov_b32_e32 v4, s12
	s_movk_i32 s16, 0x120
	v_mov_b32_e32 v5, s13
	v_mad_u64_u32 v[4:5], s[12:13], v18, s16, v[4:5]
	s_add_i32 s16, s6, 1
	s_add_i32 s15, s15, s3
	v_mad_u64_u32 v[4:5], s[12:13], s19, 36, v[4:5]
	s_mul_i32 s3, s6, s0
	s_mul_i32 s0, s0, s16
	v_mad_u64_u32 v[4:5], s[12:13], v7, 36, v[4:5]
	v_mov_b32_e32 v7, s23
	v_mov_b32_e32 v6, 0
	v_add_co_u32_e32 v4, vcc, s22, v4
	s_add_i32 s3, s15, s3
	s_add_i32 s0, s15, s0
	v_lshlrev_b32_e32 v23, 2, v10
	v_addc_co_u32_e32 v5, vcc, v7, v5, vcc
	s_lshl_b32 s15, s1, 1
	v_lshlrev_b32_e32 v24, 3, v18
	s_mul_i32 s16, s1, 3
	s_lshl_b32 s17, s1, 2
	s_mul_i32 s19, s1, 5
	s_mul_i32 s22, s1, 6
	s_mov_b64 s[12:13], 0
	s_movk_i32 s23, 0xd2
	v_lshlrev_b32_e32 v25, 1, v8
	v_lshlrev_b32_e32 v26, 1, v11
	s_mov_b32 s24, 0x30303030
	s_movk_i32 s25, 0x3f00
	s_movk_i32 s26, 0xe000
	v_lshlrev_b32_e32 v27, 2, v10
	v_mov_b32_e32 v28, 8
	v_mov_b32_e32 v7, 0
	;; [unrolled: 1-line block ×14, first 2 shown]
.LBB154_2:                              ; =>This Inner Loop Header: Depth=1
	v_mov_b32_e32 v35, s21
	v_add_u32_e32 v31, s3, v18
	v_mov_b32_e32 v34, s20
	v_mad_i64_i32 v[31:32], s[28:29], v31, s23, v[34:35]
	v_add_co_u32_e32 v29, vcc, v4, v23
	v_addc_co_u32_e32 v30, vcc, 0, v5, vcc
	global_load_dword v38, v[29:30], off offset:4
	global_load_dword v43, v[4:5], off
	global_load_dword v40, v[29:30], off offset:76
	global_load_dword v39, v[4:5], off offset:72
	v_add_co_u32_e32 v29, vcc, v31, v25
	v_addc_co_u32_e32 v30, vcc, 0, v32, vcc
	global_load_dword v33, v[29:30], off
	v_add_co_u32_e32 v29, vcc, v31, v26
	v_addc_co_u32_e32 v30, vcc, 0, v32, vcc
	global_load_dword v29, v[29:30], off offset:128
	v_add_co_u32_e32 v36, vcc, v31, v22
	v_addc_co_u32_e32 v37, vcc, 0, v32, vcc
	s_waitcnt vmcnt(0)
	v_ashrrev_i32_e32 v41, v21, v29
	global_load_ushort v29, v[31:32], off offset:208
	global_load_sbyte v30, v[36:37], off offset:192
	v_and_b32_e32 v31, 0xf0f0f0f, v33
	v_lshlrev_b32_e32 v32, 4, v41
	v_and_or_b32 v31, v32, s24, v31
	v_lshlrev_b16_e32 v42, 8, v31
	v_and_b32_e32 v32, 0x3f00, v31
	v_add_u16_e32 v42, 0xe000, v42
	v_or_b32_sdwa v32, v32, v42 dst_sel:DWORD dst_unused:UNUSED_PAD src0_sel:DWORD src1_sel:BYTE_1
	v_and_b32_sdwa v42, v31, s25 dst_sel:DWORD dst_unused:UNUSED_PAD src0_sel:WORD_1 src1_sel:DWORD
	v_lshlrev_b16_sdwa v31, v28, v31 dst_sel:DWORD dst_unused:UNUSED_PAD src0_sel:DWORD src1_sel:WORD_1
	v_add_u16_e32 v31, 0xe000, v31
	v_or_b32_sdwa v31, v42, v31 dst_sel:DWORD dst_unused:UNUSED_PAD src0_sel:DWORD src1_sel:BYTE_1
	v_add_u16_e32 v32, 0xe000, v32
	v_add_u16_sdwa v31, v31, s26 dst_sel:WORD_1 dst_unused:UNUSED_PAD src0_sel:DWORD src1_sel:DWORD
	v_or_b32_e32 v31, v32, v31
	v_dot4_i32_i8 v32, v31, v38, 0
	v_lshrrev_b32_e32 v33, 4, v33
	v_and_b32_e32 v33, 0xf0f0f0f, v33
	v_and_or_b32 v33, v41, s24, v33
	s_waitcnt vmcnt(0)
	v_mul_lo_u32 v32, v32, v30
	v_cvt_f32_i32_e32 v32, v32
	v_fma_mix_f32 v42, v43, v32, 0 op_sel_hi:[1,0,0]
	global_load_sbyte v32, v[36:37], off offset:196
	v_lshlrev_b16_e32 v37, 8, v33
	v_and_b32_e32 v36, 0x3f00, v33
	v_add_u16_e32 v37, 0xe000, v37
	v_or_b32_sdwa v36, v36, v37 dst_sel:DWORD dst_unused:UNUSED_PAD src0_sel:DWORD src1_sel:BYTE_1
	v_and_b32_sdwa v37, v33, s25 dst_sel:DWORD dst_unused:UNUSED_PAD src0_sel:WORD_1 src1_sel:DWORD
	v_lshlrev_b16_sdwa v33, v28, v33 dst_sel:DWORD dst_unused:UNUSED_PAD src0_sel:DWORD src1_sel:WORD_1
	v_add_u16_e32 v33, 0xe000, v33
	v_or_b32_sdwa v33, v37, v33 dst_sel:DWORD dst_unused:UNUSED_PAD src0_sel:DWORD src1_sel:BYTE_1
	v_add_u16_e32 v36, 0xe000, v36
	v_add_u16_sdwa v33, v33, s26 dst_sel:WORD_1 dst_unused:UNUSED_PAD src0_sel:DWORD src1_sel:DWORD
	v_or_b32_e32 v33, v36, v33
	v_dot4_i32_i8 v36, v33, v40, 0
	s_waitcnt vmcnt(0)
	v_mul_lo_u32 v36, v36, v32
	v_cvt_f32_i32_e32 v36, v36
	v_fma_mix_f32 v36, v39, v36, v42 op_sel_hi:[1,0,0]
	v_fma_mix_f32 v20, v36, v29, v20 op_sel_hi:[0,1,0]
	v_add_u32_e32 v36, s0, v18
	v_mad_i64_i32 v[36:37], s[28:29], v36, s23, v[34:35]
	v_add_u32_e32 v18, 2, v18
	v_add_co_u32_e32 v34, vcc, v36, v25
	v_addc_co_u32_e32 v35, vcc, 0, v37, vcc
	global_load_dword v44, v[34:35], off
	v_add_co_u32_e32 v34, vcc, v36, v26
	v_addc_co_u32_e32 v35, vcc, 0, v37, vcc
	global_load_dword v34, v[34:35], off offset:128
	v_add_co_u32_e32 v41, vcc, v36, v22
	v_addc_co_u32_e32 v42, vcc, 0, v37, vcc
	s_waitcnt vmcnt(0)
	v_ashrrev_i32_e32 v45, v21, v34
	global_load_ushort v34, v[36:37], off offset:208
	global_load_sbyte v35, v[41:42], off offset:192
	v_and_b32_e32 v36, 0xf0f0f0f, v44
	v_lshlrev_b32_e32 v37, 4, v45
	v_and_or_b32 v36, v37, s24, v36
	v_lshlrev_b16_e32 v46, 8, v36
	v_and_b32_e32 v37, 0x3f00, v36
	v_add_u16_e32 v46, 0xe000, v46
	v_or_b32_sdwa v37, v37, v46 dst_sel:DWORD dst_unused:UNUSED_PAD src0_sel:DWORD src1_sel:BYTE_1
	v_and_b32_sdwa v46, v36, s25 dst_sel:DWORD dst_unused:UNUSED_PAD src0_sel:WORD_1 src1_sel:DWORD
	v_lshlrev_b16_sdwa v36, v28, v36 dst_sel:DWORD dst_unused:UNUSED_PAD src0_sel:DWORD src1_sel:WORD_1
	v_add_u16_e32 v36, 0xe000, v36
	v_or_b32_sdwa v36, v46, v36 dst_sel:DWORD dst_unused:UNUSED_PAD src0_sel:DWORD src1_sel:BYTE_1
	v_add_u16_e32 v37, 0xe000, v37
	v_add_u16_sdwa v36, v36, s26 dst_sel:WORD_1 dst_unused:UNUSED_PAD src0_sel:DWORD src1_sel:DWORD
	v_or_b32_e32 v36, v37, v36
	v_dot4_i32_i8 v37, v36, v38, 0
	v_lshrrev_b32_e32 v38, 4, v44
	v_and_b32_e32 v38, 0xf0f0f0f, v38
	v_and_or_b32 v38, v45, s24, v38
	s_waitcnt vmcnt(0)
	v_mul_lo_u32 v37, v37, v35
	v_cvt_f32_i32_e32 v37, v37
	v_fma_mix_f32 v43, v43, v37, 0 op_sel_hi:[1,0,0]
	global_load_sbyte v37, v[41:42], off offset:196
	v_lshlrev_b16_e32 v42, 8, v38
	v_and_b32_e32 v41, 0x3f00, v38
	v_add_u16_e32 v42, 0xe000, v42
	v_or_b32_sdwa v41, v41, v42 dst_sel:DWORD dst_unused:UNUSED_PAD src0_sel:DWORD src1_sel:BYTE_1
	v_and_b32_sdwa v42, v38, s25 dst_sel:DWORD dst_unused:UNUSED_PAD src0_sel:WORD_1 src1_sel:DWORD
	v_lshlrev_b16_sdwa v38, v28, v38 dst_sel:DWORD dst_unused:UNUSED_PAD src0_sel:DWORD src1_sel:WORD_1
	v_add_u16_e32 v38, 0xe000, v38
	v_or_b32_sdwa v38, v42, v38 dst_sel:DWORD dst_unused:UNUSED_PAD src0_sel:DWORD src1_sel:BYTE_1
	v_add_u16_e32 v41, 0xe000, v41
	v_add_u16_sdwa v38, v38, s26 dst_sel:WORD_1 dst_unused:UNUSED_PAD src0_sel:DWORD src1_sel:DWORD
	v_or_b32_e32 v38, v41, v38
	v_dot4_i32_i8 v40, v38, v40, 0
	s_waitcnt vmcnt(0)
	v_mul_lo_u32 v40, v40, v37
	v_cvt_f32_i32_e32 v40, v40
	v_fma_mix_f32 v39, v39, v40, v43 op_sel_hi:[1,0,0]
	v_fma_mix_f32 v19, v39, v34, v19 op_sel_hi:[0,1,0]
	v_add_u32_e32 v39, s1, v24
	v_mad_u64_u32 v[39:40], s[28:29], v39, 36, v[2:3]
	v_add_co_u32_e32 v41, vcc, v39, v27
	v_addc_co_u32_e32 v42, vcc, 0, v40, vcc
	global_load_dword v43, v[41:42], off offset:4
	global_load_dword v44, v[39:40], off
	global_load_dword v45, v[41:42], off offset:76
	global_load_dword v46, v[39:40], off offset:72
	s_waitcnt vmcnt(3)
	v_dot4_i32_i8 v39, v31, v43, 0
	v_mul_lo_u32 v39, v39, v30
	s_waitcnt vmcnt(1)
	v_dot4_i32_i8 v40, v33, v45, 0
	v_mul_lo_u32 v40, v40, v32
	v_cvt_f32_i32_e32 v39, v39
	v_cvt_f32_i32_e32 v40, v40
	v_fma_mix_f32 v39, v44, v39, 0 op_sel_hi:[1,0,0]
	s_waitcnt vmcnt(0)
	v_fma_mix_f32 v39, v46, v40, v39 op_sel_hi:[1,0,0]
	v_fma_mix_f32 v17, v39, v29, v17 op_sel_hi:[0,1,0]
	v_dot4_i32_i8 v39, v36, v43, 0
	v_mul_lo_u32 v39, v39, v35
	v_dot4_i32_i8 v40, v38, v45, 0
	v_mul_lo_u32 v40, v40, v37
	v_cvt_f32_i32_e32 v39, v39
	v_cvt_f32_i32_e32 v40, v40
	v_fma_mix_f32 v39, v44, v39, 0 op_sel_hi:[1,0,0]
	v_fma_mix_f32 v39, v46, v40, v39 op_sel_hi:[1,0,0]
	v_fma_mix_f32 v16, v39, v34, v16 op_sel_hi:[0,1,0]
	v_add_u32_e32 v39, s15, v24
	v_mad_u64_u32 v[39:40], s[28:29], v39, 36, v[2:3]
	v_add_co_u32_e32 v41, vcc, v39, v27
	v_addc_co_u32_e32 v42, vcc, 0, v40, vcc
	global_load_dword v43, v[41:42], off offset:4
	global_load_dword v44, v[39:40], off
	global_load_dword v45, v[41:42], off offset:76
	global_load_dword v46, v[39:40], off offset:72
	s_waitcnt vmcnt(3)
	v_dot4_i32_i8 v39, v31, v43, 0
	v_mul_lo_u32 v39, v39, v30
	s_waitcnt vmcnt(1)
	v_dot4_i32_i8 v40, v33, v45, 0
	v_mul_lo_u32 v40, v40, v32
	v_cvt_f32_i32_e32 v39, v39
	v_cvt_f32_i32_e32 v40, v40
	v_fma_mix_f32 v39, v44, v39, 0 op_sel_hi:[1,0,0]
	s_waitcnt vmcnt(0)
	v_fma_mix_f32 v39, v46, v40, v39 op_sel_hi:[1,0,0]
	v_fma_mix_f32 v15, v39, v29, v15 op_sel_hi:[0,1,0]
	v_dot4_i32_i8 v39, v36, v43, 0
	v_mul_lo_u32 v39, v39, v35
	v_dot4_i32_i8 v40, v38, v45, 0
	v_mul_lo_u32 v40, v40, v37
	v_cvt_f32_i32_e32 v39, v39
	v_cvt_f32_i32_e32 v40, v40
	v_fma_mix_f32 v39, v44, v39, 0 op_sel_hi:[1,0,0]
	;; [unrolled: 29-line block ×5, first 2 shown]
	v_fma_mix_f32 v39, v46, v40, v39 op_sel_hi:[1,0,0]
	v_fma_mix_f32 v8, v39, v34, v8 op_sel_hi:[0,1,0]
	v_add_u32_e32 v39, s22, v24
	v_mad_u64_u32 v[39:40], s[28:29], v39, 36, v[2:3]
	v_add_u32_e32 v24, 16, v24
	v_add_co_u32_e32 v41, vcc, v39, v27
	v_addc_co_u32_e32 v42, vcc, 0, v40, vcc
	global_load_dword v43, v[41:42], off offset:4
	global_load_dword v44, v[39:40], off
	global_load_dword v45, v[41:42], off offset:76
	global_load_dword v46, v[39:40], off offset:72
	v_add_co_u32_e32 v4, vcc, 0x240, v4
	v_addc_co_u32_e32 v5, vcc, 0, v5, vcc
	v_cmp_le_u32_e32 vcc, s9, v18
	s_or_b64 s[12:13], vcc, s[12:13]
	s_waitcnt vmcnt(3)
	v_dot4_i32_i8 v31, v31, v43, 0
	v_mul_lo_u32 v30, v31, v30
	s_waitcnt vmcnt(1)
	v_dot4_i32_i8 v31, v33, v45, 0
	v_mul_lo_u32 v31, v31, v32
	v_cvt_f32_i32_e32 v30, v30
	v_cvt_f32_i32_e32 v31, v31
	v_fma_mix_f32 v30, v44, v30, 0 op_sel_hi:[1,0,0]
	s_waitcnt vmcnt(0)
	v_fma_mix_f32 v30, v46, v31, v30 op_sel_hi:[1,0,0]
	v_fma_mix_f32 v7, v30, v29, v7 op_sel_hi:[0,1,0]
	v_dot4_i32_i8 v29, v36, v43, 0
	v_mul_lo_u32 v29, v29, v35
	v_dot4_i32_i8 v30, v38, v45, 0
	v_mul_lo_u32 v30, v30, v37
	v_cvt_f32_i32_e32 v29, v29
	v_cvt_f32_i32_e32 v30, v30
	v_fma_mix_f32 v29, v44, v29, 0 op_sel_hi:[1,0,0]
	v_fma_mix_f32 v29, v46, v30, v29 op_sel_hi:[1,0,0]
	;; [unrolled: 1-line block ×3, first 2 shown]
	s_andn2_b64 exec, exec, s[12:13]
	s_cbranch_execnz .LBB154_2
; %bb.3:
	s_or_b64 exec, exec, s[12:13]
.LBB154_4:
	s_or_b64 exec, exec, s[10:11]
	s_mov_b32 s1, 0
	v_cmp_eq_u32_e32 vcc, 0, v1
	; wave barrier
	s_and_saveexec_b64 s[10:11], vcc
	s_cbranch_execz .LBB154_19
; %bb.5:
	v_mbcnt_lo_u32_b32 v1, -1, 0
	v_mbcnt_hi_u32_b32 v18, -1, v1
	v_and_b32_e32 v1, 64, v18
	v_add_u32_e32 v21, 64, v1
	v_xor_b32_e32 v1, 32, v18
	v_cmp_lt_i32_e32 vcc, v1, v21
	v_cndmask_b32_e32 v1, v18, v1, vcc
	v_lshlrev_b32_e32 v1, 2, v1
	ds_bpermute_b32 v5, v1, v20
	ds_bpermute_b32 v22, v1, v19
	v_xor_b32_e32 v2, 16, v18
	v_cmp_lt_i32_e32 vcc, v2, v21
	v_cndmask_b32_e32 v2, v18, v2, vcc
	v_lshlrev_b32_e32 v2, 2, v2
	s_waitcnt lgkmcnt(1)
	v_add_f32_e32 v5, v20, v5
	s_waitcnt lgkmcnt(0)
	v_add_f32_e32 v19, v19, v22
	ds_bpermute_b32 v20, v2, v5
	ds_bpermute_b32 v22, v2, v19
	v_xor_b32_e32 v3, 8, v18
	v_cmp_lt_i32_e32 vcc, v3, v21
	v_cndmask_b32_e32 v3, v18, v3, vcc
	v_lshlrev_b32_e32 v3, 2, v3
	s_waitcnt lgkmcnt(1)
	v_add_f32_e32 v20, v5, v20
	s_waitcnt lgkmcnt(0)
	v_add_f32_e32 v19, v19, v22
	;; [unrolled: 10-line block ×3, first 2 shown]
	ds_bpermute_b32 v24, v4, v20
	ds_bpermute_b32 v22, v4, v19
	v_xor_b32_e32 v23, 2, v18
	v_cmp_lt_i32_e32 vcc, v23, v21
	v_cndmask_b32_e32 v23, v18, v23, vcc
	v_lshlrev_b32_e32 v5, 2, v23
	v_xor_b32_e32 v23, 1, v18
	v_cmp_lt_i32_e32 vcc, v23, v21
	s_waitcnt lgkmcnt(1)
	v_add_f32_e32 v21, v20, v24
	s_waitcnt lgkmcnt(0)
	v_add_f32_e32 v19, v19, v22
	v_cndmask_b32_e32 v18, v18, v23, vcc
	ds_bpermute_b32 v23, v5, v21
	ds_bpermute_b32 v22, v5, v19
	s_load_dwordx2 s[4:5], s[4:5], 0x38
	s_mul_i32 s3, s14, s7
	v_lshlrev_b32_e32 v20, 2, v18
	s_waitcnt lgkmcnt(0)
	v_add_f32_e32 v18, v21, v23
	v_add_f32_e32 v19, v19, v22
	s_mul_i32 s0, s18, s8
	s_add_i32 s3, s3, s6
	ds_bpermute_b32 v21, v20, v18
	ds_bpermute_b32 v22, v20, v19
	s_add_i32 s0, s3, s0
	s_lshl_b64 s[0:1], s[0:1], 2
	s_add_u32 s4, s4, s0
	v_add_u32_e32 v23, s6, v0
	s_addc_u32 s5, s5, s1
	v_cmp_gt_u32_e32 vcc, 2, v0
	v_cmp_gt_u32_e64 s[0:1], s2, v23
	s_and_b64 s[0:1], vcc, s[0:1]
	s_waitcnt lgkmcnt(1)
	v_add_f32_e32 v18, v18, v21
	s_waitcnt lgkmcnt(0)
	v_add_f32_e32 v19, v19, v22
	s_and_saveexec_b64 s[6:7], s[0:1]
	s_cbranch_execz .LBB154_7
; %bb.6:
	v_cmp_eq_u32_e32 vcc, 1, v0
	v_cndmask_b32_e32 v21, v18, v19, vcc
	v_cmp_eq_u32_e32 vcc, 2, v0
	v_cndmask_b32_e32 v21, v21, v17, vcc
	;; [unrolled: 2-line block ×13, first 2 shown]
	v_lshlrev_b32_e32 v22, 2, v0
	global_store_dword v22, v21, s[4:5]
.LBB154_7:
	s_or_b64 exec, exec, s[6:7]
	ds_bpermute_b32 v21, v1, v17
	ds_bpermute_b32 v22, v1, v16
	s_waitcnt lgkmcnt(1)
	v_add_f32_e32 v17, v17, v21
	s_waitcnt lgkmcnt(0)
	v_add_f32_e32 v16, v16, v22
	ds_bpermute_b32 v21, v2, v17
	ds_bpermute_b32 v22, v2, v16
	s_waitcnt lgkmcnt(1)
	v_add_f32_e32 v17, v17, v21
	s_waitcnt lgkmcnt(0)
	v_add_f32_e32 v16, v16, v22
	;; [unrolled: 6-line block ×6, first 2 shown]
	s_and_saveexec_b64 s[6:7], s[0:1]
	s_cbranch_execz .LBB154_9
; %bb.8:
	v_add_u32_e32 v21, 2, v0
	v_cmp_eq_u32_e32 vcc, 1, v21
	v_cndmask_b32_e32 v22, v18, v19, vcc
	v_cmp_eq_u32_e32 vcc, 2, v21
	v_cndmask_b32_e32 v22, v22, v17, vcc
	;; [unrolled: 2-line block ×13, first 2 shown]
	v_add_u32_e32 v21, s2, v0
	v_mov_b32_e32 v22, 0
	v_lshlrev_b64 v[21:22], 2, v[21:22]
	v_mov_b32_e32 v24, s5
	v_add_co_u32_e32 v21, vcc, s4, v21
	v_addc_co_u32_e32 v22, vcc, v24, v22, vcc
	global_store_dword v[21:22], v23, off
.LBB154_9:
	s_or_b64 exec, exec, s[6:7]
	ds_bpermute_b32 v21, v1, v15
	ds_bpermute_b32 v22, v1, v14
	s_waitcnt lgkmcnt(1)
	v_add_f32_e32 v15, v15, v21
	s_waitcnt lgkmcnt(0)
	v_add_f32_e32 v14, v14, v22
	ds_bpermute_b32 v21, v2, v15
	ds_bpermute_b32 v22, v2, v14
	s_waitcnt lgkmcnt(1)
	v_add_f32_e32 v15, v15, v21
	s_waitcnt lgkmcnt(0)
	v_add_f32_e32 v14, v14, v22
	ds_bpermute_b32 v21, v3, v15
	ds_bpermute_b32 v22, v3, v14
	s_waitcnt lgkmcnt(1)
	v_add_f32_e32 v15, v15, v21
	s_waitcnt lgkmcnt(0)
	v_add_f32_e32 v14, v14, v22
	ds_bpermute_b32 v21, v4, v15
	ds_bpermute_b32 v22, v4, v14
	s_waitcnt lgkmcnt(1)
	v_add_f32_e32 v15, v15, v21
	s_waitcnt lgkmcnt(0)
	v_add_f32_e32 v14, v14, v22
	ds_bpermute_b32 v21, v5, v15
	ds_bpermute_b32 v22, v5, v14
	s_waitcnt lgkmcnt(1)
	v_add_f32_e32 v15, v15, v21
	s_waitcnt lgkmcnt(0)
	v_add_f32_e32 v14, v14, v22
	ds_bpermute_b32 v21, v20, v15
	ds_bpermute_b32 v22, v20, v14
	s_waitcnt lgkmcnt(1)
	v_add_f32_e32 v15, v15, v21
	s_waitcnt lgkmcnt(0)
	v_add_f32_e32 v14, v14, v22
	s_and_saveexec_b64 s[6:7], s[0:1]
	s_cbranch_execz .LBB154_11
; %bb.10:
	v_add_u32_e32 v21, 4, v0
	v_cmp_eq_u32_e32 vcc, 1, v21
	v_cndmask_b32_e32 v22, v18, v19, vcc
	v_cmp_eq_u32_e32 vcc, 2, v21
	v_cndmask_b32_e32 v22, v22, v17, vcc
	;; [unrolled: 2-line block ×13, first 2 shown]
	v_lshl_or_b32 v21, s2, 1, v0
	v_mov_b32_e32 v22, 0
	v_lshlrev_b64 v[21:22], 2, v[21:22]
	v_mov_b32_e32 v24, s5
	v_add_co_u32_e32 v21, vcc, s4, v21
	v_addc_co_u32_e32 v22, vcc, v24, v22, vcc
	global_store_dword v[21:22], v23, off
.LBB154_11:
	s_or_b64 exec, exec, s[6:7]
	ds_bpermute_b32 v21, v1, v13
	ds_bpermute_b32 v22, v1, v12
	s_waitcnt lgkmcnt(1)
	v_add_f32_e32 v13, v13, v21
	s_waitcnt lgkmcnt(0)
	v_add_f32_e32 v12, v12, v22
	ds_bpermute_b32 v21, v2, v13
	ds_bpermute_b32 v22, v2, v12
	s_waitcnt lgkmcnt(1)
	v_add_f32_e32 v13, v13, v21
	s_waitcnt lgkmcnt(0)
	v_add_f32_e32 v12, v12, v22
	;; [unrolled: 6-line block ×6, first 2 shown]
	s_and_saveexec_b64 s[6:7], s[0:1]
	s_cbranch_execz .LBB154_13
; %bb.12:
	v_add_u32_e32 v23, 6, v0
	v_cmp_eq_u32_e32 vcc, 1, v23
	v_cndmask_b32_e32 v21, v18, v19, vcc
	v_cmp_eq_u32_e32 vcc, 2, v23
	v_cndmask_b32_e32 v21, v21, v17, vcc
	;; [unrolled: 2-line block ×12, first 2 shown]
	v_mad_u64_u32 v[21:22], s[8:9], s2, 3, v[0:1]
	v_mov_b32_e32 v22, 0
	v_cmp_eq_u32_e32 vcc, 13, v23
	v_lshlrev_b64 v[21:22], 2, v[21:22]
	v_cndmask_b32_e32 v23, v24, v6, vcc
	v_mov_b32_e32 v24, s5
	v_add_co_u32_e32 v21, vcc, s4, v21
	v_addc_co_u32_e32 v22, vcc, v24, v22, vcc
	global_store_dword v[21:22], v23, off
.LBB154_13:
	s_or_b64 exec, exec, s[6:7]
	ds_bpermute_b32 v21, v1, v11
	ds_bpermute_b32 v22, v1, v10
	s_waitcnt lgkmcnt(1)
	v_add_f32_e32 v11, v11, v21
	s_waitcnt lgkmcnt(0)
	v_add_f32_e32 v10, v10, v22
	ds_bpermute_b32 v21, v2, v11
	ds_bpermute_b32 v22, v2, v10
	s_waitcnt lgkmcnt(1)
	v_add_f32_e32 v11, v11, v21
	s_waitcnt lgkmcnt(0)
	v_add_f32_e32 v10, v10, v22
	;; [unrolled: 6-line block ×6, first 2 shown]
	s_and_saveexec_b64 s[6:7], s[0:1]
	s_cbranch_execz .LBB154_15
; %bb.14:
	v_add_u32_e32 v21, 8, v0
	v_cmp_eq_u32_e32 vcc, 1, v21
	v_cndmask_b32_e32 v22, v18, v19, vcc
	v_cmp_eq_u32_e32 vcc, 2, v21
	v_cndmask_b32_e32 v22, v22, v17, vcc
	;; [unrolled: 2-line block ×13, first 2 shown]
	v_lshl_or_b32 v21, s2, 2, v0
	v_mov_b32_e32 v22, 0
	v_lshlrev_b64 v[21:22], 2, v[21:22]
	v_mov_b32_e32 v24, s5
	v_add_co_u32_e32 v21, vcc, s4, v21
	v_addc_co_u32_e32 v22, vcc, v24, v22, vcc
	global_store_dword v[21:22], v23, off
.LBB154_15:
	s_or_b64 exec, exec, s[6:7]
	ds_bpermute_b32 v21, v1, v9
	ds_bpermute_b32 v22, v1, v8
	s_waitcnt lgkmcnt(1)
	v_add_f32_e32 v9, v9, v21
	s_waitcnt lgkmcnt(0)
	v_add_f32_e32 v8, v8, v22
	ds_bpermute_b32 v21, v2, v9
	ds_bpermute_b32 v22, v2, v8
	s_waitcnt lgkmcnt(1)
	v_add_f32_e32 v9, v9, v21
	s_waitcnt lgkmcnt(0)
	v_add_f32_e32 v8, v8, v22
	;; [unrolled: 6-line block ×6, first 2 shown]
	s_and_saveexec_b64 s[6:7], s[0:1]
	s_cbranch_execz .LBB154_17
; %bb.16:
	v_add_u32_e32 v23, 10, v0
	v_cmp_eq_u32_e32 vcc, 1, v23
	v_cndmask_b32_e32 v21, v18, v19, vcc
	v_cmp_eq_u32_e32 vcc, 2, v23
	v_cndmask_b32_e32 v21, v21, v17, vcc
	;; [unrolled: 2-line block ×12, first 2 shown]
	v_mad_u64_u32 v[21:22], s[8:9], s2, 5, v[0:1]
	v_mov_b32_e32 v22, 0
	v_cmp_eq_u32_e32 vcc, 13, v23
	v_lshlrev_b64 v[21:22], 2, v[21:22]
	v_cndmask_b32_e32 v23, v24, v6, vcc
	v_mov_b32_e32 v24, s5
	v_add_co_u32_e32 v21, vcc, s4, v21
	v_addc_co_u32_e32 v22, vcc, v24, v22, vcc
	global_store_dword v[21:22], v23, off
.LBB154_17:
	s_or_b64 exec, exec, s[6:7]
	ds_bpermute_b32 v21, v1, v7
	ds_bpermute_b32 v1, v1, v6
	s_waitcnt lgkmcnt(1)
	v_add_f32_e32 v7, v7, v21
	s_waitcnt lgkmcnt(0)
	v_add_f32_e32 v1, v6, v1
	ds_bpermute_b32 v6, v2, v7
	ds_bpermute_b32 v2, v2, v1
	s_waitcnt lgkmcnt(1)
	v_add_f32_e32 v6, v7, v6
	s_waitcnt lgkmcnt(0)
	v_add_f32_e32 v1, v1, v2
	;; [unrolled: 6-line block ×5, first 2 shown]
	ds_bpermute_b32 v3, v20, v1
	ds_bpermute_b32 v4, v20, v2
	s_and_b64 exec, exec, s[0:1]
	s_cbranch_execz .LBB154_19
; %bb.18:
	s_waitcnt lgkmcnt(1)
	v_add_f32_e32 v1, v1, v3
	v_add_u32_e32 v3, 12, v0
	v_cmp_eq_u32_e32 vcc, 1, v3
	s_waitcnt lgkmcnt(0)
	v_add_f32_e32 v2, v2, v4
	v_cndmask_b32_e32 v4, v18, v19, vcc
	v_cmp_eq_u32_e32 vcc, 2, v3
	v_cndmask_b32_e32 v4, v4, v17, vcc
	v_cmp_eq_u32_e32 vcc, 3, v3
	;; [unrolled: 2-line block ×12, first 2 shown]
	s_mul_i32 s0, s2, 6
	v_cndmask_b32_e32 v2, v1, v2, vcc
	v_or_b32_e32 v0, s0, v0
	v_mov_b32_e32 v1, 0
	v_lshlrev_b64 v[0:1], 2, v[0:1]
	v_mov_b32_e32 v3, s5
	v_add_co_u32_e32 v0, vcc, s4, v0
	v_addc_co_u32_e32 v1, vcc, v3, v1, vcc
	global_store_dword v[0:1], v2, off
.LBB154_19:
	s_endpgm
	.section	.rodata,"a",@progbits
	.p2align	6, 0x0
	.amdhsa_kernel _ZL13mul_mat_vec_qIL9ggml_type14ELi7ELb0ELb0EEvPKvS2_PKi31ggml_cuda_mm_fusion_args_devicePfj15HIP_vector_typeIjLj3EEjjjS8_jjjS8_jjjj
		.amdhsa_group_segment_fixed_size 0
		.amdhsa_private_segment_fixed_size 0
		.amdhsa_kernarg_size 144
		.amdhsa_user_sgpr_count 6
		.amdhsa_user_sgpr_private_segment_buffer 1
		.amdhsa_user_sgpr_dispatch_ptr 0
		.amdhsa_user_sgpr_queue_ptr 0
		.amdhsa_user_sgpr_kernarg_segment_ptr 1
		.amdhsa_user_sgpr_dispatch_id 0
		.amdhsa_user_sgpr_flat_scratch_init 0
		.amdhsa_user_sgpr_private_segment_size 0
		.amdhsa_uses_dynamic_stack 0
		.amdhsa_system_sgpr_private_segment_wavefront_offset 0
		.amdhsa_system_sgpr_workgroup_id_x 1
		.amdhsa_system_sgpr_workgroup_id_y 1
		.amdhsa_system_sgpr_workgroup_id_z 1
		.amdhsa_system_sgpr_workgroup_info 0
		.amdhsa_system_vgpr_workitem_id 1
		.amdhsa_next_free_vgpr 47
		.amdhsa_next_free_sgpr 30
		.amdhsa_reserve_vcc 1
		.amdhsa_reserve_flat_scratch 0
		.amdhsa_float_round_mode_32 0
		.amdhsa_float_round_mode_16_64 0
		.amdhsa_float_denorm_mode_32 3
		.amdhsa_float_denorm_mode_16_64 3
		.amdhsa_dx10_clamp 1
		.amdhsa_ieee_mode 1
		.amdhsa_fp16_overflow 0
		.amdhsa_exception_fp_ieee_invalid_op 0
		.amdhsa_exception_fp_denorm_src 0
		.amdhsa_exception_fp_ieee_div_zero 0
		.amdhsa_exception_fp_ieee_overflow 0
		.amdhsa_exception_fp_ieee_underflow 0
		.amdhsa_exception_fp_ieee_inexact 0
		.amdhsa_exception_int_div_zero 0
	.end_amdhsa_kernel
	.section	.text._ZL13mul_mat_vec_qIL9ggml_type14ELi7ELb0ELb0EEvPKvS2_PKi31ggml_cuda_mm_fusion_args_devicePfj15HIP_vector_typeIjLj3EEjjjS8_jjjS8_jjjj,"axG",@progbits,_ZL13mul_mat_vec_qIL9ggml_type14ELi7ELb0ELb0EEvPKvS2_PKi31ggml_cuda_mm_fusion_args_devicePfj15HIP_vector_typeIjLj3EEjjjS8_jjjS8_jjjj,comdat
.Lfunc_end154:
	.size	_ZL13mul_mat_vec_qIL9ggml_type14ELi7ELb0ELb0EEvPKvS2_PKi31ggml_cuda_mm_fusion_args_devicePfj15HIP_vector_typeIjLj3EEjjjS8_jjjS8_jjjj, .Lfunc_end154-_ZL13mul_mat_vec_qIL9ggml_type14ELi7ELb0ELb0EEvPKvS2_PKi31ggml_cuda_mm_fusion_args_devicePfj15HIP_vector_typeIjLj3EEjjjS8_jjjS8_jjjj
                                        ; -- End function
	.set _ZL13mul_mat_vec_qIL9ggml_type14ELi7ELb0ELb0EEvPKvS2_PKi31ggml_cuda_mm_fusion_args_devicePfj15HIP_vector_typeIjLj3EEjjjS8_jjjS8_jjjj.num_vgpr, 47
	.set _ZL13mul_mat_vec_qIL9ggml_type14ELi7ELb0ELb0EEvPKvS2_PKi31ggml_cuda_mm_fusion_args_devicePfj15HIP_vector_typeIjLj3EEjjjS8_jjjS8_jjjj.num_agpr, 0
	.set _ZL13mul_mat_vec_qIL9ggml_type14ELi7ELb0ELb0EEvPKvS2_PKi31ggml_cuda_mm_fusion_args_devicePfj15HIP_vector_typeIjLj3EEjjjS8_jjjS8_jjjj.numbered_sgpr, 30
	.set _ZL13mul_mat_vec_qIL9ggml_type14ELi7ELb0ELb0EEvPKvS2_PKi31ggml_cuda_mm_fusion_args_devicePfj15HIP_vector_typeIjLj3EEjjjS8_jjjS8_jjjj.num_named_barrier, 0
	.set _ZL13mul_mat_vec_qIL9ggml_type14ELi7ELb0ELb0EEvPKvS2_PKi31ggml_cuda_mm_fusion_args_devicePfj15HIP_vector_typeIjLj3EEjjjS8_jjjS8_jjjj.private_seg_size, 0
	.set _ZL13mul_mat_vec_qIL9ggml_type14ELi7ELb0ELb0EEvPKvS2_PKi31ggml_cuda_mm_fusion_args_devicePfj15HIP_vector_typeIjLj3EEjjjS8_jjjS8_jjjj.uses_vcc, 1
	.set _ZL13mul_mat_vec_qIL9ggml_type14ELi7ELb0ELb0EEvPKvS2_PKi31ggml_cuda_mm_fusion_args_devicePfj15HIP_vector_typeIjLj3EEjjjS8_jjjS8_jjjj.uses_flat_scratch, 0
	.set _ZL13mul_mat_vec_qIL9ggml_type14ELi7ELb0ELb0EEvPKvS2_PKi31ggml_cuda_mm_fusion_args_devicePfj15HIP_vector_typeIjLj3EEjjjS8_jjjS8_jjjj.has_dyn_sized_stack, 0
	.set _ZL13mul_mat_vec_qIL9ggml_type14ELi7ELb0ELb0EEvPKvS2_PKi31ggml_cuda_mm_fusion_args_devicePfj15HIP_vector_typeIjLj3EEjjjS8_jjjS8_jjjj.has_recursion, 0
	.set _ZL13mul_mat_vec_qIL9ggml_type14ELi7ELb0ELb0EEvPKvS2_PKi31ggml_cuda_mm_fusion_args_devicePfj15HIP_vector_typeIjLj3EEjjjS8_jjjS8_jjjj.has_indirect_call, 0
	.section	.AMDGPU.csdata,"",@progbits
; Kernel info:
; codeLenInByte = 5060
; TotalNumSgprs: 34
; NumVgprs: 47
; ScratchSize: 0
; MemoryBound: 0
; FloatMode: 240
; IeeeMode: 1
; LDSByteSize: 0 bytes/workgroup (compile time only)
; SGPRBlocks: 4
; VGPRBlocks: 11
; NumSGPRsForWavesPerEU: 34
; NumVGPRsForWavesPerEU: 47
; Occupancy: 5
; WaveLimiterHint : 0
; COMPUTE_PGM_RSRC2:SCRATCH_EN: 0
; COMPUTE_PGM_RSRC2:USER_SGPR: 6
; COMPUTE_PGM_RSRC2:TRAP_HANDLER: 0
; COMPUTE_PGM_RSRC2:TGID_X_EN: 1
; COMPUTE_PGM_RSRC2:TGID_Y_EN: 1
; COMPUTE_PGM_RSRC2:TGID_Z_EN: 1
; COMPUTE_PGM_RSRC2:TIDIG_COMP_CNT: 1
	.section	.text._ZL13mul_mat_vec_qIL9ggml_type14ELi8ELb0ELb0EEvPKvS2_PKi31ggml_cuda_mm_fusion_args_devicePfj15HIP_vector_typeIjLj3EEjjjS8_jjjS8_jjjj,"axG",@progbits,_ZL13mul_mat_vec_qIL9ggml_type14ELi8ELb0ELb0EEvPKvS2_PKi31ggml_cuda_mm_fusion_args_devicePfj15HIP_vector_typeIjLj3EEjjjS8_jjjS8_jjjj,comdat
	.globl	_ZL13mul_mat_vec_qIL9ggml_type14ELi8ELb0ELb0EEvPKvS2_PKi31ggml_cuda_mm_fusion_args_devicePfj15HIP_vector_typeIjLj3EEjjjS8_jjjS8_jjjj ; -- Begin function _ZL13mul_mat_vec_qIL9ggml_type14ELi8ELb0ELb0EEvPKvS2_PKi31ggml_cuda_mm_fusion_args_devicePfj15HIP_vector_typeIjLj3EEjjjS8_jjjS8_jjjj
	.p2align	8
	.type	_ZL13mul_mat_vec_qIL9ggml_type14ELi8ELb0ELb0EEvPKvS2_PKi31ggml_cuda_mm_fusion_args_devicePfj15HIP_vector_typeIjLj3EEjjjS8_jjjS8_jjjj,@function
_ZL13mul_mat_vec_qIL9ggml_type14ELi8ELb0ELb0EEvPKvS2_PKi31ggml_cuda_mm_fusion_args_devicePfj15HIP_vector_typeIjLj3EEjjjS8_jjjS8_jjjj: ; @_ZL13mul_mat_vec_qIL9ggml_type14ELi8ELb0ELb0EEvPKvS2_PKi31ggml_cuda_mm_fusion_args_devicePfj15HIP_vector_typeIjLj3EEjjjS8_jjjS8_jjjj
; %bb.0:
	s_load_dword s9, s[4:5], 0x40
	s_load_dwordx4 s[12:15], s[4:5], 0x50
	s_load_dword s25, s[4:5], 0x60
	s_load_dwordx4 s[0:3], s[4:5], 0x68
	;; [unrolled: 2-line block ×3, first 2 shown]
	v_lshl_or_b32 v2, v1, 6, v0
	s_waitcnt lgkmcnt(0)
	s_lshr_b32 s9, s9, 8
	v_lshrrev_b32_e32 v24, 5, v2
	v_mov_b32_e32 v10, 0
	s_lshl_b32 s6, s6, 1
	v_cmp_gt_u32_e32 vcc, s9, v24
	v_mov_b32_e32 v11, v10
	v_mov_b32_e32 v12, v10
	;; [unrolled: 1-line block ×15, first 2 shown]
	s_and_saveexec_b64 s[10:11], vcc
	s_cbranch_execz .LBB155_4
; %bb.1:
	s_mul_hi_u32 s15, s15, s7
	s_add_i32 s15, s7, s15
	s_load_dwordx4 s[20:23], s[4:5], 0x0
	s_lshr_b32 s15, s15, s25
	s_mul_i32 s15, s15, s0
	s_mul_hi_u32 s0, s3, s8
	s_add_i32 s0, s8, s0
	s_lshr_b32 s0, s0, s24
	s_mul_i32 s19, s17, s8
	s_mul_i32 s3, s0, s16
	s_mul_i32 s16, s19, 36
	s_mul_hi_u32 s0, s19, 36
	s_waitcnt lgkmcnt(0)
	s_add_u32 s16, s22, s16
	s_addc_u32 s17, s23, s0
	s_mul_i32 s0, s1, s7
	s_mul_hi_u32 s1, s0, 36
	s_mul_i32 s0, s0, 36
	v_bfe_u32 v3, v0, 4, 1
	v_and_b32_e32 v4, 15, v0
	s_add_u32 s16, s16, s0
	v_and_b32_e32 v2, 31, v0
	v_lshrrev_b16_e32 v5, 3, v4
	v_lshlrev_b32_e32 v8, 3, v3
	v_and_b32_e32 v9, 7, v0
	s_addc_u32 s17, s17, s1
	v_lshl_or_b32 v6, v3, 2, v5
	v_lshlrev_b32_e32 v7, 1, v2
	v_or_b32_e32 v2, v8, v9
	v_lshrrev_b16_e32 v4, 2, v4
	v_lshlrev_b32_e32 v11, 1, v2
	v_mad_u64_u32 v[2:3], s[16:17], v6, 36, s[16:17]
	v_lshlrev_b32_e32 v27, 1, v5
	v_or_b32_e32 v28, v8, v4
	v_mov_b32_e32 v5, s1
	s_movk_i32 s16, 0x120
	v_mov_b32_e32 v4, s0
	v_mad_u64_u32 v[4:5], s[0:1], v24, s16, v[4:5]
	s_add_i32 s16, s6, 1
	s_add_i32 s15, s3, s15
	v_mad_u64_u32 v[4:5], s[0:1], s19, 36, v[4:5]
	s_mul_i32 s0, s12, s16
	s_mul_i32 s3, s6, s12
	s_add_i32 s12, s15, s0
	v_mad_u64_u32 v[4:5], s[0:1], v6, 36, v[4:5]
	v_mov_b32_e32 v10, 0
	v_mov_b32_e32 v6, s23
	v_add_co_u32_e32 v4, vcc, s22, v4
	s_add_i32 s3, s15, s3
	v_lshlrev_b32_e32 v29, 2, v9
	v_addc_co_u32_e32 v5, vcc, v6, v5, vcc
	s_lshl_b32 s15, s13, 1
	v_lshlrev_b32_e32 v30, 3, v24
	s_mul_i32 s19, s13, 3
	s_lshl_b32 s22, s13, 2
	s_mul_i32 s23, s13, 5
	s_mul_i32 s24, s13, 6
	;; [unrolled: 1-line block ×3, first 2 shown]
	s_mov_b64 s[16:17], 0
	s_movk_i32 s26, 0xd2
	v_lshlrev_b32_e32 v31, 1, v7
	v_lshlrev_b32_e32 v32, 1, v11
	s_mov_b32 s27, 0x30303030
	s_movk_i32 s28, 0x3f00
	s_movk_i32 s29, 0xe000
	v_lshlrev_b32_e32 v33, 2, v9
	v_mov_b32_e32 v34, 8
	v_mov_b32_e32 v11, v10
	;; [unrolled: 1-line block ×16, first 2 shown]
.LBB155_2:                              ; =>This Inner Loop Header: Depth=1
	v_mov_b32_e32 v6, s20
	v_add_u32_e32 v8, s3, v24
	v_mov_b32_e32 v7, s21
	v_mad_i64_i32 v[8:9], s[0:1], v8, s26, v[6:7]
	v_add_co_u32_e32 v35, vcc, v4, v29
	v_add_u32_e32 v37, s12, v24
	v_addc_co_u32_e32 v36, vcc, 0, v5, vcc
	v_mad_i64_i32 v[6:7], s[0:1], v37, s26, v[6:7]
	global_load_dword v41, v[35:36], off offset:4
	global_load_dword v46, v[35:36], off offset:76
	v_add_co_u32_e32 v35, vcc, v8, v31
	v_addc_co_u32_e32 v36, vcc, 0, v9, vcc
	global_load_dword v42, v[35:36], off
	v_add_co_u32_e32 v35, vcc, v8, v32
	v_addc_co_u32_e32 v36, vcc, 0, v9, vcc
	global_load_dword v43, v[35:36], off offset:128
	v_add_co_u32_e32 v35, vcc, v6, v32
	v_addc_co_u32_e32 v36, vcc, 0, v7, vcc
	global_load_dword v44, v[35:36], off offset:128
	v_add_co_u32_e32 v35, vcc, v6, v31
	v_addc_co_u32_e32 v36, vcc, 0, v7, vcc
	global_load_dword v45, v[35:36], off
	v_add_co_u32_e32 v35, vcc, v8, v28
	v_addc_co_u32_e32 v36, vcc, 0, v9, vcc
	global_load_sbyte v38, v[35:36], off offset:192
	global_load_sbyte v37, v[35:36], off offset:196
	v_add_co_u32_e32 v35, vcc, v6, v28
	v_addc_co_u32_e32 v36, vcc, 0, v7, vcc
	global_load_sbyte v40, v[35:36], off offset:192
	global_load_sbyte v39, v[35:36], off offset:196
	v_add_u32_e32 v24, 2, v24
	s_waitcnt vmcnt(7)
	v_and_b32_e32 v36, 0xf0f0f0f, v42
	v_lshrrev_b32_e32 v42, 4, v42
	v_and_b32_e32 v42, 0xf0f0f0f, v42
	s_waitcnt vmcnt(6)
	v_ashrrev_i32_e32 v35, v27, v43
	v_lshlrev_b32_e32 v43, 4, v35
	v_and_or_b32 v35, v35, s27, v42
	v_and_or_b32 v36, v43, s27, v36
	v_and_b32_e32 v47, 0x3f00, v35
	s_waitcnt vmcnt(5)
	v_ashrrev_i32_e32 v42, v27, v44
	v_lshlrev_b32_e32 v44, 4, v42
	s_waitcnt vmcnt(4)
	v_and_b32_e32 v43, 0xf0f0f0f, v45
	v_and_or_b32 v43, v44, s27, v43
	v_lshrrev_b32_e32 v44, 4, v45
	v_and_b32_e32 v44, 0xf0f0f0f, v44
	v_and_or_b32 v42, v42, s27, v44
	v_lshlrev_b16_e32 v44, 8, v36
	v_add_u16_e32 v44, 0xe000, v44
	v_and_b32_e32 v45, 0x3f00, v36
	v_or_b32_sdwa v44, v45, v44 dst_sel:DWORD dst_unused:UNUSED_PAD src0_sel:DWORD src1_sel:BYTE_1
	v_and_b32_sdwa v45, v36, s28 dst_sel:DWORD dst_unused:UNUSED_PAD src0_sel:WORD_1 src1_sel:DWORD
	v_lshlrev_b16_sdwa v36, v34, v36 dst_sel:DWORD dst_unused:UNUSED_PAD src0_sel:DWORD src1_sel:WORD_1
	v_add_u16_e32 v36, 0xe000, v36
	v_or_b32_sdwa v36, v45, v36 dst_sel:DWORD dst_unused:UNUSED_PAD src0_sel:DWORD src1_sel:BYTE_1
	v_lshlrev_b16_e32 v45, 8, v35
	v_add_u16_e32 v45, 0xe000, v45
	v_or_b32_sdwa v45, v47, v45 dst_sel:DWORD dst_unused:UNUSED_PAD src0_sel:DWORD src1_sel:BYTE_1
	v_and_b32_sdwa v47, v35, s28 dst_sel:DWORD dst_unused:UNUSED_PAD src0_sel:WORD_1 src1_sel:DWORD
	v_lshlrev_b16_sdwa v35, v34, v35 dst_sel:DWORD dst_unused:UNUSED_PAD src0_sel:DWORD src1_sel:WORD_1
	v_add_u16_e32 v35, 0xe000, v35
	v_or_b32_sdwa v35, v47, v35 dst_sel:DWORD dst_unused:UNUSED_PAD src0_sel:DWORD src1_sel:BYTE_1
	v_lshlrev_b16_e32 v47, 8, v43
	v_add_u16_e32 v47, 0xe000, v47
	v_and_b32_e32 v48, 0x3f00, v43
	v_or_b32_sdwa v47, v48, v47 dst_sel:DWORD dst_unused:UNUSED_PAD src0_sel:DWORD src1_sel:BYTE_1
	v_and_b32_sdwa v48, v43, s28 dst_sel:DWORD dst_unused:UNUSED_PAD src0_sel:WORD_1 src1_sel:DWORD
	v_lshlrev_b16_sdwa v43, v34, v43 dst_sel:DWORD dst_unused:UNUSED_PAD src0_sel:DWORD src1_sel:WORD_1
	v_add_u16_e32 v43, 0xe000, v43
	v_or_b32_sdwa v48, v48, v43 dst_sel:DWORD dst_unused:UNUSED_PAD src0_sel:DWORD src1_sel:BYTE_1
	v_lshlrev_b16_e32 v43, 8, v42
	v_add_u16_e32 v43, 0xe000, v43
	v_and_b32_e32 v49, 0x3f00, v42
	v_or_b32_sdwa v49, v49, v43 dst_sel:DWORD dst_unused:UNUSED_PAD src0_sel:DWORD src1_sel:BYTE_1
	v_and_b32_sdwa v43, v42, s28 dst_sel:DWORD dst_unused:UNUSED_PAD src0_sel:WORD_1 src1_sel:DWORD
	v_lshlrev_b16_sdwa v42, v34, v42 dst_sel:DWORD dst_unused:UNUSED_PAD src0_sel:DWORD src1_sel:WORD_1
	v_add_u16_e32 v42, 0xe000, v42
	v_or_b32_sdwa v50, v43, v42 dst_sel:DWORD dst_unused:UNUSED_PAD src0_sel:DWORD src1_sel:BYTE_1
	v_add_u16_e32 v42, 0xe000, v44
	v_add_u16_sdwa v36, v36, s29 dst_sel:WORD_1 dst_unused:UNUSED_PAD src0_sel:DWORD src1_sel:DWORD
	v_or_b32_e32 v42, v42, v36
	v_add_u16_e32 v36, 0xe000, v45
	v_add_u16_sdwa v35, v35, s29 dst_sel:WORD_1 dst_unused:UNUSED_PAD src0_sel:DWORD src1_sel:DWORD
	v_or_b32_e32 v43, v36, v35
	;; [unrolled: 3-line block ×4, first 2 shown]
	v_dot4_i32_i8 v35, v42, v41, 0
	v_dot4_i32_i8 v36, v44, v41, 0
	global_load_dword v41, v[4:5], off
	global_load_dword v47, v[4:5], off offset:72
	s_waitcnt vmcnt(5)
	v_mul_lo_u32 v35, v35, v38
	s_waitcnt vmcnt(3)
	v_mul_lo_u32 v36, v36, v40
	v_cvt_f32_i32_e32 v35, v35
	v_cvt_f32_i32_e32 v36, v36
	s_waitcnt vmcnt(1)
	v_fma_mix_f32 v35, v41, v35, 0 op_sel_hi:[1,0,0]
	v_fma_mix_f32 v36, v41, v36, 0 op_sel_hi:[1,0,0]
	v_dot4_i32_i8 v41, v43, v46, 0
	v_mul_lo_u32 v41, v41, v37
	v_cvt_f32_i32_e32 v41, v41
	s_waitcnt vmcnt(0)
	v_fma_mix_f32 v52, v47, v41, v35 op_sel_hi:[1,0,0]
	v_dot4_i32_i8 v35, v45, v46, 0
	v_mul_lo_u32 v35, v35, v39
	v_cvt_f32_i32_e32 v35, v35
	v_fma_mix_f32 v47, v47, v35, v36 op_sel_hi:[1,0,0]
	v_add_u32_e32 v35, s13, v30
	v_mad_u64_u32 v[35:36], s[0:1], v35, 36, v[2:3]
	v_add_co_u32_e32 v48, vcc, v35, v33
	v_addc_co_u32_e32 v49, vcc, 0, v36, vcc
	global_load_dword v41, v[35:36], off
	global_load_dword v46, v[35:36], off offset:72
	global_load_dword v50, v[48:49], off offset:4
	global_load_dword v51, v[48:49], off offset:76
	s_waitcnt vmcnt(1)
	v_dot4_i32_i8 v35, v42, v50, 0
	v_dot4_i32_i8 v36, v44, v50, 0
	v_mul_lo_u32 v35, v35, v38
	v_mul_lo_u32 v36, v36, v40
	v_cvt_f32_i32_e32 v35, v35
	v_cvt_f32_i32_e32 v36, v36
	v_fma_mix_f32 v35, v41, v35, 0 op_sel_hi:[1,0,0]
	v_fma_mix_f32 v36, v41, v36, 0 op_sel_hi:[1,0,0]
	s_waitcnt vmcnt(0)
	v_dot4_i32_i8 v41, v43, v51, 0
	v_mul_lo_u32 v41, v41, v37
	v_cvt_f32_i32_e32 v41, v41
	v_fma_mix_f32 v53, v46, v41, v35 op_sel_hi:[1,0,0]
	v_dot4_i32_i8 v35, v45, v51, 0
	v_mul_lo_u32 v35, v35, v39
	v_cvt_f32_i32_e32 v35, v35
	v_fma_mix_f32 v35, v46, v35, v36 op_sel_hi:[1,0,0]
	v_add_u32_e32 v36, s15, v30
	v_mad_u64_u32 v[48:49], s[0:1], v36, 36, v[2:3]
	v_add_co_u32_e32 v50, vcc, v48, v33
	v_addc_co_u32_e32 v51, vcc, 0, v49, vcc
	global_load_dword v36, v[48:49], off
	global_load_dword v41, v[48:49], off offset:72
	global_load_dword v46, v[50:51], off offset:4
	global_load_dword v54, v[50:51], off offset:76
	s_waitcnt vmcnt(1)
	v_dot4_i32_i8 v48, v42, v46, 0
	v_dot4_i32_i8 v46, v44, v46, 0
	v_mul_lo_u32 v48, v48, v38
	v_mul_lo_u32 v46, v46, v40
	v_cvt_f32_i32_e32 v48, v48
	v_cvt_f32_i32_e32 v46, v46
	v_fma_mix_f32 v48, v36, v48, 0 op_sel_hi:[1,0,0]
	v_fma_mix_f32 v36, v36, v46, 0 op_sel_hi:[1,0,0]
	s_waitcnt vmcnt(0)
	v_dot4_i32_i8 v46, v43, v54, 0
	v_mul_lo_u32 v46, v46, v37
	v_cvt_f32_i32_e32 v46, v46
	;; [unrolled: 26-line block ×4, first 2 shown]
	v_fma_mix_f32 v57, v56, v49, v48 op_sel_hi:[1,0,0]
	v_dot4_i32_i8 v48, v45, v58, 0
	v_mul_lo_u32 v48, v48, v39
	v_cvt_f32_i32_e32 v48, v48
	v_fma_mix_f32 v46, v56, v48, v46 op_sel_hi:[1,0,0]
	v_add_u32_e32 v48, s23, v30
	v_mad_u64_u32 v[48:49], s[0:1], v48, 36, v[2:3]
	v_add_co_u32_e32 v50, vcc, v48, v33
	v_addc_co_u32_e32 v51, vcc, 0, v49, vcc
	global_load_dword v56, v[48:49], off
	global_load_dword v58, v[48:49], off offset:72
	global_load_dword v59, v[50:51], off offset:4
	;; [unrolled: 1-line block ×3, first 2 shown]
	s_waitcnt vmcnt(1)
	v_dot4_i32_i8 v48, v42, v59, 0
	v_dot4_i32_i8 v49, v44, v59, 0
	v_mul_lo_u32 v48, v48, v38
	s_waitcnt vmcnt(0)
	v_dot4_i32_i8 v50, v43, v60, 0
	v_mul_lo_u32 v49, v49, v40
	v_mul_lo_u32 v50, v50, v37
	v_cvt_f32_i32_e32 v48, v48
	v_cvt_f32_i32_e32 v49, v49
	;; [unrolled: 1-line block ×3, first 2 shown]
	v_fma_mix_f32 v48, v56, v48, 0 op_sel_hi:[1,0,0]
	v_fma_mix_f32 v49, v56, v49, 0 op_sel_hi:[1,0,0]
	v_fma_mix_f32 v56, v58, v50, v48 op_sel_hi:[1,0,0]
	v_dot4_i32_i8 v48, v45, v60, 0
	v_mul_lo_u32 v48, v48, v39
	v_cvt_f32_i32_e32 v48, v48
	v_fma_mix_f32 v58, v58, v48, v49 op_sel_hi:[1,0,0]
	v_add_u32_e32 v48, s24, v30
	v_mad_u64_u32 v[48:49], s[0:1], v48, 36, v[2:3]
	v_add_co_u32_e32 v50, vcc, v48, v33
	v_addc_co_u32_e32 v51, vcc, 0, v49, vcc
	global_load_dword v59, v[48:49], off
	global_load_dword v60, v[48:49], off offset:72
	global_load_dword v61, v[50:51], off offset:4
	;; [unrolled: 1-line block ×3, first 2 shown]
	s_waitcnt vmcnt(1)
	v_dot4_i32_i8 v48, v42, v61, 0
	v_dot4_i32_i8 v49, v44, v61, 0
	v_mul_lo_u32 v48, v48, v38
	s_waitcnt vmcnt(0)
	v_dot4_i32_i8 v50, v43, v62, 0
	v_mul_lo_u32 v49, v49, v40
	v_mul_lo_u32 v50, v50, v37
	v_cvt_f32_i32_e32 v48, v48
	v_cvt_f32_i32_e32 v49, v49
	v_cvt_f32_i32_e32 v50, v50
	v_fma_mix_f32 v48, v59, v48, 0 op_sel_hi:[1,0,0]
	v_fma_mix_f32 v49, v59, v49, 0 op_sel_hi:[1,0,0]
	;; [unrolled: 1-line block ×3, first 2 shown]
	v_dot4_i32_i8 v48, v45, v62, 0
	v_mul_lo_u32 v48, v48, v39
	v_cvt_f32_i32_e32 v48, v48
	v_fma_mix_f32 v60, v60, v48, v49 op_sel_hi:[1,0,0]
	v_add_u32_e32 v48, s25, v30
	v_mad_u64_u32 v[48:49], s[0:1], v48, 36, v[2:3]
	v_cmp_le_u32_e64 s[0:1], s9, v24
	v_add_u32_e32 v30, 16, v30
	v_add_co_u32_e32 v50, vcc, v48, v33
	v_addc_co_u32_e32 v51, vcc, 0, v49, vcc
	global_load_dword v61, v[48:49], off
	global_load_dword v62, v[48:49], off offset:72
	global_load_dword v63, v[50:51], off offset:4
                                        ; kill: killed $vgpr48 killed $vgpr49
	s_nop 0
	global_load_dword v48, v[50:51], off offset:76
	v_add_co_u32_e32 v4, vcc, 0x240, v4
	global_load_ushort v8, v[8:9], off offset:208
	s_or_b64 s[16:17], s[0:1], s[16:17]
	global_load_ushort v6, v[6:7], off offset:208
	v_addc_co_u32_e32 v5, vcc, 0, v5, vcc
	s_waitcnt vmcnt(3)
	v_dot4_i32_i8 v42, v42, v63, 0
	v_mul_lo_u32 v38, v42, v38
	s_waitcnt vmcnt(2)
	v_dot4_i32_i8 v43, v43, v48, 0
	v_mul_lo_u32 v37, v43, v37
	v_dot4_i32_i8 v44, v44, v63, 0
	v_dot4_i32_i8 v45, v45, v48, 0
	v_mul_lo_u32 v40, v44, v40
	v_cvt_f32_i32_e32 v38, v38
	v_mul_lo_u32 v39, v45, v39
	v_cvt_f32_i32_e32 v37, v37
	v_cvt_f32_i32_e32 v40, v40
	v_fma_mix_f32 v38, v61, v38, 0 op_sel_hi:[1,0,0]
	s_waitcnt vmcnt(1)
	v_fma_mix_f32 v26, v52, v8, v26 op_sel_hi:[0,1,0]
	v_fma_mix_f32 v37, v62, v37, v38 op_sel_hi:[1,0,0]
	v_cvt_f32_i32_e32 v38, v39
	v_fma_mix_f32 v40, v61, v40, 0 op_sel_hi:[1,0,0]
	v_fma_mix_f32 v23, v53, v8, v23 op_sel_hi:[0,1,0]
	;; [unrolled: 1-line block ×9, first 2 shown]
	s_waitcnt vmcnt(0)
	v_fma_mix_f32 v25, v47, v6, v25 op_sel_hi:[0,1,0]
	v_fma_mix_f32 v22, v35, v6, v22 op_sel_hi:[0,1,0]
	;; [unrolled: 1-line block ×8, first 2 shown]
	s_andn2_b64 exec, exec, s[16:17]
	s_cbranch_execnz .LBB155_2
; %bb.3:
	s_or_b64 exec, exec, s[16:17]
.LBB155_4:
	s_or_b64 exec, exec, s[10:11]
	s_mov_b32 s1, 0
	v_cmp_eq_u32_e32 vcc, 0, v1
	; wave barrier
	s_and_saveexec_b64 s[10:11], vcc
	s_cbranch_execz .LBB155_21
; %bb.5:
	v_mbcnt_lo_u32_b32 v1, -1, 0
	v_mbcnt_hi_u32_b32 v6, -1, v1
	v_and_b32_e32 v1, 64, v6
	v_add_u32_e32 v7, 64, v1
	v_xor_b32_e32 v1, 32, v6
	v_cmp_lt_i32_e32 vcc, v1, v7
	v_cndmask_b32_e32 v1, v6, v1, vcc
	v_lshlrev_b32_e32 v1, 2, v1
	ds_bpermute_b32 v5, v1, v26
	ds_bpermute_b32 v8, v1, v25
	v_xor_b32_e32 v2, 16, v6
	v_cmp_lt_i32_e32 vcc, v2, v7
	v_cndmask_b32_e32 v2, v6, v2, vcc
	v_lshlrev_b32_e32 v2, 2, v2
	s_waitcnt lgkmcnt(1)
	v_add_f32_e32 v5, v26, v5
	s_waitcnt lgkmcnt(0)
	v_add_f32_e32 v8, v25, v8
	ds_bpermute_b32 v24, v2, v5
	ds_bpermute_b32 v25, v2, v8
	v_xor_b32_e32 v3, 8, v6
	v_cmp_lt_i32_e32 vcc, v3, v7
	v_cndmask_b32_e32 v3, v6, v3, vcc
	v_lshlrev_b32_e32 v3, 2, v3
	s_waitcnt lgkmcnt(1)
	v_add_f32_e32 v24, v5, v24
	s_waitcnt lgkmcnt(0)
	v_add_f32_e32 v8, v8, v25
	;; [unrolled: 10-line block ×3, first 2 shown]
	ds_bpermute_b32 v26, v4, v24
	ds_bpermute_b32 v25, v4, v8
	v_xor_b32_e32 v9, 2, v6
	v_cmp_lt_i32_e32 vcc, v9, v7
	v_cndmask_b32_e32 v9, v6, v9, vcc
	v_lshlrev_b32_e32 v5, 2, v9
	v_xor_b32_e32 v9, 1, v6
	v_cmp_lt_i32_e32 vcc, v9, v7
	s_waitcnt lgkmcnt(1)
	v_add_f32_e32 v7, v24, v26
	s_waitcnt lgkmcnt(0)
	v_add_f32_e32 v24, v8, v25
	v_cndmask_b32_e32 v6, v6, v9, vcc
	ds_bpermute_b32 v9, v5, v7
	ds_bpermute_b32 v25, v5, v24
	s_load_dwordx2 s[4:5], s[4:5], 0x38
	s_mul_i32 s2, s2, s7
	v_lshlrev_b32_e32 v8, 2, v6
	s_waitcnt lgkmcnt(0)
	v_add_f32_e32 v6, v7, v9
	v_add_f32_e32 v9, v24, v25
	s_mul_i32 s0, s18, s8
	s_add_i32 s2, s2, s6
	ds_bpermute_b32 v7, v8, v6
	ds_bpermute_b32 v24, v8, v9
	s_add_i32 s0, s2, s0
	s_lshl_b64 s[0:1], s[0:1], 2
	s_add_u32 s2, s4, s0
	v_add_u32_e32 v25, s6, v0
	s_addc_u32 s3, s5, s1
	v_cmp_gt_u32_e32 vcc, 2, v0
	v_cmp_gt_u32_e64 s[0:1], s14, v25
	s_and_b64 s[0:1], vcc, s[0:1]
	s_waitcnt lgkmcnt(1)
	v_add_f32_e32 v6, v6, v7
	s_waitcnt lgkmcnt(0)
	v_add_f32_e32 v7, v9, v24
	s_and_saveexec_b64 s[4:5], s[0:1]
	s_cbranch_execz .LBB155_7
; %bb.6:
	v_cmp_eq_u32_e32 vcc, 1, v0
	v_cndmask_b32_e32 v9, v6, v7, vcc
	v_cmp_eq_u32_e32 vcc, 2, v0
	v_cndmask_b32_e32 v9, v9, v23, vcc
	;; [unrolled: 2-line block ×15, first 2 shown]
	v_lshlrev_b32_e32 v24, 2, v0
	global_store_dword v24, v9, s[2:3]
.LBB155_7:
	s_or_b64 exec, exec, s[4:5]
	ds_bpermute_b32 v9, v1, v23
	ds_bpermute_b32 v24, v1, v22
	s_waitcnt lgkmcnt(1)
	v_add_f32_e32 v9, v23, v9
	s_waitcnt lgkmcnt(0)
	v_add_f32_e32 v22, v22, v24
	ds_bpermute_b32 v23, v2, v9
	ds_bpermute_b32 v24, v2, v22
	s_waitcnt lgkmcnt(1)
	v_add_f32_e32 v9, v9, v23
	s_waitcnt lgkmcnt(0)
	v_add_f32_e32 v22, v22, v24
	ds_bpermute_b32 v23, v3, v9
	ds_bpermute_b32 v24, v3, v22
	s_waitcnt lgkmcnt(1)
	v_add_f32_e32 v9, v9, v23
	s_waitcnt lgkmcnt(0)
	v_add_f32_e32 v22, v22, v24
	ds_bpermute_b32 v23, v4, v9
	ds_bpermute_b32 v24, v4, v22
	s_waitcnt lgkmcnt(1)
	v_add_f32_e32 v9, v9, v23
	s_waitcnt lgkmcnt(0)
	v_add_f32_e32 v22, v22, v24
	ds_bpermute_b32 v23, v5, v9
	ds_bpermute_b32 v24, v5, v22
	s_waitcnt lgkmcnt(1)
	v_add_f32_e32 v9, v9, v23
	s_waitcnt lgkmcnt(0)
	v_add_f32_e32 v23, v22, v24
	ds_bpermute_b32 v22, v8, v9
	ds_bpermute_b32 v24, v8, v23
	s_waitcnt lgkmcnt(1)
	v_add_f32_e32 v22, v9, v22
	s_waitcnt lgkmcnt(0)
	v_add_f32_e32 v9, v23, v24
	s_and_saveexec_b64 s[4:5], s[0:1]
	s_cbranch_execz .LBB155_9
; %bb.8:
	v_add_u32_e32 v23, 2, v0
	v_cmp_eq_u32_e32 vcc, 1, v23
	v_cndmask_b32_e32 v24, v6, v7, vcc
	v_cmp_eq_u32_e32 vcc, 2, v23
	v_cndmask_b32_e32 v24, v24, v22, vcc
	;; [unrolled: 2-line block ×15, first 2 shown]
	v_add_u32_e32 v23, s14, v0
	v_mov_b32_e32 v24, 0
	v_lshlrev_b64 v[23:24], 2, v[23:24]
	v_mov_b32_e32 v26, s3
	v_add_co_u32_e32 v23, vcc, s2, v23
	v_addc_co_u32_e32 v24, vcc, v26, v24, vcc
	global_store_dword v[23:24], v25, off
.LBB155_9:
	s_or_b64 exec, exec, s[4:5]
	ds_bpermute_b32 v23, v1, v21
	ds_bpermute_b32 v24, v1, v20
	s_waitcnt lgkmcnt(1)
	v_add_f32_e32 v21, v21, v23
	s_waitcnt lgkmcnt(0)
	v_add_f32_e32 v20, v20, v24
	ds_bpermute_b32 v23, v2, v21
	ds_bpermute_b32 v24, v2, v20
	s_waitcnt lgkmcnt(1)
	v_add_f32_e32 v21, v21, v23
	s_waitcnt lgkmcnt(0)
	v_add_f32_e32 v20, v20, v24
	;; [unrolled: 6-line block ×6, first 2 shown]
	s_and_saveexec_b64 s[4:5], s[0:1]
	s_cbranch_execz .LBB155_11
; %bb.10:
	v_add_u32_e32 v23, 4, v0
	v_cmp_eq_u32_e32 vcc, 1, v23
	v_cndmask_b32_e32 v24, v6, v7, vcc
	v_cmp_eq_u32_e32 vcc, 2, v23
	v_cndmask_b32_e32 v24, v24, v22, vcc
	;; [unrolled: 2-line block ×15, first 2 shown]
	v_lshl_or_b32 v23, s14, 1, v0
	v_mov_b32_e32 v24, 0
	v_lshlrev_b64 v[23:24], 2, v[23:24]
	v_mov_b32_e32 v26, s3
	v_add_co_u32_e32 v23, vcc, s2, v23
	v_addc_co_u32_e32 v24, vcc, v26, v24, vcc
	global_store_dword v[23:24], v25, off
.LBB155_11:
	s_or_b64 exec, exec, s[4:5]
	ds_bpermute_b32 v23, v1, v19
	ds_bpermute_b32 v24, v1, v18
	s_waitcnt lgkmcnt(1)
	v_add_f32_e32 v19, v19, v23
	s_waitcnt lgkmcnt(0)
	v_add_f32_e32 v18, v18, v24
	ds_bpermute_b32 v23, v2, v19
	ds_bpermute_b32 v24, v2, v18
	s_waitcnt lgkmcnt(1)
	v_add_f32_e32 v19, v19, v23
	s_waitcnt lgkmcnt(0)
	v_add_f32_e32 v18, v18, v24
	;; [unrolled: 6-line block ×6, first 2 shown]
	s_and_saveexec_b64 s[4:5], s[0:1]
	s_cbranch_execz .LBB155_13
; %bb.12:
	v_add_u32_e32 v25, 6, v0
	v_cmp_eq_u32_e32 vcc, 1, v25
	v_cndmask_b32_e32 v23, v6, v7, vcc
	v_cmp_eq_u32_e32 vcc, 2, v25
	v_cndmask_b32_e32 v23, v23, v22, vcc
	;; [unrolled: 2-line block ×14, first 2 shown]
	v_mad_u64_u32 v[23:24], s[6:7], s14, 3, v[0:1]
	v_mov_b32_e32 v24, 0
	v_cmp_eq_u32_e32 vcc, 15, v25
	v_lshlrev_b64 v[23:24], 2, v[23:24]
	v_cndmask_b32_e32 v25, v26, v10, vcc
	v_mov_b32_e32 v26, s3
	v_add_co_u32_e32 v23, vcc, s2, v23
	v_addc_co_u32_e32 v24, vcc, v26, v24, vcc
	global_store_dword v[23:24], v25, off
.LBB155_13:
	s_or_b64 exec, exec, s[4:5]
	ds_bpermute_b32 v23, v1, v17
	ds_bpermute_b32 v24, v1, v16
	s_waitcnt lgkmcnt(1)
	v_add_f32_e32 v17, v17, v23
	s_waitcnt lgkmcnt(0)
	v_add_f32_e32 v16, v16, v24
	ds_bpermute_b32 v23, v2, v17
	ds_bpermute_b32 v24, v2, v16
	s_waitcnt lgkmcnt(1)
	v_add_f32_e32 v17, v17, v23
	s_waitcnt lgkmcnt(0)
	v_add_f32_e32 v16, v16, v24
	;; [unrolled: 6-line block ×6, first 2 shown]
	s_and_saveexec_b64 s[4:5], s[0:1]
	s_cbranch_execz .LBB155_15
; %bb.14:
	v_add_u32_e32 v23, 8, v0
	v_cmp_eq_u32_e32 vcc, 1, v23
	v_cndmask_b32_e32 v24, v6, v7, vcc
	v_cmp_eq_u32_e32 vcc, 2, v23
	v_cndmask_b32_e32 v24, v24, v22, vcc
	;; [unrolled: 2-line block ×15, first 2 shown]
	v_lshl_or_b32 v23, s14, 2, v0
	v_mov_b32_e32 v24, 0
	v_lshlrev_b64 v[23:24], 2, v[23:24]
	v_mov_b32_e32 v26, s3
	v_add_co_u32_e32 v23, vcc, s2, v23
	v_addc_co_u32_e32 v24, vcc, v26, v24, vcc
	global_store_dword v[23:24], v25, off
.LBB155_15:
	s_or_b64 exec, exec, s[4:5]
	ds_bpermute_b32 v23, v1, v15
	ds_bpermute_b32 v24, v1, v14
	s_waitcnt lgkmcnt(1)
	v_add_f32_e32 v15, v15, v23
	s_waitcnt lgkmcnt(0)
	v_add_f32_e32 v14, v14, v24
	ds_bpermute_b32 v23, v2, v15
	ds_bpermute_b32 v24, v2, v14
	s_waitcnt lgkmcnt(1)
	v_add_f32_e32 v15, v15, v23
	s_waitcnt lgkmcnt(0)
	v_add_f32_e32 v14, v14, v24
	;; [unrolled: 6-line block ×6, first 2 shown]
	s_and_saveexec_b64 s[4:5], s[0:1]
	s_cbranch_execz .LBB155_17
; %bb.16:
	v_add_u32_e32 v25, 10, v0
	v_cmp_eq_u32_e32 vcc, 1, v25
	v_cndmask_b32_e32 v23, v6, v7, vcc
	v_cmp_eq_u32_e32 vcc, 2, v25
	v_cndmask_b32_e32 v23, v23, v22, vcc
	;; [unrolled: 2-line block ×14, first 2 shown]
	v_mad_u64_u32 v[23:24], s[6:7], s14, 5, v[0:1]
	v_mov_b32_e32 v24, 0
	v_cmp_eq_u32_e32 vcc, 15, v25
	v_lshlrev_b64 v[23:24], 2, v[23:24]
	v_cndmask_b32_e32 v25, v26, v10, vcc
	v_mov_b32_e32 v26, s3
	v_add_co_u32_e32 v23, vcc, s2, v23
	v_addc_co_u32_e32 v24, vcc, v26, v24, vcc
	global_store_dword v[23:24], v25, off
.LBB155_17:
	s_or_b64 exec, exec, s[4:5]
	ds_bpermute_b32 v23, v1, v13
	ds_bpermute_b32 v24, v1, v12
	s_waitcnt lgkmcnt(1)
	v_add_f32_e32 v13, v13, v23
	s_waitcnt lgkmcnt(0)
	v_add_f32_e32 v12, v12, v24
	ds_bpermute_b32 v23, v2, v13
	ds_bpermute_b32 v24, v2, v12
	s_waitcnt lgkmcnt(1)
	v_add_f32_e32 v13, v13, v23
	s_waitcnt lgkmcnt(0)
	v_add_f32_e32 v12, v12, v24
	;; [unrolled: 6-line block ×6, first 2 shown]
	s_and_saveexec_b64 s[4:5], s[0:1]
	s_cbranch_execz .LBB155_19
; %bb.18:
	v_add_u32_e32 v23, 12, v0
	v_cmp_eq_u32_e32 vcc, 1, v23
	v_cndmask_b32_e32 v24, v6, v7, vcc
	v_cmp_eq_u32_e32 vcc, 2, v23
	v_cndmask_b32_e32 v24, v24, v22, vcc
	;; [unrolled: 2-line block ×14, first 2 shown]
	v_cmp_eq_u32_e32 vcc, 15, v23
	s_mul_i32 s6, s14, 6
	v_cndmask_b32_e32 v25, v24, v10, vcc
	v_or_b32_e32 v23, s6, v0
	v_mov_b32_e32 v24, 0
	v_lshlrev_b64 v[23:24], 2, v[23:24]
	v_mov_b32_e32 v26, s3
	v_add_co_u32_e32 v23, vcc, s2, v23
	v_addc_co_u32_e32 v24, vcc, v26, v24, vcc
	global_store_dword v[23:24], v25, off
.LBB155_19:
	s_or_b64 exec, exec, s[4:5]
	ds_bpermute_b32 v23, v1, v11
	ds_bpermute_b32 v1, v1, v10
	s_waitcnt lgkmcnt(1)
	v_add_f32_e32 v11, v11, v23
	s_waitcnt lgkmcnt(0)
	v_add_f32_e32 v1, v10, v1
	ds_bpermute_b32 v10, v2, v11
	ds_bpermute_b32 v2, v2, v1
	s_waitcnt lgkmcnt(1)
	v_add_f32_e32 v10, v11, v10
	s_waitcnt lgkmcnt(0)
	v_add_f32_e32 v1, v1, v2
	;; [unrolled: 6-line block ×5, first 2 shown]
	ds_bpermute_b32 v3, v8, v1
	ds_bpermute_b32 v4, v8, v2
	s_and_b64 exec, exec, s[0:1]
	s_cbranch_execz .LBB155_21
; %bb.20:
	s_waitcnt lgkmcnt(1)
	v_add_f32_e32 v1, v1, v3
	v_add_u32_e32 v3, 14, v0
	v_cmp_eq_u32_e32 vcc, 1, v3
	s_waitcnt lgkmcnt(0)
	v_add_f32_e32 v2, v2, v4
	v_cndmask_b32_e32 v4, v6, v7, vcc
	v_cmp_eq_u32_e32 vcc, 2, v3
	v_cndmask_b32_e32 v4, v4, v22, vcc
	v_cmp_eq_u32_e32 vcc, 3, v3
	v_cndmask_b32_e32 v4, v4, v9, vcc
	v_cmp_eq_u32_e32 vcc, 4, v3
	v_cndmask_b32_e32 v4, v4, v21, vcc
	v_cmp_eq_u32_e32 vcc, 5, v3
	v_cndmask_b32_e32 v4, v4, v20, vcc
	v_cmp_eq_u32_e32 vcc, 6, v3
	v_cndmask_b32_e32 v4, v4, v19, vcc
	v_cmp_eq_u32_e32 vcc, 7, v3
	v_cndmask_b32_e32 v4, v4, v18, vcc
	v_cmp_eq_u32_e32 vcc, 8, v3
	v_cndmask_b32_e32 v4, v4, v17, vcc
	v_cmp_eq_u32_e32 vcc, 9, v3
	v_cndmask_b32_e32 v4, v4, v16, vcc
	v_cmp_eq_u32_e32 vcc, 10, v3
	v_cndmask_b32_e32 v4, v4, v15, vcc
	v_cmp_eq_u32_e32 vcc, 11, v3
	v_cndmask_b32_e32 v4, v4, v14, vcc
	v_cmp_eq_u32_e32 vcc, 12, v3
	v_cndmask_b32_e32 v4, v4, v13, vcc
	v_cmp_eq_u32_e32 vcc, 13, v3
	v_cndmask_b32_e32 v4, v4, v12, vcc
	v_cmp_eq_u32_e32 vcc, 14, v3
	v_cndmask_b32_e32 v4, v4, v1, vcc
	v_mad_u64_u32 v[0:1], s[0:1], s14, 7, v[0:1]
	v_mov_b32_e32 v1, 0
	v_cmp_eq_u32_e32 vcc, 15, v3
	v_lshlrev_b64 v[0:1], 2, v[0:1]
	v_cndmask_b32_e32 v2, v4, v2, vcc
	v_mov_b32_e32 v3, s3
	v_add_co_u32_e32 v0, vcc, s2, v0
	v_addc_co_u32_e32 v1, vcc, v3, v1, vcc
	global_store_dword v[0:1], v2, off
.LBB155_21:
	s_endpgm
	.section	.rodata,"a",@progbits
	.p2align	6, 0x0
	.amdhsa_kernel _ZL13mul_mat_vec_qIL9ggml_type14ELi8ELb0ELb0EEvPKvS2_PKi31ggml_cuda_mm_fusion_args_devicePfj15HIP_vector_typeIjLj3EEjjjS8_jjjS8_jjjj
		.amdhsa_group_segment_fixed_size 0
		.amdhsa_private_segment_fixed_size 0
		.amdhsa_kernarg_size 144
		.amdhsa_user_sgpr_count 6
		.amdhsa_user_sgpr_private_segment_buffer 1
		.amdhsa_user_sgpr_dispatch_ptr 0
		.amdhsa_user_sgpr_queue_ptr 0
		.amdhsa_user_sgpr_kernarg_segment_ptr 1
		.amdhsa_user_sgpr_dispatch_id 0
		.amdhsa_user_sgpr_flat_scratch_init 0
		.amdhsa_user_sgpr_private_segment_size 0
		.amdhsa_uses_dynamic_stack 0
		.amdhsa_system_sgpr_private_segment_wavefront_offset 0
		.amdhsa_system_sgpr_workgroup_id_x 1
		.amdhsa_system_sgpr_workgroup_id_y 1
		.amdhsa_system_sgpr_workgroup_id_z 1
		.amdhsa_system_sgpr_workgroup_info 0
		.amdhsa_system_vgpr_workitem_id 1
		.amdhsa_next_free_vgpr 64
		.amdhsa_next_free_sgpr 30
		.amdhsa_reserve_vcc 1
		.amdhsa_reserve_flat_scratch 0
		.amdhsa_float_round_mode_32 0
		.amdhsa_float_round_mode_16_64 0
		.amdhsa_float_denorm_mode_32 3
		.amdhsa_float_denorm_mode_16_64 3
		.amdhsa_dx10_clamp 1
		.amdhsa_ieee_mode 1
		.amdhsa_fp16_overflow 0
		.amdhsa_exception_fp_ieee_invalid_op 0
		.amdhsa_exception_fp_denorm_src 0
		.amdhsa_exception_fp_ieee_div_zero 0
		.amdhsa_exception_fp_ieee_overflow 0
		.amdhsa_exception_fp_ieee_underflow 0
		.amdhsa_exception_fp_ieee_inexact 0
		.amdhsa_exception_int_div_zero 0
	.end_amdhsa_kernel
	.section	.text._ZL13mul_mat_vec_qIL9ggml_type14ELi8ELb0ELb0EEvPKvS2_PKi31ggml_cuda_mm_fusion_args_devicePfj15HIP_vector_typeIjLj3EEjjjS8_jjjS8_jjjj,"axG",@progbits,_ZL13mul_mat_vec_qIL9ggml_type14ELi8ELb0ELb0EEvPKvS2_PKi31ggml_cuda_mm_fusion_args_devicePfj15HIP_vector_typeIjLj3EEjjjS8_jjjS8_jjjj,comdat
.Lfunc_end155:
	.size	_ZL13mul_mat_vec_qIL9ggml_type14ELi8ELb0ELb0EEvPKvS2_PKi31ggml_cuda_mm_fusion_args_devicePfj15HIP_vector_typeIjLj3EEjjjS8_jjjS8_jjjj, .Lfunc_end155-_ZL13mul_mat_vec_qIL9ggml_type14ELi8ELb0ELb0EEvPKvS2_PKi31ggml_cuda_mm_fusion_args_devicePfj15HIP_vector_typeIjLj3EEjjjS8_jjjS8_jjjj
                                        ; -- End function
	.set _ZL13mul_mat_vec_qIL9ggml_type14ELi8ELb0ELb0EEvPKvS2_PKi31ggml_cuda_mm_fusion_args_devicePfj15HIP_vector_typeIjLj3EEjjjS8_jjjS8_jjjj.num_vgpr, 64
	.set _ZL13mul_mat_vec_qIL9ggml_type14ELi8ELb0ELb0EEvPKvS2_PKi31ggml_cuda_mm_fusion_args_devicePfj15HIP_vector_typeIjLj3EEjjjS8_jjjS8_jjjj.num_agpr, 0
	.set _ZL13mul_mat_vec_qIL9ggml_type14ELi8ELb0ELb0EEvPKvS2_PKi31ggml_cuda_mm_fusion_args_devicePfj15HIP_vector_typeIjLj3EEjjjS8_jjjS8_jjjj.numbered_sgpr, 30
	.set _ZL13mul_mat_vec_qIL9ggml_type14ELi8ELb0ELb0EEvPKvS2_PKi31ggml_cuda_mm_fusion_args_devicePfj15HIP_vector_typeIjLj3EEjjjS8_jjjS8_jjjj.num_named_barrier, 0
	.set _ZL13mul_mat_vec_qIL9ggml_type14ELi8ELb0ELb0EEvPKvS2_PKi31ggml_cuda_mm_fusion_args_devicePfj15HIP_vector_typeIjLj3EEjjjS8_jjjS8_jjjj.private_seg_size, 0
	.set _ZL13mul_mat_vec_qIL9ggml_type14ELi8ELb0ELb0EEvPKvS2_PKi31ggml_cuda_mm_fusion_args_devicePfj15HIP_vector_typeIjLj3EEjjjS8_jjjS8_jjjj.uses_vcc, 1
	.set _ZL13mul_mat_vec_qIL9ggml_type14ELi8ELb0ELb0EEvPKvS2_PKi31ggml_cuda_mm_fusion_args_devicePfj15HIP_vector_typeIjLj3EEjjjS8_jjjS8_jjjj.uses_flat_scratch, 0
	.set _ZL13mul_mat_vec_qIL9ggml_type14ELi8ELb0ELb0EEvPKvS2_PKi31ggml_cuda_mm_fusion_args_devicePfj15HIP_vector_typeIjLj3EEjjjS8_jjjS8_jjjj.has_dyn_sized_stack, 0
	.set _ZL13mul_mat_vec_qIL9ggml_type14ELi8ELb0ELb0EEvPKvS2_PKi31ggml_cuda_mm_fusion_args_devicePfj15HIP_vector_typeIjLj3EEjjjS8_jjjS8_jjjj.has_recursion, 0
	.set _ZL13mul_mat_vec_qIL9ggml_type14ELi8ELb0ELb0EEvPKvS2_PKi31ggml_cuda_mm_fusion_args_devicePfj15HIP_vector_typeIjLj3EEjjjS8_jjjS8_jjjj.has_indirect_call, 0
	.section	.AMDGPU.csdata,"",@progbits
; Kernel info:
; codeLenInByte = 5748
; TotalNumSgprs: 34
; NumVgprs: 64
; ScratchSize: 0
; MemoryBound: 0
; FloatMode: 240
; IeeeMode: 1
; LDSByteSize: 0 bytes/workgroup (compile time only)
; SGPRBlocks: 4
; VGPRBlocks: 15
; NumSGPRsForWavesPerEU: 34
; NumVGPRsForWavesPerEU: 64
; Occupancy: 4
; WaveLimiterHint : 0
; COMPUTE_PGM_RSRC2:SCRATCH_EN: 0
; COMPUTE_PGM_RSRC2:USER_SGPR: 6
; COMPUTE_PGM_RSRC2:TRAP_HANDLER: 0
; COMPUTE_PGM_RSRC2:TGID_X_EN: 1
; COMPUTE_PGM_RSRC2:TGID_Y_EN: 1
; COMPUTE_PGM_RSRC2:TGID_Z_EN: 1
; COMPUTE_PGM_RSRC2:TIDIG_COMP_CNT: 1
	.section	.text._ZL17mul_mat_vec_q_moeIL9ggml_type16ELi2EEvPKvS2_PKiPfj15HIP_vector_typeIjLj3EEjjjjjjjjj,"axG",@progbits,_ZL17mul_mat_vec_q_moeIL9ggml_type16ELi2EEvPKvS2_PKiPfj15HIP_vector_typeIjLj3EEjjjjjjjjj,comdat
	.globl	_ZL17mul_mat_vec_q_moeIL9ggml_type16ELi2EEvPKvS2_PKiPfj15HIP_vector_typeIjLj3EEjjjjjjjjj ; -- Begin function _ZL17mul_mat_vec_q_moeIL9ggml_type16ELi2EEvPKvS2_PKiPfj15HIP_vector_typeIjLj3EEjjjjjjjjj
	.p2align	8
	.type	_ZL17mul_mat_vec_q_moeIL9ggml_type16ELi2EEvPKvS2_PKiPfj15HIP_vector_typeIjLj3EEjjjjjjjjj,@function
_ZL17mul_mat_vec_q_moeIL9ggml_type16ELi2EEvPKvS2_PKiPfj15HIP_vector_typeIjLj3EEjjjjjjjjj: ; @_ZL17mul_mat_vec_q_moeIL9ggml_type16ELi2EEvPKvS2_PKiPfj15HIP_vector_typeIjLj3EEjjjjjjjjj
; %bb.0:
	s_load_dwordx8 s[8:15], s[4:5], 0x30
	s_waitcnt lgkmcnt(0)
	v_cmp_gt_u32_e32 vcc, s15, v1
	s_and_saveexec_b64 s[0:1], vcc
	s_cbranch_execz .LBB156_7
; %bb.1:
	s_load_dword s1, s[4:5], 0x20
	s_load_dword s0, s[4:5], 0x50
	s_load_dwordx8 s[16:23], s[4:5], 0x0
	v_lshrrev_b32_e32 v17, 3, v0
	s_lshl_b32 s6, s6, 1
	s_waitcnt lgkmcnt(0)
	s_lshr_b32 s15, s1, 8
	v_cmp_gt_u32_e32 vcc, s15, v17
	v_mov_b32_e32 v19, 0
	v_mov_b32_e32 v18, 0
	s_and_saveexec_b64 s[24:25], vcc
	s_cbranch_execz .LBB156_5
; %bb.2:
	v_mul_lo_u32 v2, s0, v1
	v_mov_b32_e32 v10, 0
	v_mov_b32_e32 v4, s21
	s_load_dwordx4 s[0:3], s[4:5], 0x24
	v_add_u32_e32 v9, s7, v2
	v_lshlrev_b64 v[2:3], 2, v[9:10]
	v_mov_b32_e32 v11, s16
	v_add_co_u32_e32 v2, vcc, s20, v2
	v_addc_co_u32_e32 v3, vcc, v4, v3, vcc
	global_load_dword v4, v[2:3], off
	v_mul_lo_u32 v2, s10, v1
	v_mov_b32_e32 v12, s17
	s_waitcnt lgkmcnt(0)
	s_mul_hi_u32 s0, s0, s7
	s_add_i32 s0, s7, s0
	v_mad_u64_u32 v[2:3], s[16:17], v2, 36, 0
	v_lshrrev_b32_e32 v7, 3, v0
	s_movk_i32 s27, 0x120
	s_lshr_b32 s0, s0, s1
	s_mul_i32 s2, s0, s2
	v_mad_u64_u32 v[2:3], s[0:1], v7, s27, v[2:3]
	s_sub_i32 s0, s7, s2
	s_mul_i32 s0, s0, s13
	v_mad_u64_u32 v[2:3], s[0:1], s0, 36, v[2:3]
	v_and_b32_e32 v6, 7, v0
	v_lshlrev_b32_e32 v5, 1, v0
	v_mad_u64_u32 v[2:3], s[0:1], v6, 36, v[2:3]
	v_mov_b32_e32 v8, s19
	s_add_i32 s26, s6, 1
	v_add_co_u32_e32 v2, vcc, s18, v2
	v_and_b32_e32 v5, 14, v5
	v_addc_co_u32_e32 v3, vcc, v8, v3, vcc
	s_mul_i32 s21, s6, s9
	s_mul_i32 s2, s9, s26
	v_lshlrev_b32_e32 v5, 1, v5
	v_add_co_u32_e32 v13, vcc, 32, v2
	s_mov_b64 s[4:5], 0
	s_movk_i32 s3, 0x42
	s_mov_b32 s10, 0x1010101
	s_movk_i32 s19, 0xff00
	s_mov_b32 s20, 0xc0c0105
	v_mov_b32_e32 v20, 3
	v_mov_b32_e32 v21, 8
	;; [unrolled: 1-line block ×3, first 2 shown]
	v_lshlrev_b32_e32 v22, 1, v5
	v_addc_co_u32_e32 v14, vcc, 0, v3, vcc
	v_mov_b32_e32 v19, 0
	s_waitcnt vmcnt(0)
	v_mul_lo_u32 v4, v4, s12
	v_add_u32_e32 v23, s21, v4
	v_add_u32_e32 v24, s2, v4
.LBB156_3:                              ; =>This Inner Loop Header: Depth=1
	v_add_u32_e32 v15, v23, v17
	v_mad_i64_i32 v[15:16], s[0:1], v15, s3, v[11:12]
	global_load_dword v25, v[13:14], off
	global_load_dwordx4 v[2:5], v[13:14], off offset:-16
	global_load_dwordx4 v[6:9], v[13:14], off offset:-32
	s_getpc_b64 s[0:1]
	s_add_u32 s0, s0, _ZL11iq2xxs_grid@rel32@lo+4
	s_addc_u32 s1, s1, _ZL11iq2xxs_grid@rel32@hi+12
	v_add_co_u32_e32 v26, vcc, v15, v22
	v_addc_co_u32_e32 v27, vcc, 0, v16, vcc
	global_load_dwordx2 v[26:27], v[26:27], off offset:2
	s_waitcnt vmcnt(1)
	v_cvt_f32_f16_e32 v6, v6
	global_load_ushort v15, v[15:16], off
	s_waitcnt vmcnt(1)
	v_lshlrev_b32_sdwa v28, v20, v26 dst_sel:DWORD dst_unused:UNUSED_PAD src0_sel:DWORD src1_sel:BYTE_0
	global_load_dwordx2 v[28:29], v28, s[0:1]
	v_and_b32_e32 v30, 0xff, v27
	v_bcnt_u32_b32 v31, v30, 0
	v_and_b32_e32 v31, 1, v31
	v_lshlrev_b32_e32 v31, 7, v31
	v_xor_b32_e32 v30, v31, v30
	v_mul_lo_u32 v30, v30, s10
	v_and_b32_e32 v31, 0x8040201, v30
	v_cmp_ne_u16_sdwa s[12:13], v31, v10 src0_sel:BYTE_3 src1_sel:DWORD
	v_cmp_ne_u16_sdwa s[16:17], v31, v10 src0_sel:BYTE_1 src1_sel:DWORD
	v_lshrrev_b32_e32 v32, 18, v30
	v_cndmask_b32_e64 v33, 0, -1, s[16:17]
	v_cndmask_b32_e64 v35, 0, -1, s[12:13]
	v_bfe_i32 v31, v30, 0, 1
	v_lshlrev_b16_e32 v33, 8, v33
	v_bfe_i32 v32, v32, 0, 1
	v_lshlrev_b16_e32 v35, 8, v35
	v_or_b32_sdwa v34, v31, v33 dst_sel:DWORD dst_unused:UNUSED_PAD src0_sel:BYTE_0 src1_sel:DWORD
	v_or_b32_sdwa v36, v32, v35 dst_sel:WORD_1 dst_unused:UNUSED_PAD src0_sel:BYTE_0 src1_sel:DWORD
	v_or_b32_sdwa v34, v34, v36 dst_sel:DWORD dst_unused:UNUSED_PAD src0_sel:WORD_0 src1_sel:DWORD
	v_lshlrev_b16_e32 v31, 8, v31
	v_lshlrev_b16_e32 v32, 8, v32
	s_waitcnt vmcnt(1)
	v_cvt_f32_f16_e32 v15, v15
	v_mul_f32_e32 v15, v15, v6
	s_waitcnt vmcnt(0)
	v_xor_b32_e32 v28, v28, v34
	v_and_b32_e32 v34, 0xffffff00, v28
	v_sub_i16 v33, v34, v33 clamp
	v_lshlrev_b16_e32 v34, 8, v28
	v_sub_i16 v31, v34, v31 clamp
	v_perm_b32 v31, v31, v33, s20
	v_and_b32_sdwa v33, v28, s19 dst_sel:DWORD dst_unused:UNUSED_PAD src0_sel:WORD_1 src1_sel:DWORD
	v_lshlrev_b16_sdwa v28, v21, v28 dst_sel:DWORD dst_unused:UNUSED_PAD src0_sel:DWORD src1_sel:WORD_1
	v_sub_i16 v33, v33, v35 clamp
	v_sub_i16 v28, v28, v32 clamp
	v_perm_b32 v28, v28, v33, s20
	v_lshl_or_b32 v28, v28, 16, v31
	v_and_b32_e32 v31, 0x80402010, v30
	v_cmp_ne_u16_sdwa s[12:13], v31, v10 src0_sel:BYTE_3 src1_sel:DWORD
	v_cmp_ne_u16_sdwa s[16:17], v31, v10 src0_sel:BYTE_1 src1_sel:DWORD
	v_lshrrev_b32_e32 v30, 22, v30
	v_lshrrev_b16_e32 v31, 4, v31
	v_cndmask_b32_e64 v32, 0, -1, s[16:17]
	v_cndmask_b32_e64 v34, 0, -1, s[12:13]
	v_bfe_i32 v31, v31, 0, 1
	v_lshlrev_b16_e32 v32, 8, v32
	v_bfe_i32 v30, v30, 0, 1
	v_lshlrev_b16_e32 v34, 8, v34
	v_or_b32_sdwa v33, v31, v32 dst_sel:DWORD dst_unused:UNUSED_PAD src0_sel:BYTE_0 src1_sel:DWORD
	v_or_b32_sdwa v35, v30, v34 dst_sel:WORD_1 dst_unused:UNUSED_PAD src0_sel:BYTE_0 src1_sel:DWORD
	v_or_b32_sdwa v33, v33, v35 dst_sel:DWORD dst_unused:UNUSED_PAD src0_sel:WORD_0 src1_sel:DWORD
	v_xor_b32_e32 v29, v29, v33
	v_and_b32_e32 v33, 0xffffff00, v29
	v_sub_i16 v32, v33, v32 clamp
	v_lshlrev_b16_e32 v33, 8, v29
	v_lshlrev_b16_e32 v31, 8, v31
	v_sub_i16 v31, v33, v31 clamp
	v_perm_b32 v31, v31, v32, s20
	v_and_b32_sdwa v32, v29, s19 dst_sel:DWORD dst_unused:UNUSED_PAD src0_sel:WORD_1 src1_sel:DWORD
	v_lshlrev_b16_sdwa v29, v21, v29 dst_sel:DWORD dst_unused:UNUSED_PAD src0_sel:DWORD src1_sel:WORD_1
	v_lshlrev_b16_e32 v30, 8, v30
	v_sub_i16 v32, v32, v34 clamp
	v_sub_i16 v29, v29, v30 clamp
	v_perm_b32 v29, v29, v32, s20
	v_dot4_i32_i8 v28, v28, v7, 0
	v_lshl_or_b32 v29, v29, 16, v31
	v_dot4_i32_i8 v30, v29, v8, v28
	v_lshlrev_b32_sdwa v28, v20, v26 dst_sel:DWORD dst_unused:UNUSED_PAD src0_sel:DWORD src1_sel:BYTE_1
	global_load_dwordx2 v[28:29], v28, s[0:1]
	v_bfe_u32 v31, v27, 7, 8
	v_bcnt_u32_b32 v32, v31, 0
	v_and_b32_e32 v32, 1, v32
	v_lshlrev_b32_e32 v32, 7, v32
	v_xor_b32_e32 v31, v32, v31
	v_mul_lo_u32 v31, v31, s10
	v_and_b32_e32 v32, 0x8040201, v31
	v_cmp_ne_u16_sdwa s[12:13], v32, v10 src0_sel:BYTE_3 src1_sel:DWORD
	v_cmp_ne_u16_sdwa s[16:17], v32, v10 src0_sel:BYTE_1 src1_sel:DWORD
	v_lshrrev_b32_e32 v33, 18, v31
	v_cndmask_b32_e64 v34, 0, -1, s[16:17]
	v_cndmask_b32_e64 v36, 0, -1, s[12:13]
	v_bfe_i32 v32, v31, 0, 1
	v_lshlrev_b16_e32 v34, 8, v34
	v_bfe_i32 v33, v33, 0, 1
	v_lshlrev_b16_e32 v36, 8, v36
	v_or_b32_sdwa v35, v32, v34 dst_sel:DWORD dst_unused:UNUSED_PAD src0_sel:BYTE_0 src1_sel:DWORD
	v_or_b32_sdwa v37, v33, v36 dst_sel:WORD_1 dst_unused:UNUSED_PAD src0_sel:BYTE_0 src1_sel:DWORD
	v_or_b32_sdwa v35, v35, v37 dst_sel:DWORD dst_unused:UNUSED_PAD src0_sel:WORD_0 src1_sel:DWORD
	v_lshlrev_b16_e32 v32, 8, v32
	v_lshlrev_b16_e32 v33, 8, v33
	s_waitcnt vmcnt(0)
	v_xor_b32_e32 v28, v28, v35
	v_and_b32_e32 v35, 0xffffff00, v28
	v_sub_i16 v34, v35, v34 clamp
	v_lshlrev_b16_e32 v35, 8, v28
	v_sub_i16 v32, v35, v32 clamp
	v_perm_b32 v32, v32, v34, s20
	v_and_b32_sdwa v34, v28, s19 dst_sel:DWORD dst_unused:UNUSED_PAD src0_sel:WORD_1 src1_sel:DWORD
	v_lshlrev_b16_sdwa v28, v21, v28 dst_sel:DWORD dst_unused:UNUSED_PAD src0_sel:DWORD src1_sel:WORD_1
	v_sub_i16 v34, v34, v36 clamp
	v_sub_i16 v28, v28, v33 clamp
	v_perm_b32 v28, v28, v34, s20
	v_lshl_or_b32 v28, v28, 16, v32
	v_dot4_i32_i8 v28, v28, v9, v30
	v_and_b32_e32 v30, 0x80402010, v31
	v_cmp_ne_u16_sdwa s[12:13], v30, v10 src0_sel:BYTE_3 src1_sel:DWORD
	v_cmp_ne_u16_sdwa s[16:17], v30, v10 src0_sel:BYTE_1 src1_sel:DWORD
	v_lshrrev_b32_e32 v31, 22, v31
	v_lshrrev_b16_e32 v30, 4, v30
	v_cndmask_b32_e64 v32, 0, -1, s[16:17]
	v_cndmask_b32_e64 v34, 0, -1, s[12:13]
	v_bfe_i32 v30, v30, 0, 1
	v_lshlrev_b16_e32 v32, 8, v32
	v_bfe_i32 v31, v31, 0, 1
	v_lshlrev_b16_e32 v34, 8, v34
	v_or_b32_sdwa v33, v30, v32 dst_sel:DWORD dst_unused:UNUSED_PAD src0_sel:BYTE_0 src1_sel:DWORD
	v_or_b32_sdwa v35, v31, v34 dst_sel:WORD_1 dst_unused:UNUSED_PAD src0_sel:BYTE_0 src1_sel:DWORD
	v_or_b32_sdwa v33, v33, v35 dst_sel:DWORD dst_unused:UNUSED_PAD src0_sel:WORD_0 src1_sel:DWORD
	v_xor_b32_e32 v29, v29, v33
	v_and_b32_e32 v33, 0xffffff00, v29
	v_sub_i16 v32, v33, v32 clamp
	v_lshlrev_b16_e32 v33, 8, v29
	v_lshlrev_b16_e32 v30, 8, v30
	v_sub_i16 v30, v33, v30 clamp
	v_perm_b32 v30, v30, v32, s20
	v_and_b32_sdwa v32, v29, s19 dst_sel:DWORD dst_unused:UNUSED_PAD src0_sel:WORD_1 src1_sel:DWORD
	v_lshlrev_b16_sdwa v29, v21, v29 dst_sel:DWORD dst_unused:UNUSED_PAD src0_sel:DWORD src1_sel:WORD_1
	v_lshlrev_b16_e32 v31, 8, v31
	v_sub_i16 v32, v32, v34 clamp
	v_sub_i16 v29, v29, v31 clamp
	v_perm_b32 v29, v29, v32, s20
	v_lshl_or_b32 v29, v29, 16, v30
	v_dot4_i32_i8 v30, v29, v2, v28
	v_lshlrev_b32_sdwa v28, v20, v26 dst_sel:DWORD dst_unused:UNUSED_PAD src0_sel:DWORD src1_sel:BYTE_2
	global_load_dwordx2 v[28:29], v28, s[0:1]
	v_bfe_u32 v31, v27, 14, 8
	v_bcnt_u32_b32 v32, v31, 0
	v_and_b32_e32 v32, 1, v32
	v_lshlrev_b32_e32 v32, 7, v32
	v_xor_b32_e32 v31, v32, v31
	v_mul_lo_u32 v31, v31, s10
	v_lshlrev_b32_sdwa v26, v20, v26 dst_sel:DWORD dst_unused:UNUSED_PAD src0_sel:DWORD src1_sel:BYTE_3
	v_and_b32_e32 v32, 0x8040201, v31
	v_cmp_ne_u16_sdwa s[12:13], v32, v10 src0_sel:BYTE_3 src1_sel:DWORD
	v_cmp_ne_u16_sdwa s[16:17], v32, v10 src0_sel:BYTE_1 src1_sel:DWORD
	v_lshrrev_b32_e32 v33, 18, v31
	v_cndmask_b32_e64 v34, 0, -1, s[16:17]
	v_cndmask_b32_e64 v36, 0, -1, s[12:13]
	v_bfe_i32 v32, v31, 0, 1
	v_lshlrev_b16_e32 v34, 8, v34
	v_bfe_i32 v33, v33, 0, 1
	v_lshlrev_b16_e32 v36, 8, v36
	v_or_b32_sdwa v35, v32, v34 dst_sel:DWORD dst_unused:UNUSED_PAD src0_sel:BYTE_0 src1_sel:DWORD
	v_or_b32_sdwa v37, v33, v36 dst_sel:WORD_1 dst_unused:UNUSED_PAD src0_sel:BYTE_0 src1_sel:DWORD
	v_or_b32_sdwa v35, v35, v37 dst_sel:DWORD dst_unused:UNUSED_PAD src0_sel:WORD_0 src1_sel:DWORD
	v_lshlrev_b16_e32 v32, 8, v32
	v_lshlrev_b16_e32 v33, 8, v33
	s_waitcnt vmcnt(0)
	v_xor_b32_e32 v28, v28, v35
	v_and_b32_e32 v35, 0xffffff00, v28
	v_sub_i16 v34, v35, v34 clamp
	v_lshlrev_b16_e32 v35, 8, v28
	v_sub_i16 v32, v35, v32 clamp
	v_perm_b32 v32, v32, v34, s20
	v_and_b32_sdwa v34, v28, s19 dst_sel:DWORD dst_unused:UNUSED_PAD src0_sel:WORD_1 src1_sel:DWORD
	v_lshlrev_b16_sdwa v28, v21, v28 dst_sel:DWORD dst_unused:UNUSED_PAD src0_sel:DWORD src1_sel:WORD_1
	v_sub_i16 v34, v34, v36 clamp
	v_sub_i16 v28, v28, v33 clamp
	v_perm_b32 v28, v28, v34, s20
	v_lshl_or_b32 v28, v28, 16, v32
	v_dot4_i32_i8 v28, v28, v3, v30
	v_and_b32_e32 v30, 0x80402010, v31
	v_cmp_ne_u16_sdwa s[12:13], v30, v10 src0_sel:BYTE_3 src1_sel:DWORD
	v_cmp_ne_u16_sdwa s[16:17], v30, v10 src0_sel:BYTE_1 src1_sel:DWORD
	v_lshrrev_b32_e32 v31, 22, v31
	v_lshrrev_b16_e32 v30, 4, v30
	v_cndmask_b32_e64 v32, 0, -1, s[16:17]
	v_cndmask_b32_e64 v34, 0, -1, s[12:13]
	v_bfe_i32 v30, v30, 0, 1
	v_lshlrev_b16_e32 v32, 8, v32
	v_bfe_i32 v31, v31, 0, 1
	v_lshlrev_b16_e32 v34, 8, v34
	v_or_b32_sdwa v33, v30, v32 dst_sel:DWORD dst_unused:UNUSED_PAD src0_sel:BYTE_0 src1_sel:DWORD
	v_or_b32_sdwa v35, v31, v34 dst_sel:WORD_1 dst_unused:UNUSED_PAD src0_sel:BYTE_0 src1_sel:DWORD
	v_or_b32_sdwa v33, v33, v35 dst_sel:DWORD dst_unused:UNUSED_PAD src0_sel:WORD_0 src1_sel:DWORD
	v_xor_b32_e32 v29, v29, v33
	v_and_b32_e32 v33, 0xffffff00, v29
	v_sub_i16 v32, v33, v32 clamp
	v_lshlrev_b16_e32 v33, 8, v29
	v_lshlrev_b16_e32 v30, 8, v30
	v_sub_i16 v30, v33, v30 clamp
	v_perm_b32 v30, v30, v32, s20
	v_and_b32_sdwa v32, v29, s19 dst_sel:DWORD dst_unused:UNUSED_PAD src0_sel:WORD_1 src1_sel:DWORD
	v_lshlrev_b16_sdwa v29, v21, v29 dst_sel:DWORD dst_unused:UNUSED_PAD src0_sel:DWORD src1_sel:WORD_1
	v_lshlrev_b16_e32 v31, 8, v31
	v_sub_i16 v32, v32, v34 clamp
	v_sub_i16 v29, v29, v31 clamp
	v_perm_b32 v29, v29, v32, s20
	v_lshl_or_b32 v29, v29, 16, v30
	v_dot4_i32_i8 v30, v29, v4, v28
	global_load_dwordx2 v[28:29], v26, s[0:1]
	v_bfe_u32 v26, v27, 21, 8
	v_bcnt_u32_b32 v31, v26, 0
	v_and_b32_e32 v31, 1, v31
	v_lshlrev_b32_e32 v31, 7, v31
	v_xor_b32_e32 v26, v31, v26
	v_mul_lo_u32 v26, v26, s10
	v_lshrrev_b32_e32 v27, 27, v27
	v_or_b32_e32 v27, 1, v27
	v_and_b32_e32 v31, 0x8040201, v26
	v_cmp_ne_u16_sdwa s[12:13], v31, v10 src0_sel:BYTE_3 src1_sel:DWORD
	v_cmp_ne_u16_sdwa s[16:17], v31, v10 src0_sel:BYTE_1 src1_sel:DWORD
	v_lshrrev_b32_e32 v32, 18, v26
	v_cndmask_b32_e64 v33, 0, -1, s[16:17]
	v_cndmask_b32_e64 v35, 0, -1, s[12:13]
	v_bfe_i32 v31, v26, 0, 1
	v_lshlrev_b16_e32 v33, 8, v33
	v_bfe_i32 v32, v32, 0, 1
	v_lshlrev_b16_e32 v35, 8, v35
	v_or_b32_sdwa v34, v31, v33 dst_sel:DWORD dst_unused:UNUSED_PAD src0_sel:BYTE_0 src1_sel:DWORD
	v_or_b32_sdwa v36, v32, v35 dst_sel:WORD_1 dst_unused:UNUSED_PAD src0_sel:BYTE_0 src1_sel:DWORD
	v_or_b32_sdwa v34, v34, v36 dst_sel:DWORD dst_unused:UNUSED_PAD src0_sel:WORD_0 src1_sel:DWORD
	v_lshlrev_b16_e32 v31, 8, v31
	v_lshlrev_b16_e32 v32, 8, v32
	s_waitcnt vmcnt(0)
	v_xor_b32_e32 v28, v28, v34
	v_and_b32_e32 v34, 0xffffff00, v28
	v_sub_i16 v33, v34, v33 clamp
	v_lshlrev_b16_e32 v34, 8, v28
	v_sub_i16 v31, v34, v31 clamp
	v_perm_b32 v31, v31, v33, s20
	v_and_b32_sdwa v33, v28, s19 dst_sel:DWORD dst_unused:UNUSED_PAD src0_sel:WORD_1 src1_sel:DWORD
	v_lshlrev_b16_sdwa v28, v21, v28 dst_sel:DWORD dst_unused:UNUSED_PAD src0_sel:DWORD src1_sel:WORD_1
	v_sub_i16 v33, v33, v35 clamp
	v_sub_i16 v28, v28, v32 clamp
	v_perm_b32 v28, v28, v33, s20
	v_lshl_or_b32 v28, v28, 16, v31
	v_dot4_i32_i8 v28, v28, v5, v30
	v_and_b32_e32 v30, 0x80402010, v26
	v_cmp_ne_u16_sdwa s[12:13], v30, v10 src0_sel:BYTE_3 src1_sel:DWORD
	v_cmp_ne_u16_sdwa s[16:17], v30, v10 src0_sel:BYTE_1 src1_sel:DWORD
	v_lshrrev_b32_e32 v26, 22, v26
	v_lshrrev_b16_e32 v30, 4, v30
	v_cndmask_b32_e64 v31, 0, -1, s[16:17]
	v_cndmask_b32_e64 v33, 0, -1, s[12:13]
	v_bfe_i32 v30, v30, 0, 1
	v_lshlrev_b16_e32 v31, 8, v31
	v_bfe_i32 v26, v26, 0, 1
	v_lshlrev_b16_e32 v33, 8, v33
	v_or_b32_sdwa v32, v30, v31 dst_sel:DWORD dst_unused:UNUSED_PAD src0_sel:BYTE_0 src1_sel:DWORD
	v_or_b32_sdwa v34, v26, v33 dst_sel:WORD_1 dst_unused:UNUSED_PAD src0_sel:BYTE_0 src1_sel:DWORD
	v_or_b32_sdwa v32, v32, v34 dst_sel:DWORD dst_unused:UNUSED_PAD src0_sel:WORD_0 src1_sel:DWORD
	v_xor_b32_e32 v29, v29, v32
	v_and_b32_e32 v32, 0xffffff00, v29
	v_sub_i16 v31, v32, v31 clamp
	v_lshlrev_b16_e32 v32, 8, v29
	v_lshlrev_b16_e32 v30, 8, v30
	v_sub_i16 v30, v32, v30 clamp
	v_perm_b32 v30, v30, v31, s20
	v_and_b32_sdwa v31, v29, s19 dst_sel:DWORD dst_unused:UNUSED_PAD src0_sel:WORD_1 src1_sel:DWORD
	v_lshlrev_b16_sdwa v29, v21, v29 dst_sel:DWORD dst_unused:UNUSED_PAD src0_sel:DWORD src1_sel:WORD_1
	v_lshlrev_b16_e32 v26, 8, v26
	v_sub_i16 v31, v31, v33 clamp
	v_sub_i16 v26, v29, v26 clamp
	v_perm_b32 v26, v26, v31, s20
	v_lshl_or_b32 v26, v26, 16, v30
	v_dot4_i32_i8 v26, v26, v25, v28
	v_mul_lo_u32 v26, v26, v27
	v_ashrrev_i32_e32 v27, 31, v26
	v_lshrrev_b32_e32 v27, 29, v27
	v_add_u32_e32 v26, v26, v27
	v_ashrrev_i32_e32 v26, 3, v26
	v_cvt_f32_i32_e32 v16, v26
	v_fmac_f32_e32 v18, v15, v16
	v_add_u32_e32 v15, v24, v17
	v_mad_i64_i32 v[15:16], s[12:13], v15, s3, v[11:12]
	v_add_u32_e32 v17, 8, v17
	v_add_co_u32_e32 v26, vcc, v15, v22
	v_addc_co_u32_e32 v27, vcc, 0, v16, vcc
	global_load_dwordx2 v[26:27], v[26:27], off offset:2
	v_add_co_u32_e32 v13, vcc, 0x900, v13
	v_addc_co_u32_e32 v14, vcc, 0, v14, vcc
	v_cmp_le_u32_e32 vcc, s15, v17
	s_or_b64 s[4:5], vcc, s[4:5]
	s_waitcnt vmcnt(0)
	v_lshlrev_b32_sdwa v28, v20, v26 dst_sel:DWORD dst_unused:UNUSED_PAD src0_sel:DWORD src1_sel:BYTE_0
	global_load_dwordx2 v[28:29], v28, s[0:1]
	v_and_b32_e32 v30, 0xff, v27
	v_bcnt_u32_b32 v31, v30, 0
	v_and_b32_e32 v31, 1, v31
	v_lshlrev_b32_e32 v31, 7, v31
	v_xor_b32_e32 v30, v31, v30
	v_mul_lo_u32 v30, v30, s10
	v_and_b32_e32 v31, 0x8040201, v30
	v_cmp_ne_u16_sdwa s[12:13], v31, v10 src0_sel:BYTE_3 src1_sel:DWORD
	v_cmp_ne_u16_sdwa s[16:17], v31, v10 src0_sel:BYTE_1 src1_sel:DWORD
	v_lshrrev_b32_e32 v32, 18, v30
	v_cndmask_b32_e64 v33, 0, -1, s[16:17]
	v_cndmask_b32_e64 v35, 0, -1, s[12:13]
	v_bfe_i32 v31, v30, 0, 1
	v_lshlrev_b16_e32 v33, 8, v33
	v_bfe_i32 v32, v32, 0, 1
	v_lshlrev_b16_e32 v35, 8, v35
	v_or_b32_sdwa v34, v31, v33 dst_sel:DWORD dst_unused:UNUSED_PAD src0_sel:BYTE_0 src1_sel:DWORD
	v_or_b32_sdwa v36, v32, v35 dst_sel:WORD_1 dst_unused:UNUSED_PAD src0_sel:BYTE_0 src1_sel:DWORD
	v_or_b32_sdwa v34, v34, v36 dst_sel:DWORD dst_unused:UNUSED_PAD src0_sel:WORD_0 src1_sel:DWORD
	v_lshlrev_b16_e32 v31, 8, v31
	v_lshlrev_b16_e32 v32, 8, v32
	s_waitcnt vmcnt(0)
	v_xor_b32_e32 v28, v28, v34
	v_and_b32_e32 v34, 0xffffff00, v28
	v_sub_i16 v33, v34, v33 clamp
	v_lshlrev_b16_e32 v34, 8, v28
	v_sub_i16 v31, v34, v31 clamp
	v_perm_b32 v31, v31, v33, s20
	v_and_b32_sdwa v33, v28, s19 dst_sel:DWORD dst_unused:UNUSED_PAD src0_sel:WORD_1 src1_sel:DWORD
	v_lshlrev_b16_sdwa v28, v21, v28 dst_sel:DWORD dst_unused:UNUSED_PAD src0_sel:DWORD src1_sel:WORD_1
	v_sub_i16 v33, v33, v35 clamp
	v_sub_i16 v28, v28, v32 clamp
	v_perm_b32 v28, v28, v33, s20
	v_lshl_or_b32 v28, v28, 16, v31
	v_dot4_i32_i8 v7, v28, v7, 0
	v_and_b32_e32 v28, 0x80402010, v30
	v_cmp_ne_u16_sdwa s[12:13], v28, v10 src0_sel:BYTE_3 src1_sel:DWORD
	v_cmp_ne_u16_sdwa s[16:17], v28, v10 src0_sel:BYTE_1 src1_sel:DWORD
	v_lshrrev_b32_e32 v30, 22, v30
	v_lshrrev_b16_e32 v28, 4, v28
	v_cndmask_b32_e64 v31, 0, -1, s[16:17]
	v_cndmask_b32_e64 v33, 0, -1, s[12:13]
	v_bfe_i32 v28, v28, 0, 1
	v_lshlrev_b16_e32 v31, 8, v31
	v_bfe_i32 v30, v30, 0, 1
	v_lshlrev_b16_e32 v33, 8, v33
	v_or_b32_sdwa v32, v28, v31 dst_sel:DWORD dst_unused:UNUSED_PAD src0_sel:BYTE_0 src1_sel:DWORD
	v_or_b32_sdwa v34, v30, v33 dst_sel:WORD_1 dst_unused:UNUSED_PAD src0_sel:BYTE_0 src1_sel:DWORD
	v_or_b32_sdwa v32, v32, v34 dst_sel:DWORD dst_unused:UNUSED_PAD src0_sel:WORD_0 src1_sel:DWORD
	v_xor_b32_e32 v29, v29, v32
	v_and_b32_e32 v32, 0xffffff00, v29
	v_sub_i16 v31, v32, v31 clamp
	v_lshlrev_b16_e32 v32, 8, v29
	v_lshlrev_b16_e32 v28, 8, v28
	v_sub_i16 v28, v32, v28 clamp
	v_perm_b32 v28, v28, v31, s20
	v_and_b32_sdwa v31, v29, s19 dst_sel:DWORD dst_unused:UNUSED_PAD src0_sel:WORD_1 src1_sel:DWORD
	v_lshlrev_b16_sdwa v29, v21, v29 dst_sel:DWORD dst_unused:UNUSED_PAD src0_sel:DWORD src1_sel:WORD_1
	v_lshlrev_b16_e32 v30, 8, v30
	v_sub_i16 v31, v31, v33 clamp
	v_sub_i16 v29, v29, v30 clamp
	v_perm_b32 v29, v29, v31, s20
	v_lshl_or_b32 v28, v29, 16, v28
	v_dot4_i32_i8 v28, v28, v8, v7
	v_lshlrev_b32_sdwa v7, v20, v26 dst_sel:DWORD dst_unused:UNUSED_PAD src0_sel:DWORD src1_sel:BYTE_1
	global_load_dwordx2 v[7:8], v7, s[0:1]
	v_bfe_u32 v29, v27, 7, 8
	v_bcnt_u32_b32 v30, v29, 0
	v_and_b32_e32 v30, 1, v30
	v_lshlrev_b32_e32 v30, 7, v30
	v_xor_b32_e32 v29, v30, v29
	v_mul_lo_u32 v29, v29, s10
	v_and_b32_e32 v30, 0x8040201, v29
	v_cmp_ne_u16_sdwa s[12:13], v30, v10 src0_sel:BYTE_3 src1_sel:DWORD
	v_cmp_ne_u16_sdwa s[16:17], v30, v10 src0_sel:BYTE_1 src1_sel:DWORD
	v_lshrrev_b32_e32 v31, 18, v29
	v_cndmask_b32_e64 v32, 0, -1, s[16:17]
	v_cndmask_b32_e64 v34, 0, -1, s[12:13]
	v_bfe_i32 v30, v29, 0, 1
	v_lshlrev_b16_e32 v32, 8, v32
	v_bfe_i32 v31, v31, 0, 1
	v_lshlrev_b16_e32 v34, 8, v34
	v_or_b32_sdwa v33, v30, v32 dst_sel:DWORD dst_unused:UNUSED_PAD src0_sel:BYTE_0 src1_sel:DWORD
	v_or_b32_sdwa v35, v31, v34 dst_sel:WORD_1 dst_unused:UNUSED_PAD src0_sel:BYTE_0 src1_sel:DWORD
	v_or_b32_sdwa v33, v33, v35 dst_sel:DWORD dst_unused:UNUSED_PAD src0_sel:WORD_0 src1_sel:DWORD
	v_lshlrev_b16_e32 v30, 8, v30
	v_lshlrev_b16_e32 v31, 8, v31
	s_waitcnt vmcnt(0)
	v_xor_b32_e32 v7, v7, v33
	v_and_b32_e32 v33, 0xffffff00, v7
	v_sub_i16 v32, v33, v32 clamp
	v_lshlrev_b16_e32 v33, 8, v7
	v_sub_i16 v30, v33, v30 clamp
	v_perm_b32 v30, v30, v32, s20
	v_and_b32_sdwa v32, v7, s19 dst_sel:DWORD dst_unused:UNUSED_PAD src0_sel:WORD_1 src1_sel:DWORD
	v_lshlrev_b16_sdwa v7, v21, v7 dst_sel:DWORD dst_unused:UNUSED_PAD src0_sel:DWORD src1_sel:WORD_1
	v_sub_i16 v32, v32, v34 clamp
	v_sub_i16 v7, v7, v31 clamp
	v_perm_b32 v7, v7, v32, s20
	v_lshl_or_b32 v7, v7, 16, v30
	v_dot4_i32_i8 v7, v7, v9, v28
	v_and_b32_e32 v9, 0x80402010, v29
	v_cmp_ne_u16_sdwa s[12:13], v9, v10 src0_sel:BYTE_3 src1_sel:DWORD
	v_cmp_ne_u16_sdwa s[16:17], v9, v10 src0_sel:BYTE_1 src1_sel:DWORD
	v_lshrrev_b32_e32 v28, 22, v29
	v_lshrrev_b16_e32 v9, 4, v9
	v_cndmask_b32_e64 v29, 0, -1, s[16:17]
	v_cndmask_b32_e64 v31, 0, -1, s[12:13]
	v_bfe_i32 v9, v9, 0, 1
	v_lshlrev_b16_e32 v29, 8, v29
	v_bfe_i32 v28, v28, 0, 1
	v_lshlrev_b16_e32 v31, 8, v31
	v_or_b32_sdwa v30, v9, v29 dst_sel:DWORD dst_unused:UNUSED_PAD src0_sel:BYTE_0 src1_sel:DWORD
	v_or_b32_sdwa v32, v28, v31 dst_sel:WORD_1 dst_unused:UNUSED_PAD src0_sel:BYTE_0 src1_sel:DWORD
	v_or_b32_sdwa v30, v30, v32 dst_sel:DWORD dst_unused:UNUSED_PAD src0_sel:WORD_0 src1_sel:DWORD
	v_xor_b32_e32 v8, v8, v30
	v_and_b32_e32 v30, 0xffffff00, v8
	v_sub_i16 v29, v30, v29 clamp
	v_lshlrev_b16_e32 v30, 8, v8
	v_lshlrev_b16_e32 v9, 8, v9
	v_sub_i16 v9, v30, v9 clamp
	v_perm_b32 v9, v9, v29, s20
	v_and_b32_sdwa v29, v8, s19 dst_sel:DWORD dst_unused:UNUSED_PAD src0_sel:WORD_1 src1_sel:DWORD
	v_lshlrev_b16_sdwa v8, v21, v8 dst_sel:DWORD dst_unused:UNUSED_PAD src0_sel:DWORD src1_sel:WORD_1
	v_lshlrev_b16_e32 v28, 8, v28
	v_sub_i16 v29, v29, v31 clamp
	v_sub_i16 v8, v8, v28 clamp
	v_perm_b32 v8, v8, v29, s20
	v_lshl_or_b32 v8, v8, 16, v9
	v_dot4_i32_i8 v2, v8, v2, v7
	v_lshlrev_b32_sdwa v7, v20, v26 dst_sel:DWORD dst_unused:UNUSED_PAD src0_sel:DWORD src1_sel:BYTE_2
	global_load_dwordx2 v[7:8], v7, s[0:1]
	v_bfe_u32 v9, v27, 14, 8
	v_bcnt_u32_b32 v28, v9, 0
	v_and_b32_e32 v28, 1, v28
	v_lshlrev_b32_e32 v28, 7, v28
	v_xor_b32_e32 v9, v28, v9
	v_mul_lo_u32 v9, v9, s10
	v_and_b32_e32 v28, 0x8040201, v9
	v_cmp_ne_u16_sdwa s[12:13], v28, v10 src0_sel:BYTE_3 src1_sel:DWORD
	v_cmp_ne_u16_sdwa s[16:17], v28, v10 src0_sel:BYTE_1 src1_sel:DWORD
	v_lshrrev_b32_e32 v29, 18, v9
	v_cndmask_b32_e64 v30, 0, -1, s[16:17]
	v_cndmask_b32_e64 v32, 0, -1, s[12:13]
	v_bfe_i32 v28, v9, 0, 1
	v_lshlrev_b16_e32 v30, 8, v30
	v_bfe_i32 v29, v29, 0, 1
	v_lshlrev_b16_e32 v32, 8, v32
	v_or_b32_sdwa v31, v28, v30 dst_sel:DWORD dst_unused:UNUSED_PAD src0_sel:BYTE_0 src1_sel:DWORD
	v_or_b32_sdwa v33, v29, v32 dst_sel:WORD_1 dst_unused:UNUSED_PAD src0_sel:BYTE_0 src1_sel:DWORD
	v_or_b32_sdwa v31, v31, v33 dst_sel:DWORD dst_unused:UNUSED_PAD src0_sel:WORD_0 src1_sel:DWORD
	v_lshlrev_b16_e32 v28, 8, v28
	v_lshlrev_b16_e32 v29, 8, v29
	s_waitcnt vmcnt(0)
	v_xor_b32_e32 v7, v7, v31
	v_and_b32_e32 v31, 0xffffff00, v7
	v_sub_i16 v30, v31, v30 clamp
	v_lshlrev_b16_e32 v31, 8, v7
	v_sub_i16 v28, v31, v28 clamp
	v_perm_b32 v28, v28, v30, s20
	v_and_b32_sdwa v30, v7, s19 dst_sel:DWORD dst_unused:UNUSED_PAD src0_sel:WORD_1 src1_sel:DWORD
	v_lshlrev_b16_sdwa v7, v21, v7 dst_sel:DWORD dst_unused:UNUSED_PAD src0_sel:DWORD src1_sel:WORD_1
	v_sub_i16 v30, v30, v32 clamp
	v_sub_i16 v7, v7, v29 clamp
	v_perm_b32 v7, v7, v30, s20
	v_lshl_or_b32 v7, v7, 16, v28
	v_dot4_i32_i8 v2, v7, v3, v2
	v_and_b32_e32 v3, 0x80402010, v9
	v_cmp_ne_u16_sdwa s[12:13], v3, v10 src0_sel:BYTE_3 src1_sel:DWORD
	v_cmp_ne_u16_sdwa s[16:17], v3, v10 src0_sel:BYTE_1 src1_sel:DWORD
	v_lshrrev_b32_e32 v7, 22, v9
	v_lshrrev_b16_e32 v3, 4, v3
	v_cndmask_b32_e64 v9, 0, -1, s[16:17]
	v_cndmask_b32_e64 v29, 0, -1, s[12:13]
	v_bfe_i32 v3, v3, 0, 1
	v_lshlrev_b16_e32 v9, 8, v9
	v_bfe_i32 v7, v7, 0, 1
	v_lshlrev_b16_e32 v29, 8, v29
	v_or_b32_sdwa v28, v3, v9 dst_sel:DWORD dst_unused:UNUSED_PAD src0_sel:BYTE_0 src1_sel:DWORD
	v_or_b32_sdwa v30, v7, v29 dst_sel:WORD_1 dst_unused:UNUSED_PAD src0_sel:BYTE_0 src1_sel:DWORD
	v_or_b32_sdwa v28, v28, v30 dst_sel:DWORD dst_unused:UNUSED_PAD src0_sel:WORD_0 src1_sel:DWORD
	v_xor_b32_e32 v8, v8, v28
	v_and_b32_e32 v28, 0xffffff00, v8
	v_sub_i16 v9, v28, v9 clamp
	v_lshlrev_b16_e32 v28, 8, v8
	v_lshlrev_b16_e32 v3, 8, v3
	v_sub_i16 v3, v28, v3 clamp
	v_perm_b32 v3, v3, v9, s20
	v_and_b32_sdwa v9, v8, s19 dst_sel:DWORD dst_unused:UNUSED_PAD src0_sel:WORD_1 src1_sel:DWORD
	v_lshlrev_b16_sdwa v8, v21, v8 dst_sel:DWORD dst_unused:UNUSED_PAD src0_sel:DWORD src1_sel:WORD_1
	v_lshlrev_b16_e32 v7, 8, v7
	v_sub_i16 v9, v9, v29 clamp
	v_sub_i16 v7, v8, v7 clamp
	v_perm_b32 v7, v7, v9, s20
	v_lshl_or_b32 v3, v7, 16, v3
	v_dot4_i32_i8 v4, v3, v4, v2
	v_lshlrev_b32_sdwa v2, v20, v26 dst_sel:DWORD dst_unused:UNUSED_PAD src0_sel:DWORD src1_sel:BYTE_3
	global_load_dwordx2 v[2:3], v2, s[0:1]
	v_bfe_u32 v7, v27, 21, 8
	v_bcnt_u32_b32 v8, v7, 0
	v_and_b32_e32 v8, 1, v8
	v_lshlrev_b32_e32 v8, 7, v8
	v_xor_b32_e32 v7, v8, v7
	v_mul_lo_u32 v7, v7, s10
	v_and_b32_e32 v8, 0x8040201, v7
	v_cmp_ne_u16_sdwa s[0:1], v8, v10 src0_sel:BYTE_3 src1_sel:DWORD
	v_cmp_ne_u16_sdwa s[12:13], v8, v10 src0_sel:BYTE_1 src1_sel:DWORD
	v_lshrrev_b32_e32 v9, 18, v7
	v_cndmask_b32_e64 v26, 0, -1, s[12:13]
	v_cndmask_b32_e64 v29, 0, -1, s[0:1]
	v_bfe_i32 v8, v7, 0, 1
	v_lshlrev_b16_e32 v26, 8, v26
	v_bfe_i32 v9, v9, 0, 1
	v_lshlrev_b16_e32 v29, 8, v29
	v_or_b32_sdwa v28, v8, v26 dst_sel:DWORD dst_unused:UNUSED_PAD src0_sel:BYTE_0 src1_sel:DWORD
	v_or_b32_sdwa v30, v9, v29 dst_sel:WORD_1 dst_unused:UNUSED_PAD src0_sel:BYTE_0 src1_sel:DWORD
	v_or_b32_sdwa v28, v28, v30 dst_sel:DWORD dst_unused:UNUSED_PAD src0_sel:WORD_0 src1_sel:DWORD
	v_lshlrev_b16_e32 v8, 8, v8
	v_lshlrev_b16_e32 v9, 8, v9
	s_waitcnt vmcnt(0)
	v_xor_b32_e32 v2, v2, v28
	v_and_b32_e32 v28, 0xffffff00, v2
	v_sub_i16 v26, v28, v26 clamp
	v_lshlrev_b16_e32 v28, 8, v2
	v_sub_i16 v8, v28, v8 clamp
	v_perm_b32 v8, v8, v26, s20
	v_and_b32_sdwa v26, v2, s19 dst_sel:DWORD dst_unused:UNUSED_PAD src0_sel:WORD_1 src1_sel:DWORD
	v_lshlrev_b16_sdwa v2, v21, v2 dst_sel:DWORD dst_unused:UNUSED_PAD src0_sel:DWORD src1_sel:WORD_1
	v_sub_i16 v26, v26, v29 clamp
	v_sub_i16 v2, v2, v9 clamp
	v_perm_b32 v2, v2, v26, s20
	v_lshl_or_b32 v2, v2, 16, v8
	v_dot4_i32_i8 v2, v2, v5, v4
	v_and_b32_e32 v4, 0x80402010, v7
	v_cmp_ne_u16_sdwa s[0:1], v4, v10 src0_sel:BYTE_3 src1_sel:DWORD
	v_cmp_ne_u16_sdwa s[12:13], v4, v10 src0_sel:BYTE_1 src1_sel:DWORD
	v_lshrrev_b32_e32 v5, 22, v7
	v_lshrrev_b16_e32 v4, 4, v4
	v_cndmask_b32_e64 v7, 0, -1, s[12:13]
	v_cndmask_b32_e64 v9, 0, -1, s[0:1]
	v_bfe_i32 v4, v4, 0, 1
	v_lshlrev_b16_e32 v7, 8, v7
	v_bfe_i32 v5, v5, 0, 1
	v_lshlrev_b16_e32 v9, 8, v9
	v_or_b32_sdwa v8, v4, v7 dst_sel:DWORD dst_unused:UNUSED_PAD src0_sel:BYTE_0 src1_sel:DWORD
	v_or_b32_sdwa v26, v5, v9 dst_sel:WORD_1 dst_unused:UNUSED_PAD src0_sel:BYTE_0 src1_sel:DWORD
	v_or_b32_sdwa v8, v8, v26 dst_sel:DWORD dst_unused:UNUSED_PAD src0_sel:WORD_0 src1_sel:DWORD
	v_xor_b32_e32 v3, v3, v8
	v_and_b32_e32 v8, 0xffffff00, v3
	v_sub_i16 v7, v8, v7 clamp
	v_lshlrev_b16_e32 v8, 8, v3
	v_lshlrev_b16_e32 v4, 8, v4
	v_sub_i16 v4, v8, v4 clamp
	v_perm_b32 v4, v4, v7, s20
	v_and_b32_sdwa v7, v3, s19 dst_sel:DWORD dst_unused:UNUSED_PAD src0_sel:WORD_1 src1_sel:DWORD
	v_lshlrev_b16_sdwa v3, v21, v3 dst_sel:DWORD dst_unused:UNUSED_PAD src0_sel:DWORD src1_sel:WORD_1
	v_lshlrev_b16_e32 v5, 8, v5
	v_sub_i16 v7, v7, v9 clamp
	v_sub_i16 v3, v3, v5 clamp
	v_perm_b32 v3, v3, v7, s20
	v_lshl_or_b32 v3, v3, 16, v4
	v_dot4_i32_i8 v2, v3, v25, v2
	v_lshrrev_b32_e32 v3, 27, v27
	v_or_b32_e32 v3, 1, v3
	v_mul_lo_u32 v2, v2, v3
	v_ashrrev_i32_e32 v3, 31, v2
	v_lshrrev_b32_e32 v3, 29, v3
	v_add_u32_e32 v2, v2, v3
	global_load_ushort v3, v[15:16], off
	v_ashrrev_i32_e32 v2, 3, v2
	v_cvt_f32_i32_e32 v2, v2
	s_waitcnt vmcnt(0)
	v_cvt_f32_f16_e32 v3, v3
	v_mul_f32_e32 v3, v3, v6
	v_fmac_f32_e32 v19, v3, v2
	s_andn2_b64 exec, exec, s[4:5]
	s_cbranch_execnz .LBB156_3
; %bb.4:
	s_or_b64 exec, exec, s[4:5]
.LBB156_5:
	s_or_b64 exec, exec, s[24:25]
	v_mbcnt_lo_u32_b32 v2, -1, 0
	v_mbcnt_hi_u32_b32 v2, -1, v2
	v_and_b32_e32 v3, 64, v2
	v_add_u32_e32 v3, 64, v3
	v_xor_b32_e32 v4, 32, v2
	v_cmp_lt_i32_e32 vcc, v4, v3
	v_cndmask_b32_e32 v4, v2, v4, vcc
	v_lshlrev_b32_e32 v4, 2, v4
	ds_bpermute_b32 v7, v4, v18
	ds_bpermute_b32 v4, v4, v19
	v_xor_b32_e32 v5, 16, v2
	v_cmp_lt_i32_e32 vcc, v5, v3
	v_cndmask_b32_e32 v5, v2, v5, vcc
	v_lshlrev_b32_e32 v5, 2, v5
	s_waitcnt lgkmcnt(1)
	v_add_f32_e32 v7, v18, v7
	s_waitcnt lgkmcnt(0)
	v_add_f32_e32 v4, v19, v4
	ds_bpermute_b32 v9, v5, v7
	ds_bpermute_b32 v5, v5, v4
	v_xor_b32_e32 v6, 8, v2
	v_cmp_lt_i32_e32 vcc, v6, v3
	v_cndmask_b32_e32 v6, v2, v6, vcc
	v_lshlrev_b32_e32 v6, 2, v6
	s_waitcnt lgkmcnt(1)
	v_add_f32_e32 v7, v7, v9
	s_waitcnt lgkmcnt(0)
	v_add_f32_e32 v4, v4, v5
	;; [unrolled: 10-line block ×5, first 2 shown]
	ds_bpermute_b32 v3, v6, v2
	ds_bpermute_b32 v5, v6, v4
	v_add_u32_e32 v6, s6, v0
	v_cmp_gt_u32_e32 vcc, 2, v0
	v_cmp_gt_u32_e64 s[0:1], s8, v6
	s_and_b64 s[0:1], vcc, s[0:1]
	s_and_b64 exec, exec, s[0:1]
	s_cbranch_execz .LBB156_7
; %bb.6:
	v_mul_lo_u32 v1, s11, v1
	v_cmp_eq_u32_e32 vcc, 1, v0
	s_mul_i32 s0, s14, s7
	v_or_b32_e32 v0, s6, v0
	v_add3_u32 v0, v0, v1, s0
	v_mov_b32_e32 v1, 0
	v_lshlrev_b64 v[0:1], 2, v[0:1]
	s_waitcnt lgkmcnt(1)
	v_add_f32_e32 v2, v2, v3
	s_waitcnt lgkmcnt(0)
	v_add_f32_e32 v3, v4, v5
	v_cndmask_b32_e32 v2, v2, v3, vcc
	v_mov_b32_e32 v3, s23
	v_add_co_u32_e32 v0, vcc, s22, v0
	v_addc_co_u32_e32 v1, vcc, v3, v1, vcc
	global_store_dword v[0:1], v2, off
.LBB156_7:
	s_endpgm
	.section	.rodata,"a",@progbits
	.p2align	6, 0x0
	.amdhsa_kernel _ZL17mul_mat_vec_q_moeIL9ggml_type16ELi2EEvPKvS2_PKiPfj15HIP_vector_typeIjLj3EEjjjjjjjjj
		.amdhsa_group_segment_fixed_size 0
		.amdhsa_private_segment_fixed_size 0
		.amdhsa_kernarg_size 84
		.amdhsa_user_sgpr_count 6
		.amdhsa_user_sgpr_private_segment_buffer 1
		.amdhsa_user_sgpr_dispatch_ptr 0
		.amdhsa_user_sgpr_queue_ptr 0
		.amdhsa_user_sgpr_kernarg_segment_ptr 1
		.amdhsa_user_sgpr_dispatch_id 0
		.amdhsa_user_sgpr_flat_scratch_init 0
		.amdhsa_user_sgpr_private_segment_size 0
		.amdhsa_uses_dynamic_stack 0
		.amdhsa_system_sgpr_private_segment_wavefront_offset 0
		.amdhsa_system_sgpr_workgroup_id_x 1
		.amdhsa_system_sgpr_workgroup_id_y 1
		.amdhsa_system_sgpr_workgroup_id_z 0
		.amdhsa_system_sgpr_workgroup_info 0
		.amdhsa_system_vgpr_workitem_id 1
		.amdhsa_next_free_vgpr 38
		.amdhsa_next_free_sgpr 28
		.amdhsa_reserve_vcc 1
		.amdhsa_reserve_flat_scratch 0
		.amdhsa_float_round_mode_32 0
		.amdhsa_float_round_mode_16_64 0
		.amdhsa_float_denorm_mode_32 3
		.amdhsa_float_denorm_mode_16_64 3
		.amdhsa_dx10_clamp 1
		.amdhsa_ieee_mode 1
		.amdhsa_fp16_overflow 0
		.amdhsa_exception_fp_ieee_invalid_op 0
		.amdhsa_exception_fp_denorm_src 0
		.amdhsa_exception_fp_ieee_div_zero 0
		.amdhsa_exception_fp_ieee_overflow 0
		.amdhsa_exception_fp_ieee_underflow 0
		.amdhsa_exception_fp_ieee_inexact 0
		.amdhsa_exception_int_div_zero 0
	.end_amdhsa_kernel
	.section	.text._ZL17mul_mat_vec_q_moeIL9ggml_type16ELi2EEvPKvS2_PKiPfj15HIP_vector_typeIjLj3EEjjjjjjjjj,"axG",@progbits,_ZL17mul_mat_vec_q_moeIL9ggml_type16ELi2EEvPKvS2_PKiPfj15HIP_vector_typeIjLj3EEjjjjjjjjj,comdat
.Lfunc_end156:
	.size	_ZL17mul_mat_vec_q_moeIL9ggml_type16ELi2EEvPKvS2_PKiPfj15HIP_vector_typeIjLj3EEjjjjjjjjj, .Lfunc_end156-_ZL17mul_mat_vec_q_moeIL9ggml_type16ELi2EEvPKvS2_PKiPfj15HIP_vector_typeIjLj3EEjjjjjjjjj
                                        ; -- End function
	.set _ZL17mul_mat_vec_q_moeIL9ggml_type16ELi2EEvPKvS2_PKiPfj15HIP_vector_typeIjLj3EEjjjjjjjjj.num_vgpr, 38
	.set _ZL17mul_mat_vec_q_moeIL9ggml_type16ELi2EEvPKvS2_PKiPfj15HIP_vector_typeIjLj3EEjjjjjjjjj.num_agpr, 0
	.set _ZL17mul_mat_vec_q_moeIL9ggml_type16ELi2EEvPKvS2_PKiPfj15HIP_vector_typeIjLj3EEjjjjjjjjj.numbered_sgpr, 28
	.set _ZL17mul_mat_vec_q_moeIL9ggml_type16ELi2EEvPKvS2_PKiPfj15HIP_vector_typeIjLj3EEjjjjjjjjj.num_named_barrier, 0
	.set _ZL17mul_mat_vec_q_moeIL9ggml_type16ELi2EEvPKvS2_PKiPfj15HIP_vector_typeIjLj3EEjjjjjjjjj.private_seg_size, 0
	.set _ZL17mul_mat_vec_q_moeIL9ggml_type16ELi2EEvPKvS2_PKiPfj15HIP_vector_typeIjLj3EEjjjjjjjjj.uses_vcc, 1
	.set _ZL17mul_mat_vec_q_moeIL9ggml_type16ELi2EEvPKvS2_PKiPfj15HIP_vector_typeIjLj3EEjjjjjjjjj.uses_flat_scratch, 0
	.set _ZL17mul_mat_vec_q_moeIL9ggml_type16ELi2EEvPKvS2_PKiPfj15HIP_vector_typeIjLj3EEjjjjjjjjj.has_dyn_sized_stack, 0
	.set _ZL17mul_mat_vec_q_moeIL9ggml_type16ELi2EEvPKvS2_PKiPfj15HIP_vector_typeIjLj3EEjjjjjjjjj.has_recursion, 0
	.set _ZL17mul_mat_vec_q_moeIL9ggml_type16ELi2EEvPKvS2_PKiPfj15HIP_vector_typeIjLj3EEjjjjjjjjj.has_indirect_call, 0
	.section	.AMDGPU.csdata,"",@progbits
; Kernel info:
; codeLenInByte = 4636
; TotalNumSgprs: 32
; NumVgprs: 38
; ScratchSize: 0
; MemoryBound: 0
; FloatMode: 240
; IeeeMode: 1
; LDSByteSize: 0 bytes/workgroup (compile time only)
; SGPRBlocks: 3
; VGPRBlocks: 9
; NumSGPRsForWavesPerEU: 32
; NumVGPRsForWavesPerEU: 38
; Occupancy: 6
; WaveLimiterHint : 1
; COMPUTE_PGM_RSRC2:SCRATCH_EN: 0
; COMPUTE_PGM_RSRC2:USER_SGPR: 6
; COMPUTE_PGM_RSRC2:TRAP_HANDLER: 0
; COMPUTE_PGM_RSRC2:TGID_X_EN: 1
; COMPUTE_PGM_RSRC2:TGID_Y_EN: 1
; COMPUTE_PGM_RSRC2:TGID_Z_EN: 0
; COMPUTE_PGM_RSRC2:TIDIG_COMP_CNT: 1
	.section	.text._ZL13mul_mat_vec_qIL9ggml_type16ELi1ELb1ELb1EEvPKvS2_PKi31ggml_cuda_mm_fusion_args_devicePfj15HIP_vector_typeIjLj3EEjjjS8_jjjS8_jjjj,"axG",@progbits,_ZL13mul_mat_vec_qIL9ggml_type16ELi1ELb1ELb1EEvPKvS2_PKi31ggml_cuda_mm_fusion_args_devicePfj15HIP_vector_typeIjLj3EEjjjS8_jjjS8_jjjj,comdat
	.globl	_ZL13mul_mat_vec_qIL9ggml_type16ELi1ELb1ELb1EEvPKvS2_PKi31ggml_cuda_mm_fusion_args_devicePfj15HIP_vector_typeIjLj3EEjjjS8_jjjS8_jjjj ; -- Begin function _ZL13mul_mat_vec_qIL9ggml_type16ELi1ELb1ELb1EEvPKvS2_PKi31ggml_cuda_mm_fusion_args_devicePfj15HIP_vector_typeIjLj3EEjjjS8_jjjS8_jjjj
	.p2align	8
	.type	_ZL13mul_mat_vec_qIL9ggml_type16ELi1ELb1ELb1EEvPKvS2_PKi31ggml_cuda_mm_fusion_args_devicePfj15HIP_vector_typeIjLj3EEjjjS8_jjjS8_jjjj,@function
_ZL13mul_mat_vec_qIL9ggml_type16ELi1ELb1ELb1EEvPKvS2_PKi31ggml_cuda_mm_fusion_args_devicePfj15HIP_vector_typeIjLj3EEjjjS8_jjjS8_jjjj: ; @_ZL13mul_mat_vec_qIL9ggml_type16ELi1ELb1ELb1EEvPKvS2_PKi31ggml_cuda_mm_fusion_args_devicePfj15HIP_vector_typeIjLj3EEjjjS8_jjjS8_jjjj
; %bb.0:
	s_load_dwordx8 s[12:19], s[4:5], 0x0
	s_load_dwordx4 s[28:31], s[4:5], 0x20
	s_load_dwordx4 s[36:39], s[4:5], 0x40
	s_mov_b32 s34, s7
	s_mov_b64 s[2:3], 0
	s_waitcnt lgkmcnt(0)
	s_cmp_lg_u64 s[16:17], 0
	s_cselect_b64 s[0:1], -1, 0
	s_cmp_eq_u64 s[16:17], 0
	s_cbranch_scc1 .LBB157_5
; %bb.1:
	s_mov_b32 s35, 0
	s_lshl_b64 s[10:11], s[34:35], 2
	s_add_u32 s10, s16, s10
	s_addc_u32 s11, s17, s11
	s_load_dword s21, s[10:11], 0x0
	s_load_dword s20, s[4:5], 0x50
	;; [unrolled: 1-line block ×3, first 2 shown]
	s_andn2_b64 vcc, exec, s[2:3]
	s_cbranch_vccnz .LBB157_3
.LBB157_2:
	s_load_dwordx2 s[2:3], s[4:5], 0x5c
	s_waitcnt lgkmcnt(0)
	s_mul_hi_u32 s2, s2, s34
	s_add_i32 s2, s34, s2
	s_lshr_b32 s21, s2, s3
.LBB157_3:
	s_andn2_b64 vcc, exec, s[0:1]
	s_cbranch_vccnz .LBB157_6
; %bb.4:
	s_mul_hi_u32 s0, s37, s34
	s_add_i32 s0, s34, s0
	s_lshr_b32 s0, s0, s38
	s_mul_i32 s0, s0, s39
	s_sub_i32 s23, s34, s0
	s_waitcnt lgkmcnt(0)
	s_mov_b32 s24, s21
	s_branch .LBB157_7
.LBB157_5:
                                        ; implicit-def: $sgpr21
	s_load_dword s20, s[4:5], 0x50
	s_load_dword s22, s[4:5], 0x78
	s_branch .LBB157_2
.LBB157_6:
	s_mov_b32 s24, s34
	s_mov_b32 s23, s34
.LBB157_7:
	s_load_dword s9, s[4:5], 0x58
	s_lshl_b32 s16, s6, 1
	s_cmp_eq_u64 s[18:19], 0
	s_cselect_b64 s[0:1], -1, 0
	v_mov_b32_e32 v42, 0
	s_and_b64 vcc, exec, s[0:1]
	v_cmp_gt_u32_e64 s[2:3], 2, v0
	v_cmp_eq_u32_e64 s[6:7], 0, v1
	v_add_u32_e32 v41, s16, v0
	v_mov_b32_e32 v43, 0
	s_cbranch_vccnz .LBB157_11
; %bb.8:
	s_waitcnt lgkmcnt(0)
	v_cmp_gt_u32_e32 vcc, s9, v41
	s_and_b64 s[2:3], s[2:3], vcc
	s_mov_b32 s11, 0
	s_and_b64 s[6:7], s[2:3], s[6:7]
	v_mov_b32_e32 v43, 0
	s_and_saveexec_b64 s[2:3], s[6:7]
	s_cbranch_execz .LBB157_10
; %bb.9:
	s_load_dwordx4 s[40:43], s[4:5], 0x80
	v_lshlrev_b32_e32 v2, 2, v0
	s_waitcnt lgkmcnt(0)
	s_mul_i32 s10, s42, s8
	s_load_dwordx4 s[40:43], s[4:5], 0x68
	s_lshl_b64 s[6:7], s[10:11], 2
	s_add_u32 s17, s18, s6
	s_addc_u32 s18, s19, s7
	s_waitcnt lgkmcnt(0)
	s_mul_i32 s10, s24, s42
	s_lshl_b64 s[6:7], s[10:11], 2
	s_add_u32 s10, s17, s6
	s_addc_u32 s11, s18, s7
	s_ashr_i32 s17, s16, 31
	s_lshl_b64 s[6:7], s[16:17], 2
	s_add_u32 s6, s10, s6
	s_addc_u32 s7, s11, s7
	global_load_dword v43, v2, s[6:7]
.LBB157_10:
	s_or_b64 exec, exec, s[2:3]
.LBB157_11:
	s_cmp_lg_u64 s[28:29], 0
	s_cselect_b64 s[18:19], -1, 0
	s_cmp_eq_u64 s[28:29], 0
	s_cselect_b64 s[2:3], -1, 0
	s_cmp_lg_u64 s[30:31], 0
	s_cselect_b64 s[26:27], -1, 0
                                        ; implicit-def: $vgpr78 : SGPR spill to VGPR lane
	s_and_b64 s[6:7], s[26:27], s[18:19]
	v_writelane_b32 v78, s2, 0
	s_andn2_b64 vcc, exec, s[6:7]
	s_waitcnt lgkmcnt(0)
	v_cmp_gt_u32_e64 s[6:7], s9, v41
	v_writelane_b32 v78, s3, 1
	s_cbranch_vccnz .LBB157_15
; %bb.12:
	v_cmp_gt_u32_e32 vcc, 2, v0
	v_cmp_eq_u32_e64 s[10:11], 0, v1
	s_and_b64 s[6:7], vcc, s[6:7]
	s_mov_b32 s41, 0
	s_and_b64 s[10:11], s[6:7], s[10:11]
	v_mov_b32_e32 v42, 0
	s_and_saveexec_b64 s[6:7], s[10:11]
	s_cbranch_execz .LBB157_14
; %bb.13:
	s_load_dwordx4 s[44:47], s[4:5], 0x80
	v_lshlrev_b32_e32 v2, 2, v0
	s_waitcnt lgkmcnt(0)
	s_mul_i32 s40, s46, s8
	s_load_dwordx4 s[44:47], s[4:5], 0x68
	s_lshl_b64 s[10:11], s[40:41], 2
	s_add_u32 s2, s30, s10
	s_addc_u32 s3, s31, s11
	s_waitcnt lgkmcnt(0)
	s_mul_i32 s40, s24, s46
	s_lshl_b64 s[10:11], s[40:41], 2
	s_add_u32 s2, s2, s10
	s_addc_u32 s3, s3, s11
	s_ashr_i32 s17, s16, 31
	s_lshl_b64 s[10:11], s[16:17], 2
	s_add_u32 s10, s2, s10
	s_addc_u32 s11, s3, s11
	global_load_dword v42, v2, s[10:11]
.LBB157_14:
	s_or_b64 exec, exec, s[6:7]
.LBB157_15:
	v_lshl_add_u32 v2, v1, 6, v0
	v_mov_b32_e32 v12, 0
	s_lshr_b32 s17, s36, 8
	v_lshrrev_b32_e32 v45, 3, v2
	v_mov_b32_e32 v13, v12
	v_mov_b32_e32 v10, v12
	v_cmp_gt_u32_e32 vcc, s17, v45
	v_cndmask_b32_e64 v44, 0, 1, s[18:19]
	v_mov_b32_e32 v14, v12
	v_mov_b32_e32 v11, v13
	s_and_saveexec_b64 s[30:31], vcc
	s_cbranch_execz .LBB157_23
; %bb.16:
	v_writelane_b32 v78, s26, 2
	v_writelane_b32 v78, s27, 3
	s_load_dwordx4 s[24:27], s[4:5], 0x68
	s_load_dwordx4 s[36:39], s[4:5], 0x80
	v_lshlrev_b32_e32 v3, 1, v0
	v_and_b32_e32 v3, 14, v3
	v_lshlrev_b32_e32 v4, 1, v3
	s_waitcnt lgkmcnt(0)
	s_mul_hi_u32 s2, s27, s8
	s_add_i32 s2, s8, s2
	s_lshr_b32 s2, s2, s22
	s_mul_i32 s3, s21, s24
	s_mul_i32 s2, s2, s36
	;; [unrolled: 1-line block ×3, first 2 shown]
	s_add_i32 s27, s3, s2
	s_mul_hi_u32 s2, s6, 36
	s_mul_i32 s6, s6, 36
	v_lshrrev_b32_e32 v6, 3, v2
	v_mov_b32_e32 v2, s6
	v_mov_b32_e32 v3, s2
	s_movk_i32 s2, 0x120
	v_mad_u64_u32 v[2:3], s[6:7], v6, s2, v[2:3]
	s_mul_i32 s10, s37, s8
	v_and_b32_e32 v5, 7, v0
	v_mad_u64_u32 v[2:3], s[6:7], s10, 36, v[2:3]
	s_mul_i32 s2, s16, s20
	v_mov_b32_e32 v13, 0
	v_mad_u64_u32 v[2:3], s[6:7], v5, 36, v[2:3]
	v_mov_b32_e32 v5, s15
	s_add_i32 s23, s27, s2
	v_add_co_u32_e32 v2, vcc, s14, v2
	s_add_i32 s2, s16, 1
	v_addc_co_u32_e32 v3, vcc, v5, v3, vcc
	s_mul_i32 s20, s20, s2
	v_add_co_u32_e32 v15, vcc, 32, v2
	v_mov_b32_e32 v14, v13
	v_mov_b32_e32 v18, s13
	;; [unrolled: 1-line block ×3, first 2 shown]
	s_add_i32 s27, s27, s20
	v_addc_co_u32_e32 v16, vcc, 0, v3, vcc
	s_mov_b64 s[14:15], 0
	s_movk_i32 s33, 0x42
	v_mov_b32_e32 v17, s12
	v_lshlrev_b32_e32 v46, 1, v4
	s_mov_b32 s35, 0x1010101
	s_movk_i32 s26, 0xff00
	s_mov_b32 s22, 0xc0c0105
	v_mov_b32_e32 v47, 3
	v_cmp_ne_u32_e64 s[6:7], 1, v44
	v_mov_b32_e32 v48, 8
	v_mov_b32_e32 v11, v14
	;; [unrolled: 1-line block ×4, first 2 shown]
	s_branch .LBB157_18
.LBB157_17:                             ;   in Loop: Header=BB157_18 Depth=1
	v_lshrrev_b32_e32 v39, 18, v63
	v_cndmask_b32_e64 v66, 0, -1, s[94:95]
	v_cndmask_b32_e64 v68, 0, -1, s[92:93]
	v_bfe_i32 v40, v63, 0, 1
	v_lshlrev_b16_e32 v66, 8, v66
	v_bfe_i32 v39, v39, 0, 1
	v_lshlrev_b16_e32 v68, 8, v68
	v_or_b32_sdwa v67, v40, v66 dst_sel:DWORD dst_unused:UNUSED_PAD src0_sel:BYTE_0 src1_sel:DWORD
	v_or_b32_sdwa v69, v39, v68 dst_sel:WORD_1 dst_unused:UNUSED_PAD src0_sel:BYTE_0 src1_sel:DWORD
	v_or_b32_sdwa v67, v67, v69 dst_sel:DWORD dst_unused:UNUSED_PAD src0_sel:WORD_0 src1_sel:DWORD
	v_xor_b32_e32 v27, v27, v67
	v_and_b32_e32 v67, 0xffffff00, v27
	v_sub_i16 v66, v67, v66 clamp
	v_lshlrev_b16_e32 v67, 8, v27
	v_lshlrev_b16_e32 v40, 8, v40
	v_sub_i16 v40, v67, v40 clamp
	v_perm_b32 v40, v40, v66, s22
	v_and_b32_sdwa v66, v27, s26 dst_sel:DWORD dst_unused:UNUSED_PAD src0_sel:WORD_1 src1_sel:DWORD
	v_lshlrev_b16_sdwa v27, v48, v27 dst_sel:DWORD dst_unused:UNUSED_PAD src0_sel:DWORD src1_sel:WORD_1
	v_lshlrev_b16_e32 v39, 8, v39
	v_sub_i16 v66, v66, v68 clamp
	v_sub_i16 v27, v27, v39 clamp
	v_perm_b32 v27, v27, v66, s22
	v_lshl_or_b32 v27, v27, 16, v40
	v_lshrrev_b32_e32 v39, 22, v63
	v_lshrrev_b16_e32 v40, 4, v65
	v_cndmask_b32_e64 v63, 0, -1, s[90:91]
	v_cndmask_b32_e64 v66, 0, -1, s[88:89]
	v_bfe_i32 v40, v40, 0, 1
	v_lshlrev_b16_e32 v63, 8, v63
	v_bfe_i32 v39, v39, 0, 1
	v_lshlrev_b16_e32 v66, 8, v66
	v_or_b32_sdwa v65, v40, v63 dst_sel:DWORD dst_unused:UNUSED_PAD src0_sel:BYTE_0 src1_sel:DWORD
	v_or_b32_sdwa v67, v39, v66 dst_sel:WORD_1 dst_unused:UNUSED_PAD src0_sel:BYTE_0 src1_sel:DWORD
	v_or_b32_sdwa v65, v65, v67 dst_sel:DWORD dst_unused:UNUSED_PAD src0_sel:WORD_0 src1_sel:DWORD
	v_xor_b32_e32 v28, v28, v65
	v_and_b32_e32 v65, 0xffffff00, v28
	v_sub_i16 v63, v65, v63 clamp
	v_lshlrev_b16_e32 v65, 8, v28
	v_lshlrev_b16_e32 v40, 8, v40
	v_sub_i16 v40, v65, v40 clamp
	v_perm_b32 v40, v40, v63, s22
	v_and_b32_sdwa v63, v28, s26 dst_sel:DWORD dst_unused:UNUSED_PAD src0_sel:WORD_1 src1_sel:DWORD
	v_lshlrev_b16_sdwa v28, v48, v28 dst_sel:DWORD dst_unused:UNUSED_PAD src0_sel:DWORD src1_sel:WORD_1
	v_lshlrev_b16_e32 v39, 8, v39
	v_sub_i16 v63, v63, v66 clamp
	v_sub_i16 v28, v28, v39 clamp
	v_perm_b32 v28, v28, v63, s22
	v_dot4_i32_i8 v27, v27, v7, 0
	v_lshl_or_b32 v28, v28, 16, v40
	v_dot4_i32_i8 v27, v28, v8, v27
	v_lshrrev_b32_e32 v28, 18, v59
	v_cndmask_b32_e64 v40, 0, -1, s[86:87]
	v_cndmask_b32_e64 v65, 0, -1, s[84:85]
	v_bfe_i32 v39, v59, 0, 1
	v_lshlrev_b16_e32 v40, 8, v40
	v_bfe_i32 v28, v28, 0, 1
	v_lshlrev_b16_e32 v65, 8, v65
	v_or_b32_sdwa v63, v39, v40 dst_sel:DWORD dst_unused:UNUSED_PAD src0_sel:BYTE_0 src1_sel:DWORD
	v_or_b32_sdwa v66, v28, v65 dst_sel:WORD_1 dst_unused:UNUSED_PAD src0_sel:BYTE_0 src1_sel:DWORD
	v_or_b32_sdwa v63, v63, v66 dst_sel:DWORD dst_unused:UNUSED_PAD src0_sel:WORD_0 src1_sel:DWORD
	v_xor_b32_e32 v25, v25, v63
	v_and_b32_e32 v63, 0xffffff00, v25
	v_sub_i16 v40, v63, v40 clamp
	v_lshlrev_b16_e32 v63, 8, v25
	v_lshlrev_b16_e32 v39, 8, v39
	v_sub_i16 v39, v63, v39 clamp
	v_perm_b32 v39, v39, v40, s22
	v_and_b32_sdwa v40, v25, s26 dst_sel:DWORD dst_unused:UNUSED_PAD src0_sel:WORD_1 src1_sel:DWORD
	v_lshlrev_b16_sdwa v25, v48, v25 dst_sel:DWORD dst_unused:UNUSED_PAD src0_sel:DWORD src1_sel:WORD_1
	v_lshlrev_b16_e32 v28, 8, v28
	v_sub_i16 v40, v40, v65 clamp
	v_sub_i16 v25, v25, v28 clamp
	v_perm_b32 v25, v25, v40, s22
	v_lshl_or_b32 v25, v25, 16, v39
	v_dot4_i32_i8 v25, v25, v9, v27
	v_lshrrev_b32_e32 v27, 22, v59
	v_lshrrev_b16_e32 v28, 4, v64
	v_cndmask_b32_e64 v39, 0, -1, s[82:83]
	v_cndmask_b32_e64 v59, 0, -1, s[80:81]
	v_bfe_i32 v28, v28, 0, 1
	v_lshlrev_b16_e32 v39, 8, v39
	v_bfe_i32 v27, v27, 0, 1
	v_lshlrev_b16_e32 v59, 8, v59
	v_or_b32_sdwa v40, v28, v39 dst_sel:DWORD dst_unused:UNUSED_PAD src0_sel:BYTE_0 src1_sel:DWORD
	v_or_b32_sdwa v63, v27, v59 dst_sel:WORD_1 dst_unused:UNUSED_PAD src0_sel:BYTE_0 src1_sel:DWORD
	v_or_b32_sdwa v40, v40, v63 dst_sel:DWORD dst_unused:UNUSED_PAD src0_sel:WORD_0 src1_sel:DWORD
	v_xor_b32_e32 v26, v26, v40
	v_and_b32_e32 v40, 0xffffff00, v26
	v_sub_i16 v39, v40, v39 clamp
	v_lshlrev_b16_e32 v40, 8, v26
	v_lshlrev_b16_e32 v28, 8, v28
	v_sub_i16 v28, v40, v28 clamp
	v_perm_b32 v28, v28, v39, s22
	v_and_b32_sdwa v39, v26, s26 dst_sel:DWORD dst_unused:UNUSED_PAD src0_sel:WORD_1 src1_sel:DWORD
	v_lshlrev_b16_sdwa v26, v48, v26 dst_sel:DWORD dst_unused:UNUSED_PAD src0_sel:DWORD src1_sel:WORD_1
	v_lshlrev_b16_e32 v27, 8, v27
	v_sub_i16 v39, v39, v59 clamp
	v_sub_i16 v26, v26, v27 clamp
	v_perm_b32 v26, v26, v39, s22
	v_lshl_or_b32 v26, v26, 16, v28
	v_dot4_i32_i8 v25, v26, v2, v25
	v_lshrrev_b32_e32 v26, 18, v61
	v_cndmask_b32_e64 v28, 0, -1, s[78:79]
	v_cndmask_b32_e64 v40, 0, -1, s[76:77]
	v_bfe_i32 v27, v61, 0, 1
	v_lshlrev_b16_e32 v28, 8, v28
	v_bfe_i32 v26, v26, 0, 1
	v_lshlrev_b16_e32 v40, 8, v40
	v_or_b32_sdwa v39, v27, v28 dst_sel:DWORD dst_unused:UNUSED_PAD src0_sel:BYTE_0 src1_sel:DWORD
	v_or_b32_sdwa v59, v26, v40 dst_sel:WORD_1 dst_unused:UNUSED_PAD src0_sel:BYTE_0 src1_sel:DWORD
	v_or_b32_sdwa v39, v39, v59 dst_sel:DWORD dst_unused:UNUSED_PAD src0_sel:WORD_0 src1_sel:DWORD
	v_xor_b32_e32 v23, v23, v39
	v_and_b32_e32 v39, 0xffffff00, v23
	v_sub_i16 v28, v39, v28 clamp
	v_lshlrev_b16_e32 v39, 8, v23
	v_lshlrev_b16_e32 v27, 8, v27
	v_sub_i16 v27, v39, v27 clamp
	v_perm_b32 v27, v27, v28, s22
	v_and_b32_sdwa v28, v23, s26 dst_sel:DWORD dst_unused:UNUSED_PAD src0_sel:WORD_1 src1_sel:DWORD
	v_lshlrev_b16_sdwa v23, v48, v23 dst_sel:DWORD dst_unused:UNUSED_PAD src0_sel:DWORD src1_sel:WORD_1
	v_lshlrev_b16_e32 v26, 8, v26
	v_sub_i16 v28, v28, v40 clamp
	v_sub_i16 v23, v23, v26 clamp
	v_perm_b32 v23, v23, v28, s22
	v_lshl_or_b32 v23, v23, 16, v27
	v_dot4_i32_i8 v23, v23, v3, v25
	v_lshrrev_b32_e32 v25, 22, v61
	v_lshrrev_b16_e32 v26, 4, v62
	v_cndmask_b32_e64 v27, 0, -1, s[74:75]
	v_cndmask_b32_e64 v39, 0, -1, s[72:73]
	v_bfe_i32 v26, v26, 0, 1
	v_lshlrev_b16_e32 v27, 8, v27
	v_bfe_i32 v25, v25, 0, 1
	v_lshlrev_b16_e32 v39, 8, v39
	v_or_b32_sdwa v28, v26, v27 dst_sel:DWORD dst_unused:UNUSED_PAD src0_sel:BYTE_0 src1_sel:DWORD
	v_or_b32_sdwa v40, v25, v39 dst_sel:WORD_1 dst_unused:UNUSED_PAD src0_sel:BYTE_0 src1_sel:DWORD
	v_or_b32_sdwa v28, v28, v40 dst_sel:DWORD dst_unused:UNUSED_PAD src0_sel:WORD_0 src1_sel:DWORD
	v_xor_b32_e32 v24, v24, v28
	v_and_b32_e32 v28, 0xffffff00, v24
	v_sub_i16 v27, v28, v27 clamp
	v_lshlrev_b16_e32 v28, 8, v24
	v_lshlrev_b16_e32 v26, 8, v26
	v_sub_i16 v26, v28, v26 clamp
	v_perm_b32 v26, v26, v27, s22
	v_and_b32_sdwa v27, v24, s26 dst_sel:DWORD dst_unused:UNUSED_PAD src0_sel:WORD_1 src1_sel:DWORD
	v_lshlrev_b16_sdwa v24, v48, v24 dst_sel:DWORD dst_unused:UNUSED_PAD src0_sel:DWORD src1_sel:WORD_1
	v_lshlrev_b16_e32 v25, 8, v25
	v_sub_i16 v27, v27, v39 clamp
	v_sub_i16 v24, v24, v25 clamp
	v_perm_b32 v24, v24, v27, s22
	v_lshl_or_b32 v24, v24, 16, v26
	v_dot4_i32_i8 v23, v24, v4, v23
	v_lshrrev_b32_e32 v24, 18, v58
	v_cndmask_b32_e64 v26, 0, -1, s[70:71]
	v_cndmask_b32_e64 v28, 0, -1, s[68:69]
	v_bfe_i32 v25, v58, 0, 1
	v_lshlrev_b16_e32 v26, 8, v26
	v_bfe_i32 v24, v24, 0, 1
	v_lshlrev_b16_e32 v28, 8, v28
	v_or_b32_sdwa v27, v25, v26 dst_sel:DWORD dst_unused:UNUSED_PAD src0_sel:BYTE_0 src1_sel:DWORD
	v_or_b32_sdwa v39, v24, v28 dst_sel:WORD_1 dst_unused:UNUSED_PAD src0_sel:BYTE_0 src1_sel:DWORD
	v_or_b32_sdwa v27, v27, v39 dst_sel:DWORD dst_unused:UNUSED_PAD src0_sel:WORD_0 src1_sel:DWORD
	v_xor_b32_e32 v21, v21, v27
	v_and_b32_e32 v27, 0xffffff00, v21
	v_sub_i16 v26, v27, v26 clamp
	v_lshlrev_b16_e32 v27, 8, v21
	v_lshlrev_b16_e32 v25, 8, v25
	v_sub_i16 v25, v27, v25 clamp
	v_perm_b32 v25, v25, v26, s22
	v_and_b32_sdwa v26, v21, s26 dst_sel:DWORD dst_unused:UNUSED_PAD src0_sel:WORD_1 src1_sel:DWORD
	v_lshlrev_b16_sdwa v21, v48, v21 dst_sel:DWORD dst_unused:UNUSED_PAD src0_sel:DWORD src1_sel:WORD_1
	v_lshlrev_b16_e32 v24, 8, v24
	v_sub_i16 v26, v26, v28 clamp
	v_sub_i16 v21, v21, v24 clamp
	v_perm_b32 v21, v21, v26, s22
	v_lshl_or_b32 v21, v21, 16, v25
	v_dot4_i32_i8 v21, v21, v5, v23
	v_lshrrev_b32_e32 v23, 22, v58
	v_lshrrev_b16_e32 v24, 4, v60
	v_cndmask_b32_e64 v25, 0, -1, s[66:67]
	v_cndmask_b32_e64 v27, 0, -1, s[64:65]
	v_bfe_i32 v24, v24, 0, 1
	v_lshlrev_b16_e32 v25, 8, v25
	v_bfe_i32 v23, v23, 0, 1
	v_lshlrev_b16_e32 v27, 8, v27
	v_or_b32_sdwa v26, v24, v25 dst_sel:DWORD dst_unused:UNUSED_PAD src0_sel:BYTE_0 src1_sel:DWORD
	v_or_b32_sdwa v28, v23, v27 dst_sel:WORD_1 dst_unused:UNUSED_PAD src0_sel:BYTE_0 src1_sel:DWORD
	v_or_b32_sdwa v26, v26, v28 dst_sel:DWORD dst_unused:UNUSED_PAD src0_sel:WORD_0 src1_sel:DWORD
	v_xor_b32_e32 v22, v22, v26
	v_and_b32_e32 v26, 0xffffff00, v22
	v_sub_i16 v25, v26, v25 clamp
	v_lshlrev_b16_e32 v26, 8, v22
	v_lshlrev_b16_e32 v24, 8, v24
	v_sub_i16 v24, v26, v24 clamp
	v_perm_b32 v24, v24, v25, s22
	v_and_b32_sdwa v25, v22, s26 dst_sel:DWORD dst_unused:UNUSED_PAD src0_sel:WORD_1 src1_sel:DWORD
	v_lshlrev_b16_sdwa v22, v48, v22 dst_sel:DWORD dst_unused:UNUSED_PAD src0_sel:DWORD src1_sel:WORD_1
	v_lshlrev_b16_e32 v23, 8, v23
	v_sub_i16 v25, v25, v27 clamp
	v_sub_i16 v22, v22, v23 clamp
	v_perm_b32 v22, v22, v25, s22
	v_lshl_or_b32 v22, v22, 16, v24
	v_lshrrev_b32_e32 v20, 27, v20
	v_dot4_i32_i8 v21, v22, v49, v21
	v_or_b32_e32 v20, 1, v20
	v_mul_lo_u32 v20, v21, v20
	v_cndmask_b32_e64 v23, 0, -1, s[62:63]
	v_cndmask_b32_e64 v25, 0, -1, s[60:61]
	v_bfe_i32 v22, v56, 0, 1
	v_ashrrev_i32_e32 v21, 31, v20
	v_lshrrev_b32_e32 v21, 29, v21
	v_add_u32_e32 v20, v20, v21
	v_lshrrev_b32_e32 v21, 18, v56
	v_lshlrev_b16_e32 v23, 8, v23
	v_bfe_i32 v21, v21, 0, 1
	v_lshlrev_b16_e32 v25, 8, v25
	v_or_b32_sdwa v24, v22, v23 dst_sel:DWORD dst_unused:UNUSED_PAD src0_sel:BYTE_0 src1_sel:DWORD
	v_or_b32_sdwa v26, v21, v25 dst_sel:WORD_1 dst_unused:UNUSED_PAD src0_sel:BYTE_0 src1_sel:DWORD
	v_or_b32_sdwa v24, v24, v26 dst_sel:DWORD dst_unused:UNUSED_PAD src0_sel:WORD_0 src1_sel:DWORD
	s_waitcnt vmcnt(3)
	v_xor_b32_e32 v24, v37, v24
	v_and_b32_e32 v26, 0xffffff00, v24
	v_sub_i16 v23, v26, v23 clamp
	v_lshlrev_b16_e32 v26, 8, v24
	v_lshlrev_b16_e32 v22, 8, v22
	v_sub_i16 v22, v26, v22 clamp
	v_perm_b32 v22, v22, v23, s22
	v_and_b32_sdwa v23, v24, s26 dst_sel:DWORD dst_unused:UNUSED_PAD src0_sel:WORD_1 src1_sel:DWORD
	v_lshlrev_b16_sdwa v24, v48, v24 dst_sel:DWORD dst_unused:UNUSED_PAD src0_sel:DWORD src1_sel:WORD_1
	v_lshlrev_b16_e32 v21, 8, v21
	v_sub_i16 v23, v23, v25 clamp
	v_sub_i16 v21, v24, v21 clamp
	v_perm_b32 v21, v21, v23, s22
	v_lshl_or_b32 v21, v21, 16, v22
	v_dot4_i32_i8 v7, v21, v7, 0
	v_lshrrev_b32_e32 v21, 22, v56
	v_lshrrev_b16_e32 v22, 4, v57
	v_cndmask_b32_e64 v23, 0, -1, s[58:59]
	v_cndmask_b32_e64 v25, 0, -1, s[56:57]
	v_bfe_i32 v22, v22, 0, 1
	v_lshlrev_b16_e32 v23, 8, v23
	v_bfe_i32 v21, v21, 0, 1
	v_lshlrev_b16_e32 v25, 8, v25
	v_or_b32_sdwa v24, v22, v23 dst_sel:DWORD dst_unused:UNUSED_PAD src0_sel:BYTE_0 src1_sel:DWORD
	v_or_b32_sdwa v26, v21, v25 dst_sel:WORD_1 dst_unused:UNUSED_PAD src0_sel:BYTE_0 src1_sel:DWORD
	v_or_b32_sdwa v24, v24, v26 dst_sel:DWORD dst_unused:UNUSED_PAD src0_sel:WORD_0 src1_sel:DWORD
	v_xor_b32_e32 v24, v38, v24
	v_and_b32_e32 v26, 0xffffff00, v24
	v_sub_i16 v23, v26, v23 clamp
	v_lshlrev_b16_e32 v26, 8, v24
	v_lshlrev_b16_e32 v22, 8, v22
	v_sub_i16 v22, v26, v22 clamp
	v_perm_b32 v22, v22, v23, s22
	v_and_b32_sdwa v23, v24, s26 dst_sel:DWORD dst_unused:UNUSED_PAD src0_sel:WORD_1 src1_sel:DWORD
	v_lshlrev_b16_sdwa v24, v48, v24 dst_sel:DWORD dst_unused:UNUSED_PAD src0_sel:DWORD src1_sel:WORD_1
	v_lshlrev_b16_e32 v21, 8, v21
	v_sub_i16 v23, v23, v25 clamp
	v_sub_i16 v21, v24, v21 clamp
	v_perm_b32 v21, v21, v23, s22
	v_lshl_or_b32 v21, v21, 16, v22
	v_dot4_i32_i8 v7, v21, v8, v7
	v_lshrrev_b32_e32 v8, 18, v54
	v_cndmask_b32_e64 v22, 0, -1, s[54:55]
	v_cndmask_b32_e64 v24, 0, -1, s[52:53]
	v_bfe_i32 v21, v54, 0, 1
	v_lshlrev_b16_e32 v22, 8, v22
	v_bfe_i32 v8, v8, 0, 1
	v_lshlrev_b16_e32 v24, 8, v24
	v_or_b32_sdwa v23, v21, v22 dst_sel:DWORD dst_unused:UNUSED_PAD src0_sel:BYTE_0 src1_sel:DWORD
	v_or_b32_sdwa v25, v8, v24 dst_sel:WORD_1 dst_unused:UNUSED_PAD src0_sel:BYTE_0 src1_sel:DWORD
	v_or_b32_sdwa v23, v23, v25 dst_sel:DWORD dst_unused:UNUSED_PAD src0_sel:WORD_0 src1_sel:DWORD
	s_waitcnt vmcnt(2)
	v_xor_b32_e32 v23, v35, v23
	v_and_b32_e32 v25, 0xffffff00, v23
	v_sub_i16 v22, v25, v22 clamp
	v_lshlrev_b16_e32 v25, 8, v23
	v_lshlrev_b16_e32 v21, 8, v21
	v_sub_i16 v21, v25, v21 clamp
	v_perm_b32 v21, v21, v22, s22
	v_and_b32_sdwa v22, v23, s26 dst_sel:DWORD dst_unused:UNUSED_PAD src0_sel:WORD_1 src1_sel:DWORD
	v_lshlrev_b16_sdwa v23, v48, v23 dst_sel:DWORD dst_unused:UNUSED_PAD src0_sel:DWORD src1_sel:WORD_1
	v_lshlrev_b16_e32 v8, 8, v8
	v_sub_i16 v22, v22, v24 clamp
	v_sub_i16 v8, v23, v8 clamp
	v_perm_b32 v8, v8, v22, s22
	v_lshl_or_b32 v8, v8, 16, v21
	v_dot4_i32_i8 v7, v8, v9, v7
	v_lshrrev_b32_e32 v8, 22, v54
	v_lshrrev_b16_e32 v9, 4, v55
	v_cndmask_b32_e64 v21, 0, -1, s[50:51]
	v_cndmask_b32_e64 v23, 0, -1, s[48:49]
	v_bfe_i32 v9, v9, 0, 1
	v_lshlrev_b16_e32 v21, 8, v21
	v_bfe_i32 v8, v8, 0, 1
	v_lshlrev_b16_e32 v23, 8, v23
	v_or_b32_sdwa v22, v9, v21 dst_sel:DWORD dst_unused:UNUSED_PAD src0_sel:BYTE_0 src1_sel:DWORD
	v_or_b32_sdwa v24, v8, v23 dst_sel:WORD_1 dst_unused:UNUSED_PAD src0_sel:BYTE_0 src1_sel:DWORD
	v_or_b32_sdwa v22, v22, v24 dst_sel:DWORD dst_unused:UNUSED_PAD src0_sel:WORD_0 src1_sel:DWORD
	v_xor_b32_e32 v22, v36, v22
	v_and_b32_e32 v24, 0xffffff00, v22
	v_sub_i16 v21, v24, v21 clamp
	v_lshlrev_b16_e32 v24, 8, v22
	v_lshlrev_b16_e32 v9, 8, v9
	v_sub_i16 v9, v24, v9 clamp
	v_perm_b32 v9, v9, v21, s22
	v_and_b32_sdwa v21, v22, s26 dst_sel:DWORD dst_unused:UNUSED_PAD src0_sel:WORD_1 src1_sel:DWORD
	v_lshlrev_b16_sdwa v22, v48, v22 dst_sel:DWORD dst_unused:UNUSED_PAD src0_sel:DWORD src1_sel:WORD_1
	v_lshlrev_b16_e32 v8, 8, v8
	v_sub_i16 v21, v21, v23 clamp
	v_sub_i16 v8, v22, v8 clamp
	v_perm_b32 v8, v8, v21, s22
	v_lshl_or_b32 v8, v8, 16, v9
	v_dot4_i32_i8 v2, v8, v2, v7
	v_lshrrev_b32_e32 v7, 18, v52
	v_cndmask_b32_e64 v9, 0, -1, s[46:47]
	v_cndmask_b32_e64 v22, 0, -1, s[44:45]
	v_bfe_i32 v8, v52, 0, 1
	;; [unrolled: 52-line block ×3, first 2 shown]
	v_lshlrev_b16_e32 v7, 8, v7
	v_bfe_i32 v3, v3, 0, 1
	v_lshlrev_b16_e32 v9, 8, v9
	v_or_b32_sdwa v8, v4, v7 dst_sel:DWORD dst_unused:UNUSED_PAD src0_sel:BYTE_0 src1_sel:DWORD
	v_or_b32_sdwa v21, v3, v9 dst_sel:WORD_1 dst_unused:UNUSED_PAD src0_sel:BYTE_0 src1_sel:DWORD
	v_or_b32_sdwa v8, v8, v21 dst_sel:DWORD dst_unused:UNUSED_PAD src0_sel:WORD_0 src1_sel:DWORD
	s_waitcnt vmcnt(0)
	v_xor_b32_e32 v8, v31, v8
	v_and_b32_e32 v21, 0xffffff00, v8
	v_sub_i16 v7, v21, v7 clamp
	v_lshlrev_b16_e32 v21, 8, v8
	v_lshlrev_b16_e32 v4, 8, v4
	v_sub_i16 v4, v21, v4 clamp
	v_perm_b32 v4, v4, v7, s22
	v_and_b32_sdwa v7, v8, s26 dst_sel:DWORD dst_unused:UNUSED_PAD src0_sel:WORD_1 src1_sel:DWORD
	v_lshlrev_b16_sdwa v8, v48, v8 dst_sel:DWORD dst_unused:UNUSED_PAD src0_sel:DWORD src1_sel:WORD_1
	v_lshlrev_b16_e32 v3, 8, v3
	v_sub_i16 v7, v7, v9 clamp
	v_sub_i16 v3, v8, v3 clamp
	v_perm_b32 v3, v3, v7, s22
	v_lshl_or_b32 v3, v3, 16, v4
	v_dot4_i32_i8 v2, v3, v5, v2
	v_lshrrev_b32_e32 v3, 22, v29
	v_lshrrev_b16_e32 v4, 4, v51
	v_cndmask_b32_e64 v5, 0, -1, s[20:21]
	v_cndmask_b32_e64 v8, 0, -1, s[10:11]
	v_bfe_i32 v4, v4, 0, 1
	v_lshlrev_b16_e32 v5, 8, v5
	v_bfe_i32 v3, v3, 0, 1
	v_lshlrev_b16_e32 v8, 8, v8
	v_or_b32_sdwa v7, v4, v5 dst_sel:DWORD dst_unused:UNUSED_PAD src0_sel:BYTE_0 src1_sel:DWORD
	v_or_b32_sdwa v9, v3, v8 dst_sel:WORD_1 dst_unused:UNUSED_PAD src0_sel:BYTE_0 src1_sel:DWORD
	v_or_b32_sdwa v7, v7, v9 dst_sel:DWORD dst_unused:UNUSED_PAD src0_sel:WORD_0 src1_sel:DWORD
	v_xor_b32_e32 v7, v32, v7
	v_and_b32_e32 v9, 0xffffff00, v7
	v_sub_i16 v5, v9, v5 clamp
	v_lshlrev_b16_e32 v9, 8, v7
	v_lshlrev_b16_e32 v4, 8, v4
	v_sub_i16 v4, v9, v4 clamp
	v_perm_b32 v4, v4, v5, s22
	v_and_b32_sdwa v5, v7, s26 dst_sel:DWORD dst_unused:UNUSED_PAD src0_sel:WORD_1 src1_sel:DWORD
	v_lshlrev_b16_sdwa v7, v48, v7 dst_sel:DWORD dst_unused:UNUSED_PAD src0_sel:DWORD src1_sel:WORD_1
	v_lshlrev_b16_e32 v3, 8, v3
	v_sub_i16 v5, v5, v8 clamp
	v_sub_i16 v3, v7, v3 clamp
	v_perm_b32 v3, v3, v5, s22
	v_lshl_or_b32 v3, v3, 16, v4
	v_dot4_i32_i8 v2, v3, v49, v2
	v_lshrrev_b32_e32 v3, 27, v30
	v_or_b32_e32 v3, 1, v3
	v_mul_lo_u32 v2, v2, v3
	v_ashrrev_i32_e32 v3, 3, v20
	v_cvt_f32_f16_e32 v4, v50
	v_cvt_f32_i32_e32 v3, v3
	v_ashrrev_i32_e32 v5, 31, v2
	v_lshrrev_b32_e32 v5, 29, v5
	v_add_u32_e32 v2, v2, v5
	v_ashrrev_i32_e32 v2, 3, v2
	v_cvt_f32_f16_e32 v5, v19
	v_cvt_f32_i32_e32 v2, v2
	v_mul_f32_e32 v4, v4, v6
	v_add_u32_e32 v45, 16, v45
	v_fmac_f32_e32 v14, v4, v3
	v_mul_f32_e32 v3, v5, v6
	v_add_co_u32_e32 v15, vcc, 0x1200, v15
	v_cmp_le_u32_e64 s[10:11], s17, v45
	v_fmac_f32_e32 v12, v3, v2
	s_or_b64 s[14:15], s[10:11], s[14:15]
	v_addc_co_u32_e32 v16, vcc, 0, v16, vcc
	s_andn2_b64 exec, exec, s[14:15]
	s_cbranch_execz .LBB157_22
.LBB157_18:                             ; =>This Inner Loop Header: Depth=1
	v_add_u32_e32 v29, s23, v45
	v_mad_i64_i32 v[2:3], s[10:11], v29, s33, v[17:18]
	s_getpc_b64 s[10:11]
	s_add_u32 s10, s10, _ZL11iq2xxs_grid@rel32@lo+4
	s_addc_u32 s11, s11, _ZL11iq2xxs_grid@rel32@hi+12
	v_add_co_u32_e32 v4, vcc, v2, v46
	v_addc_co_u32_e32 v5, vcc, 0, v3, vcc
	global_load_dwordx2 v[19:20], v[4:5], off offset:2
	global_load_dword v49, v[15:16], off
	global_load_dwordx4 v[6:9], v[15:16], off offset:-32
	global_load_ushort v50, v[2:3], off
	s_and_b64 vcc, exec, s[6:7]
	s_waitcnt vmcnt(3)
	v_lshlrev_b32_sdwa v30, v47, v19 dst_sel:DWORD dst_unused:UNUSED_PAD src0_sel:DWORD src1_sel:BYTE_0
	v_lshlrev_b32_sdwa v31, v47, v19 dst_sel:DWORD dst_unused:UNUSED_PAD src0_sel:DWORD src1_sel:BYTE_1
	v_lshlrev_b32_sdwa v32, v47, v19 dst_sel:DWORD dst_unused:UNUSED_PAD src0_sel:DWORD src1_sel:BYTE_2
	v_lshlrev_b32_sdwa v19, v47, v19 dst_sel:DWORD dst_unused:UNUSED_PAD src0_sel:DWORD src1_sel:BYTE_3
	global_load_dwordx2 v[27:28], v30, s[10:11]
	global_load_dwordx2 v[25:26], v31, s[10:11]
	;; [unrolled: 1-line block ×4, first 2 shown]
	global_load_dwordx4 v[2:5], v[15:16], off offset:-16
	s_waitcnt vmcnt(6)
	v_cvt_f32_f16_e32 v6, v6
	s_cbranch_vccnz .LBB157_20
; %bb.19:                               ;   in Loop: Header=BB157_18 Depth=1
	v_mov_b32_e32 v31, s29
	v_mov_b32_e32 v30, s28
	v_mad_i64_i32 v[29:30], s[20:21], v29, s33, v[30:31]
	v_add_co_u32_e32 v31, vcc, v29, v46
	v_addc_co_u32_e32 v32, vcc, 0, v30, vcc
	global_load_dwordx2 v[31:32], v[31:32], off offset:2
	s_nop 0
	global_load_ushort v29, v[29:30], off
	s_waitcnt vmcnt(1)
	v_lshlrev_b32_sdwa v19, v47, v31 dst_sel:DWORD dst_unused:UNUSED_PAD src0_sel:DWORD src1_sel:BYTE_0
	global_load_dwordx2 v[33:34], v19, s[10:11]
	v_and_b32_e32 v19, 0xff, v32
	v_bcnt_u32_b32 v35, v19, 0
	v_and_b32_e32 v35, 1, v35
	v_lshlrev_b32_e32 v35, 7, v35
	v_xor_b32_e32 v19, v35, v19
	v_mul_lo_u32 v19, v19, s35
	s_waitcnt vmcnt(1)
	v_cvt_f32_f16_e32 v29, v29
	v_and_b32_e32 v35, 0x8040201, v19
	v_cmp_ne_u16_sdwa s[20:21], v35, v13 src0_sel:BYTE_3 src1_sel:DWORD
	v_cmp_ne_u16_sdwa s[24:25], v35, v13 src0_sel:BYTE_1 src1_sel:DWORD
	v_lshrrev_b32_e32 v36, 18, v19
	v_cndmask_b32_e64 v37, 0, -1, s[24:25]
	v_cndmask_b32_e64 v39, 0, -1, s[20:21]
	v_bfe_i32 v35, v19, 0, 1
	v_lshlrev_b16_e32 v37, 8, v37
	v_bfe_i32 v36, v36, 0, 1
	v_lshlrev_b16_e32 v39, 8, v39
	v_or_b32_sdwa v38, v35, v37 dst_sel:DWORD dst_unused:UNUSED_PAD src0_sel:BYTE_0 src1_sel:DWORD
	v_or_b32_sdwa v40, v36, v39 dst_sel:WORD_1 dst_unused:UNUSED_PAD src0_sel:BYTE_0 src1_sel:DWORD
	v_or_b32_sdwa v38, v38, v40 dst_sel:DWORD dst_unused:UNUSED_PAD src0_sel:WORD_0 src1_sel:DWORD
	v_lshlrev_b16_e32 v35, 8, v35
	v_lshlrev_b16_e32 v36, 8, v36
	v_mul_f32_e32 v29, v6, v29
	s_waitcnt vmcnt(0)
	v_xor_b32_e32 v33, v33, v38
	v_and_b32_e32 v38, 0xffffff00, v33
	v_sub_i16 v37, v38, v37 clamp
	v_lshlrev_b16_e32 v38, 8, v33
	v_sub_i16 v35, v38, v35 clamp
	v_perm_b32 v35, v35, v37, s22
	v_and_b32_sdwa v37, v33, s26 dst_sel:DWORD dst_unused:UNUSED_PAD src0_sel:WORD_1 src1_sel:DWORD
	v_lshlrev_b16_sdwa v33, v48, v33 dst_sel:DWORD dst_unused:UNUSED_PAD src0_sel:DWORD src1_sel:WORD_1
	v_sub_i16 v37, v37, v39 clamp
	v_sub_i16 v33, v33, v36 clamp
	v_perm_b32 v33, v33, v37, s22
	v_lshl_or_b32 v33, v33, 16, v35
	v_and_b32_e32 v35, 0x80402010, v19
	v_cmp_ne_u16_sdwa s[20:21], v35, v13 src0_sel:BYTE_3 src1_sel:DWORD
	v_cmp_ne_u16_sdwa s[24:25], v35, v13 src0_sel:BYTE_1 src1_sel:DWORD
	v_lshrrev_b32_e32 v19, 22, v19
	v_lshrrev_b16_e32 v35, 4, v35
	v_cndmask_b32_e64 v36, 0, -1, s[24:25]
	v_cndmask_b32_e64 v38, 0, -1, s[20:21]
	v_bfe_i32 v35, v35, 0, 1
	v_lshlrev_b16_e32 v36, 8, v36
	v_bfe_i32 v19, v19, 0, 1
	v_lshlrev_b16_e32 v38, 8, v38
	v_or_b32_sdwa v37, v35, v36 dst_sel:DWORD dst_unused:UNUSED_PAD src0_sel:BYTE_0 src1_sel:DWORD
	v_or_b32_sdwa v39, v19, v38 dst_sel:WORD_1 dst_unused:UNUSED_PAD src0_sel:BYTE_0 src1_sel:DWORD
	v_or_b32_sdwa v37, v37, v39 dst_sel:DWORD dst_unused:UNUSED_PAD src0_sel:WORD_0 src1_sel:DWORD
	v_xor_b32_e32 v34, v34, v37
	v_and_b32_e32 v37, 0xffffff00, v34
	v_sub_i16 v36, v37, v36 clamp
	v_lshlrev_b16_e32 v37, 8, v34
	v_lshlrev_b16_e32 v35, 8, v35
	v_sub_i16 v35, v37, v35 clamp
	v_perm_b32 v35, v35, v36, s22
	v_and_b32_sdwa v36, v34, s26 dst_sel:DWORD dst_unused:UNUSED_PAD src0_sel:WORD_1 src1_sel:DWORD
	v_lshlrev_b16_sdwa v34, v48, v34 dst_sel:DWORD dst_unused:UNUSED_PAD src0_sel:DWORD src1_sel:WORD_1
	v_lshlrev_b16_e32 v19, 8, v19
	v_sub_i16 v36, v36, v38 clamp
	v_sub_i16 v19, v34, v19 clamp
	v_perm_b32 v19, v19, v36, s22
	v_dot4_i32_i8 v33, v33, v7, 0
	v_lshl_or_b32 v19, v19, 16, v35
	v_dot4_i32_i8 v19, v19, v8, v33
	v_lshlrev_b32_sdwa v33, v47, v31 dst_sel:DWORD dst_unused:UNUSED_PAD src0_sel:DWORD src1_sel:BYTE_1
	global_load_dwordx2 v[33:34], v33, s[10:11]
	v_bfe_u32 v35, v32, 7, 8
	v_bcnt_u32_b32 v36, v35, 0
	v_and_b32_e32 v36, 1, v36
	v_lshlrev_b32_e32 v36, 7, v36
	v_xor_b32_e32 v35, v36, v35
	v_mul_lo_u32 v35, v35, s35
	v_and_b32_e32 v36, 0x8040201, v35
	v_cmp_ne_u16_sdwa s[20:21], v36, v13 src0_sel:BYTE_3 src1_sel:DWORD
	v_cmp_ne_u16_sdwa s[24:25], v36, v13 src0_sel:BYTE_1 src1_sel:DWORD
	v_lshrrev_b32_e32 v37, 18, v35
	v_cndmask_b32_e64 v38, 0, -1, s[24:25]
	v_cndmask_b32_e64 v40, 0, -1, s[20:21]
	v_bfe_i32 v36, v35, 0, 1
	v_lshlrev_b16_e32 v38, 8, v38
	v_bfe_i32 v37, v37, 0, 1
	v_lshlrev_b16_e32 v40, 8, v40
	v_or_b32_sdwa v39, v36, v38 dst_sel:DWORD dst_unused:UNUSED_PAD src0_sel:BYTE_0 src1_sel:DWORD
	v_or_b32_sdwa v51, v37, v40 dst_sel:WORD_1 dst_unused:UNUSED_PAD src0_sel:BYTE_0 src1_sel:DWORD
	v_or_b32_sdwa v39, v39, v51 dst_sel:DWORD dst_unused:UNUSED_PAD src0_sel:WORD_0 src1_sel:DWORD
	v_lshlrev_b16_e32 v36, 8, v36
	v_lshlrev_b16_e32 v37, 8, v37
	s_waitcnt vmcnt(0)
	v_xor_b32_e32 v33, v33, v39
	v_and_b32_e32 v39, 0xffffff00, v33
	v_sub_i16 v38, v39, v38 clamp
	v_lshlrev_b16_e32 v39, 8, v33
	v_sub_i16 v36, v39, v36 clamp
	v_perm_b32 v36, v36, v38, s22
	v_and_b32_sdwa v38, v33, s26 dst_sel:DWORD dst_unused:UNUSED_PAD src0_sel:WORD_1 src1_sel:DWORD
	v_lshlrev_b16_sdwa v33, v48, v33 dst_sel:DWORD dst_unused:UNUSED_PAD src0_sel:DWORD src1_sel:WORD_1
	v_sub_i16 v38, v38, v40 clamp
	v_sub_i16 v33, v33, v37 clamp
	v_perm_b32 v33, v33, v38, s22
	v_lshl_or_b32 v33, v33, 16, v36
	v_dot4_i32_i8 v19, v33, v9, v19
	v_and_b32_e32 v33, 0x80402010, v35
	v_cmp_ne_u16_sdwa s[20:21], v33, v13 src0_sel:BYTE_3 src1_sel:DWORD
	v_cmp_ne_u16_sdwa s[24:25], v33, v13 src0_sel:BYTE_1 src1_sel:DWORD
	v_lshrrev_b32_e32 v35, 22, v35
	v_lshrrev_b16_e32 v33, 4, v33
	v_cndmask_b32_e64 v36, 0, -1, s[24:25]
	v_cndmask_b32_e64 v38, 0, -1, s[20:21]
	v_bfe_i32 v33, v33, 0, 1
	v_lshlrev_b16_e32 v36, 8, v36
	v_bfe_i32 v35, v35, 0, 1
	v_lshlrev_b16_e32 v38, 8, v38
	v_or_b32_sdwa v37, v33, v36 dst_sel:DWORD dst_unused:UNUSED_PAD src0_sel:BYTE_0 src1_sel:DWORD
	v_or_b32_sdwa v39, v35, v38 dst_sel:WORD_1 dst_unused:UNUSED_PAD src0_sel:BYTE_0 src1_sel:DWORD
	v_or_b32_sdwa v37, v37, v39 dst_sel:DWORD dst_unused:UNUSED_PAD src0_sel:WORD_0 src1_sel:DWORD
	v_xor_b32_e32 v34, v34, v37
	v_and_b32_e32 v37, 0xffffff00, v34
	v_sub_i16 v36, v37, v36 clamp
	v_lshlrev_b16_e32 v37, 8, v34
	v_lshlrev_b16_e32 v33, 8, v33
	v_sub_i16 v33, v37, v33 clamp
	v_perm_b32 v33, v33, v36, s22
	v_and_b32_sdwa v36, v34, s26 dst_sel:DWORD dst_unused:UNUSED_PAD src0_sel:WORD_1 src1_sel:DWORD
	v_lshlrev_b16_sdwa v34, v48, v34 dst_sel:DWORD dst_unused:UNUSED_PAD src0_sel:DWORD src1_sel:WORD_1
	v_lshlrev_b16_e32 v35, 8, v35
	v_sub_i16 v36, v36, v38 clamp
	v_sub_i16 v34, v34, v35 clamp
	v_perm_b32 v34, v34, v36, s22
	v_lshl_or_b32 v33, v34, 16, v33
	v_dot4_i32_i8 v19, v33, v2, v19
	v_lshlrev_b32_sdwa v33, v47, v31 dst_sel:DWORD dst_unused:UNUSED_PAD src0_sel:DWORD src1_sel:BYTE_2
	global_load_dwordx2 v[33:34], v33, s[10:11]
	v_bfe_u32 v35, v32, 14, 8
	v_bcnt_u32_b32 v36, v35, 0
	v_and_b32_e32 v36, 1, v36
	v_lshlrev_b32_e32 v36, 7, v36
	v_xor_b32_e32 v35, v36, v35
	v_mul_lo_u32 v35, v35, s35
	v_lshlrev_b32_sdwa v31, v47, v31 dst_sel:DWORD dst_unused:UNUSED_PAD src0_sel:DWORD src1_sel:BYTE_3
	v_and_b32_e32 v36, 0x8040201, v35
	v_cmp_ne_u16_sdwa s[20:21], v36, v13 src0_sel:BYTE_3 src1_sel:DWORD
	v_cmp_ne_u16_sdwa s[24:25], v36, v13 src0_sel:BYTE_1 src1_sel:DWORD
	v_lshrrev_b32_e32 v37, 18, v35
	v_cndmask_b32_e64 v38, 0, -1, s[24:25]
	v_cndmask_b32_e64 v40, 0, -1, s[20:21]
	v_bfe_i32 v36, v35, 0, 1
	v_lshlrev_b16_e32 v38, 8, v38
	v_bfe_i32 v37, v37, 0, 1
	v_lshlrev_b16_e32 v40, 8, v40
	v_or_b32_sdwa v39, v36, v38 dst_sel:DWORD dst_unused:UNUSED_PAD src0_sel:BYTE_0 src1_sel:DWORD
	v_or_b32_sdwa v51, v37, v40 dst_sel:WORD_1 dst_unused:UNUSED_PAD src0_sel:BYTE_0 src1_sel:DWORD
	v_or_b32_sdwa v39, v39, v51 dst_sel:DWORD dst_unused:UNUSED_PAD src0_sel:WORD_0 src1_sel:DWORD
	v_lshlrev_b16_e32 v36, 8, v36
	v_lshlrev_b16_e32 v37, 8, v37
	s_waitcnt vmcnt(0)
	v_xor_b32_e32 v33, v33, v39
	v_and_b32_e32 v39, 0xffffff00, v33
	v_sub_i16 v38, v39, v38 clamp
	v_lshlrev_b16_e32 v39, 8, v33
	v_sub_i16 v36, v39, v36 clamp
	v_perm_b32 v36, v36, v38, s22
	v_and_b32_sdwa v38, v33, s26 dst_sel:DWORD dst_unused:UNUSED_PAD src0_sel:WORD_1 src1_sel:DWORD
	v_lshlrev_b16_sdwa v33, v48, v33 dst_sel:DWORD dst_unused:UNUSED_PAD src0_sel:DWORD src1_sel:WORD_1
	v_sub_i16 v38, v38, v40 clamp
	v_sub_i16 v33, v33, v37 clamp
	v_perm_b32 v33, v33, v38, s22
	v_lshl_or_b32 v33, v33, 16, v36
	v_dot4_i32_i8 v19, v33, v3, v19
	v_and_b32_e32 v33, 0x80402010, v35
	v_cmp_ne_u16_sdwa s[20:21], v33, v13 src0_sel:BYTE_3 src1_sel:DWORD
	v_cmp_ne_u16_sdwa s[24:25], v33, v13 src0_sel:BYTE_1 src1_sel:DWORD
	v_lshrrev_b32_e32 v35, 22, v35
	v_lshrrev_b16_e32 v33, 4, v33
	v_cndmask_b32_e64 v36, 0, -1, s[24:25]
	v_cndmask_b32_e64 v38, 0, -1, s[20:21]
	v_bfe_i32 v33, v33, 0, 1
	v_lshlrev_b16_e32 v36, 8, v36
	v_bfe_i32 v35, v35, 0, 1
	v_lshlrev_b16_e32 v38, 8, v38
	v_or_b32_sdwa v37, v33, v36 dst_sel:DWORD dst_unused:UNUSED_PAD src0_sel:BYTE_0 src1_sel:DWORD
	v_or_b32_sdwa v39, v35, v38 dst_sel:WORD_1 dst_unused:UNUSED_PAD src0_sel:BYTE_0 src1_sel:DWORD
	v_or_b32_sdwa v37, v37, v39 dst_sel:DWORD dst_unused:UNUSED_PAD src0_sel:WORD_0 src1_sel:DWORD
	v_xor_b32_e32 v34, v34, v37
	v_and_b32_e32 v37, 0xffffff00, v34
	v_sub_i16 v36, v37, v36 clamp
	v_lshlrev_b16_e32 v37, 8, v34
	v_lshlrev_b16_e32 v33, 8, v33
	v_sub_i16 v33, v37, v33 clamp
	v_perm_b32 v33, v33, v36, s22
	v_and_b32_sdwa v36, v34, s26 dst_sel:DWORD dst_unused:UNUSED_PAD src0_sel:WORD_1 src1_sel:DWORD
	v_lshlrev_b16_sdwa v34, v48, v34 dst_sel:DWORD dst_unused:UNUSED_PAD src0_sel:DWORD src1_sel:WORD_1
	v_lshlrev_b16_e32 v35, 8, v35
	v_sub_i16 v36, v36, v38 clamp
	v_sub_i16 v34, v34, v35 clamp
	v_perm_b32 v34, v34, v36, s22
	v_lshl_or_b32 v33, v34, 16, v33
	v_dot4_i32_i8 v19, v33, v4, v19
	global_load_dwordx2 v[33:34], v31, s[10:11]
	v_bfe_u32 v31, v32, 21, 8
	v_bcnt_u32_b32 v35, v31, 0
	v_and_b32_e32 v35, 1, v35
	v_lshlrev_b32_e32 v35, 7, v35
	v_xor_b32_e32 v31, v35, v31
	v_mul_lo_u32 v31, v31, s35
	v_and_b32_e32 v35, 0x8040201, v31
	v_cmp_ne_u16_sdwa s[20:21], v35, v13 src0_sel:BYTE_3 src1_sel:DWORD
	v_cmp_ne_u16_sdwa s[24:25], v35, v13 src0_sel:BYTE_1 src1_sel:DWORD
	v_lshrrev_b32_e32 v36, 18, v31
	v_cndmask_b32_e64 v37, 0, -1, s[24:25]
	v_cndmask_b32_e64 v39, 0, -1, s[20:21]
	v_bfe_i32 v35, v31, 0, 1
	v_lshlrev_b16_e32 v37, 8, v37
	v_bfe_i32 v36, v36, 0, 1
	v_lshlrev_b16_e32 v39, 8, v39
	v_or_b32_sdwa v38, v35, v37 dst_sel:DWORD dst_unused:UNUSED_PAD src0_sel:BYTE_0 src1_sel:DWORD
	v_or_b32_sdwa v40, v36, v39 dst_sel:WORD_1 dst_unused:UNUSED_PAD src0_sel:BYTE_0 src1_sel:DWORD
	v_or_b32_sdwa v38, v38, v40 dst_sel:DWORD dst_unused:UNUSED_PAD src0_sel:WORD_0 src1_sel:DWORD
	v_lshlrev_b16_e32 v35, 8, v35
	v_lshlrev_b16_e32 v36, 8, v36
	s_waitcnt vmcnt(0)
	v_xor_b32_e32 v33, v33, v38
	v_and_b32_e32 v38, 0xffffff00, v33
	v_sub_i16 v37, v38, v37 clamp
	v_lshlrev_b16_e32 v38, 8, v33
	v_sub_i16 v35, v38, v35 clamp
	v_perm_b32 v35, v35, v37, s22
	v_and_b32_sdwa v37, v33, s26 dst_sel:DWORD dst_unused:UNUSED_PAD src0_sel:WORD_1 src1_sel:DWORD
	v_lshlrev_b16_sdwa v33, v48, v33 dst_sel:DWORD dst_unused:UNUSED_PAD src0_sel:DWORD src1_sel:WORD_1
	v_sub_i16 v37, v37, v39 clamp
	v_sub_i16 v33, v33, v36 clamp
	v_perm_b32 v33, v33, v37, s22
	v_lshl_or_b32 v33, v33, 16, v35
	v_dot4_i32_i8 v19, v33, v5, v19
	v_and_b32_e32 v33, 0x80402010, v31
	v_cmp_ne_u16_sdwa s[20:21], v33, v13 src0_sel:BYTE_3 src1_sel:DWORD
	v_cmp_ne_u16_sdwa s[24:25], v33, v13 src0_sel:BYTE_1 src1_sel:DWORD
	v_lshrrev_b32_e32 v31, 22, v31
	v_lshrrev_b16_e32 v33, 4, v33
	v_cndmask_b32_e64 v35, 0, -1, s[24:25]
	v_cndmask_b32_e64 v37, 0, -1, s[20:21]
	v_bfe_i32 v33, v33, 0, 1
	v_lshlrev_b16_e32 v35, 8, v35
	v_bfe_i32 v31, v31, 0, 1
	v_lshlrev_b16_e32 v37, 8, v37
	v_or_b32_sdwa v36, v33, v35 dst_sel:DWORD dst_unused:UNUSED_PAD src0_sel:BYTE_0 src1_sel:DWORD
	v_or_b32_sdwa v38, v31, v37 dst_sel:WORD_1 dst_unused:UNUSED_PAD src0_sel:BYTE_0 src1_sel:DWORD
	v_or_b32_sdwa v36, v36, v38 dst_sel:DWORD dst_unused:UNUSED_PAD src0_sel:WORD_0 src1_sel:DWORD
	v_xor_b32_e32 v34, v34, v36
	v_and_b32_e32 v36, 0xffffff00, v34
	v_sub_i16 v35, v36, v35 clamp
	v_lshlrev_b16_e32 v36, 8, v34
	v_lshlrev_b16_e32 v33, 8, v33
	v_sub_i16 v33, v36, v33 clamp
	v_perm_b32 v33, v33, v35, s22
	v_and_b32_sdwa v35, v34, s26 dst_sel:DWORD dst_unused:UNUSED_PAD src0_sel:WORD_1 src1_sel:DWORD
	v_lshlrev_b16_sdwa v34, v48, v34 dst_sel:DWORD dst_unused:UNUSED_PAD src0_sel:DWORD src1_sel:WORD_1
	v_lshlrev_b16_e32 v31, 8, v31
	v_sub_i16 v35, v35, v37 clamp
	v_sub_i16 v31, v34, v31 clamp
	v_perm_b32 v31, v31, v35, s22
	v_lshl_or_b32 v31, v31, 16, v33
	v_dot4_i32_i8 v19, v31, v49, v19
	v_lshrrev_b32_e32 v31, 27, v32
	v_or_b32_e32 v31, 1, v31
	v_mul_lo_u32 v19, v19, v31
	v_ashrrev_i32_e32 v31, 31, v19
	v_lshrrev_b32_e32 v31, 29, v31
	v_add_u32_e32 v19, v19, v31
	v_ashrrev_i32_e32 v19, 3, v19
	v_cvt_f32_i32_e32 v19, v19
	v_fma_f32 v10, v29, v19, v10
.LBB157_20:                             ;   in Loop: Header=BB157_18 Depth=1
	v_mov_b32_e32 v30, s13
	v_add_u32_e32 v39, s27, v45
	v_mov_b32_e32 v29, s12
	v_mad_i64_i32 v[31:32], s[20:21], v39, s33, v[29:30]
	v_and_b32_e32 v19, 0xff, v20
	v_bcnt_u32_b32 v34, v19, 0
	v_add_co_u32_e32 v29, vcc, v31, v46
	v_addc_co_u32_e32 v30, vcc, 0, v32, vcc
	global_load_dwordx2 v[29:30], v[29:30], off offset:2
	v_and_b32_e32 v34, 1, v34
	v_lshlrev_b32_e32 v34, 7, v34
	v_bfe_u32 v33, v20, 7, 8
	v_xor_b32_e32 v19, v34, v19
	v_bcnt_u32_b32 v35, v33, 0
	v_mul_lo_u32 v63, v19, s35
	v_and_b32_e32 v35, 1, v35
	v_lshlrev_b32_e32 v35, 7, v35
	v_xor_b32_e32 v19, v35, v33
	v_mul_lo_u32 v59, v19, s35
	global_load_ushort v19, v[31:32], off
	v_and_b32_e32 v31, 0x8040201, v63
	v_cmp_ne_u16_sdwa s[92:93], v31, v13 src0_sel:BYTE_3 src1_sel:DWORD
	v_cmp_ne_u16_sdwa s[94:95], v31, v13 src0_sel:BYTE_1 src1_sel:DWORD
	v_and_b32_e32 v65, 0x80402010, v63
	v_and_b32_e32 v64, 0x80402010, v59
	v_cmp_ne_u16_sdwa s[88:89], v65, v13 src0_sel:BYTE_3 src1_sel:DWORD
	v_cmp_ne_u16_sdwa s[90:91], v65, v13 src0_sel:BYTE_1 src1_sel:DWORD
	v_cmp_ne_u16_sdwa s[80:81], v64, v13 src0_sel:BYTE_3 src1_sel:DWORD
	v_cmp_ne_u16_sdwa s[82:83], v64, v13 src0_sel:BYTE_1 src1_sel:DWORD
	s_and_b64 vcc, exec, s[6:7]
	s_waitcnt vmcnt(1)
	v_lshlrev_b32_sdwa v40, v47, v29 dst_sel:DWORD dst_unused:UNUSED_PAD src0_sel:DWORD src1_sel:BYTE_0
	v_lshlrev_b32_sdwa v51, v47, v29 dst_sel:DWORD dst_unused:UNUSED_PAD src0_sel:DWORD src1_sel:BYTE_1
	v_lshlrev_b32_sdwa v52, v47, v29 dst_sel:DWORD dst_unused:UNUSED_PAD src0_sel:DWORD src1_sel:BYTE_2
	v_lshlrev_b32_sdwa v29, v47, v29 dst_sel:DWORD dst_unused:UNUSED_PAD src0_sel:DWORD src1_sel:BYTE_3
	global_load_dwordx2 v[37:38], v40, s[10:11]
	global_load_dwordx2 v[35:36], v51, s[10:11]
	;; [unrolled: 1-line block ×4, first 2 shown]
	v_and_b32_e32 v29, 0x8040201, v59
	v_cmp_ne_u16_sdwa s[84:85], v29, v13 src0_sel:BYTE_3 src1_sel:DWORD
	v_cmp_ne_u16_sdwa s[86:87], v29, v13 src0_sel:BYTE_1 src1_sel:DWORD
	v_bfe_u32 v29, v20, 14, 8
	v_bcnt_u32_b32 v40, v29, 0
	v_and_b32_e32 v40, 1, v40
	v_lshlrev_b32_e32 v40, 7, v40
	v_xor_b32_e32 v29, v40, v29
	v_mul_lo_u32 v61, v29, s35
	v_and_b32_e32 v29, 0x8040201, v61
	v_cmp_ne_u16_sdwa s[76:77], v29, v13 src0_sel:BYTE_3 src1_sel:DWORD
	v_cmp_ne_u16_sdwa s[78:79], v29, v13 src0_sel:BYTE_1 src1_sel:DWORD
	v_bfe_u32 v29, v20, 21, 8
	v_bcnt_u32_b32 v40, v29, 0
	v_and_b32_e32 v40, 1, v40
	v_lshlrev_b32_e32 v40, 7, v40
	v_xor_b32_e32 v29, v40, v29
	v_mul_lo_u32 v58, v29, s35
	v_and_b32_e32 v62, 0x80402010, v61
	v_cmp_ne_u16_sdwa s[72:73], v62, v13 src0_sel:BYTE_3 src1_sel:DWORD
	v_cmp_ne_u16_sdwa s[74:75], v62, v13 src0_sel:BYTE_1 src1_sel:DWORD
	v_and_b32_e32 v29, 0x8040201, v58
	v_cmp_ne_u16_sdwa s[68:69], v29, v13 src0_sel:BYTE_3 src1_sel:DWORD
	v_cmp_ne_u16_sdwa s[70:71], v29, v13 src0_sel:BYTE_1 src1_sel:DWORD
	v_and_b32_e32 v29, 0xff, v30
	v_bcnt_u32_b32 v40, v29, 0
	v_and_b32_e32 v40, 1, v40
	v_lshlrev_b32_e32 v40, 7, v40
	v_xor_b32_e32 v29, v40, v29
	v_mul_lo_u32 v56, v29, s35
	v_and_b32_e32 v60, 0x80402010, v58
	v_cmp_ne_u16_sdwa s[64:65], v60, v13 src0_sel:BYTE_3 src1_sel:DWORD
	v_cmp_ne_u16_sdwa s[66:67], v60, v13 src0_sel:BYTE_1 src1_sel:DWORD
	v_and_b32_e32 v29, 0x8040201, v56
	v_cmp_ne_u16_sdwa s[60:61], v29, v13 src0_sel:BYTE_3 src1_sel:DWORD
	v_cmp_ne_u16_sdwa s[62:63], v29, v13 src0_sel:BYTE_1 src1_sel:DWORD
	v_bfe_u32 v29, v30, 7, 8
	v_bcnt_u32_b32 v40, v29, 0
	v_and_b32_e32 v40, 1, v40
	v_lshlrev_b32_e32 v40, 7, v40
	v_xor_b32_e32 v29, v40, v29
	v_mul_lo_u32 v54, v29, s35
	v_and_b32_e32 v57, 0x80402010, v56
	v_cmp_ne_u16_sdwa s[56:57], v57, v13 src0_sel:BYTE_3 src1_sel:DWORD
	v_cmp_ne_u16_sdwa s[58:59], v57, v13 src0_sel:BYTE_1 src1_sel:DWORD
	v_and_b32_e32 v29, 0x8040201, v54
	v_cmp_ne_u16_sdwa s[52:53], v29, v13 src0_sel:BYTE_3 src1_sel:DWORD
	v_cmp_ne_u16_sdwa s[54:55], v29, v13 src0_sel:BYTE_1 src1_sel:DWORD
	v_bfe_u32 v29, v30, 14, 8
	;; [unrolled: 12-line block ×3, first 2 shown]
	v_bcnt_u32_b32 v40, v29, 0
	v_and_b32_e32 v40, 1, v40
	v_lshlrev_b32_e32 v40, 7, v40
	v_xor_b32_e32 v29, v40, v29
	v_mul_lo_u32 v29, v29, s35
	v_and_b32_e32 v53, 0x80402010, v52
	v_cmp_ne_u16_sdwa s[40:41], v53, v13 src0_sel:BYTE_3 src1_sel:DWORD
	v_cmp_ne_u16_sdwa s[42:43], v53, v13 src0_sel:BYTE_1 src1_sel:DWORD
	v_and_b32_e32 v40, 0x8040201, v29
	v_and_b32_e32 v51, 0x80402010, v29
	v_cmp_ne_u16_sdwa s[24:25], v40, v13 src0_sel:BYTE_3 src1_sel:DWORD
	v_cmp_ne_u16_sdwa s[36:37], v40, v13 src0_sel:BYTE_1 src1_sel:DWORD
	v_cmp_ne_u16_sdwa s[10:11], v51, v13 src0_sel:BYTE_3 src1_sel:DWORD
	v_cmp_ne_u16_sdwa s[20:21], v51, v13 src0_sel:BYTE_1 src1_sel:DWORD
	s_cbranch_vccnz .LBB157_17
; %bb.21:                               ;   in Loop: Header=BB157_18 Depth=1
	v_mov_b32_e32 v67, s29
	v_mov_b32_e32 v66, s28
	v_mad_i64_i32 v[39:40], vcc, v39, s33, v[66:67]
	v_add_co_u32_e32 v66, vcc, v39, v46
	v_addc_co_u32_e32 v67, vcc, 0, v40, vcc
	global_load_dwordx2 v[66:67], v[66:67], off offset:2
	s_getpc_b64 vcc
	s_add_u32 vcc_lo, vcc_lo, _ZL11iq2xxs_grid@rel32@lo+4
	s_addc_u32 vcc_hi, vcc_hi, _ZL11iq2xxs_grid@rel32@hi+12
	global_load_ushort v39, v[39:40], off
	s_waitcnt vmcnt(1)
	v_lshlrev_b32_sdwa v68, v47, v66 dst_sel:DWORD dst_unused:UNUSED_PAD src0_sel:DWORD src1_sel:BYTE_0
	global_load_dwordx2 v[68:69], v68, vcc
	v_and_b32_e32 v70, 0xff, v67
	v_bcnt_u32_b32 v71, v70, 0
	v_and_b32_e32 v71, 1, v71
	v_lshlrev_b32_e32 v71, 7, v71
	v_xor_b32_e32 v70, v71, v70
	v_mul_lo_u32 v70, v70, s35
	s_waitcnt vmcnt(1)
	v_cvt_f32_f16_e32 v39, v39
	v_and_b32_e32 v71, 0x8040201, v70
	v_cmp_ne_u16_sdwa s[38:39], v71, v13 src0_sel:BYTE_3 src1_sel:DWORD
	v_cmp_ne_u16_sdwa s[2:3], v71, v13 src0_sel:BYTE_1 src1_sel:DWORD
	v_lshrrev_b32_e32 v72, 18, v70
	v_cndmask_b32_e64 v73, 0, -1, s[2:3]
	v_cndmask_b32_e64 v75, 0, -1, s[38:39]
	v_bfe_i32 v71, v70, 0, 1
	v_lshlrev_b16_e32 v73, 8, v73
	v_bfe_i32 v72, v72, 0, 1
	v_lshlrev_b16_e32 v75, 8, v75
	v_or_b32_sdwa v74, v71, v73 dst_sel:DWORD dst_unused:UNUSED_PAD src0_sel:BYTE_0 src1_sel:DWORD
	v_or_b32_sdwa v76, v72, v75 dst_sel:WORD_1 dst_unused:UNUSED_PAD src0_sel:BYTE_0 src1_sel:DWORD
	v_or_b32_sdwa v74, v74, v76 dst_sel:DWORD dst_unused:UNUSED_PAD src0_sel:WORD_0 src1_sel:DWORD
	v_lshlrev_b16_e32 v71, 8, v71
	v_lshlrev_b16_e32 v72, 8, v72
	v_mul_f32_e32 v39, v6, v39
	s_waitcnt vmcnt(0)
	v_xor_b32_e32 v68, v68, v74
	v_and_b32_e32 v74, 0xffffff00, v68
	v_sub_i16 v73, v74, v73 clamp
	v_lshlrev_b16_e32 v74, 8, v68
	v_sub_i16 v71, v74, v71 clamp
	v_perm_b32 v71, v71, v73, s22
	v_and_b32_sdwa v73, v68, s26 dst_sel:DWORD dst_unused:UNUSED_PAD src0_sel:WORD_1 src1_sel:DWORD
	v_lshlrev_b16_sdwa v68, v48, v68 dst_sel:DWORD dst_unused:UNUSED_PAD src0_sel:DWORD src1_sel:WORD_1
	v_sub_i16 v73, v73, v75 clamp
	v_sub_i16 v68, v68, v72 clamp
	v_perm_b32 v68, v68, v73, s22
	v_lshl_or_b32 v68, v68, 16, v71
	v_and_b32_e32 v71, 0x80402010, v70
	v_cmp_ne_u16_sdwa s[2:3], v71, v13 src0_sel:BYTE_3 src1_sel:DWORD
	v_cmp_ne_u16_sdwa s[38:39], v71, v13 src0_sel:BYTE_1 src1_sel:DWORD
	v_lshrrev_b32_e32 v70, 22, v70
	v_lshrrev_b16_e32 v71, 4, v71
	v_cndmask_b32_e64 v72, 0, -1, s[38:39]
	v_cndmask_b32_e64 v74, 0, -1, s[2:3]
	v_bfe_i32 v71, v71, 0, 1
	v_lshlrev_b16_e32 v72, 8, v72
	v_bfe_i32 v70, v70, 0, 1
	v_lshlrev_b16_e32 v74, 8, v74
	v_or_b32_sdwa v73, v71, v72 dst_sel:DWORD dst_unused:UNUSED_PAD src0_sel:BYTE_0 src1_sel:DWORD
	v_or_b32_sdwa v75, v70, v74 dst_sel:WORD_1 dst_unused:UNUSED_PAD src0_sel:BYTE_0 src1_sel:DWORD
	v_or_b32_sdwa v73, v73, v75 dst_sel:DWORD dst_unused:UNUSED_PAD src0_sel:WORD_0 src1_sel:DWORD
	v_xor_b32_e32 v69, v69, v73
	v_and_b32_e32 v73, 0xffffff00, v69
	v_sub_i16 v72, v73, v72 clamp
	v_lshlrev_b16_e32 v73, 8, v69
	v_lshlrev_b16_e32 v71, 8, v71
	v_sub_i16 v71, v73, v71 clamp
	v_perm_b32 v71, v71, v72, s22
	v_and_b32_sdwa v72, v69, s26 dst_sel:DWORD dst_unused:UNUSED_PAD src0_sel:WORD_1 src1_sel:DWORD
	v_lshlrev_b16_sdwa v69, v48, v69 dst_sel:DWORD dst_unused:UNUSED_PAD src0_sel:DWORD src1_sel:WORD_1
	v_lshlrev_b16_e32 v70, 8, v70
	v_sub_i16 v72, v72, v74 clamp
	v_sub_i16 v69, v69, v70 clamp
	v_perm_b32 v69, v69, v72, s22
	v_dot4_i32_i8 v68, v68, v7, 0
	v_lshl_or_b32 v69, v69, 16, v71
	v_dot4_i32_i8 v70, v69, v8, v68
	v_lshlrev_b32_sdwa v68, v47, v66 dst_sel:DWORD dst_unused:UNUSED_PAD src0_sel:DWORD src1_sel:BYTE_1
	global_load_dwordx2 v[68:69], v68, vcc
	v_bfe_u32 v71, v67, 7, 8
	v_bcnt_u32_b32 v72, v71, 0
	v_and_b32_e32 v72, 1, v72
	v_lshlrev_b32_e32 v72, 7, v72
	v_xor_b32_e32 v71, v72, v71
	v_mul_lo_u32 v71, v71, s35
	v_and_b32_e32 v72, 0x8040201, v71
	v_cmp_ne_u16_sdwa s[2:3], v72, v13 src0_sel:BYTE_3 src1_sel:DWORD
	v_cmp_ne_u16_sdwa s[38:39], v72, v13 src0_sel:BYTE_1 src1_sel:DWORD
	v_lshrrev_b32_e32 v73, 18, v71
	v_cndmask_b32_e64 v74, 0, -1, s[38:39]
	v_cndmask_b32_e64 v76, 0, -1, s[2:3]
	v_bfe_i32 v72, v71, 0, 1
	v_lshlrev_b16_e32 v74, 8, v74
	v_bfe_i32 v73, v73, 0, 1
	v_lshlrev_b16_e32 v76, 8, v76
	v_or_b32_sdwa v75, v72, v74 dst_sel:DWORD dst_unused:UNUSED_PAD src0_sel:BYTE_0 src1_sel:DWORD
	v_or_b32_sdwa v77, v73, v76 dst_sel:WORD_1 dst_unused:UNUSED_PAD src0_sel:BYTE_0 src1_sel:DWORD
	v_or_b32_sdwa v75, v75, v77 dst_sel:DWORD dst_unused:UNUSED_PAD src0_sel:WORD_0 src1_sel:DWORD
	v_lshlrev_b16_e32 v72, 8, v72
	v_lshlrev_b16_e32 v73, 8, v73
	s_waitcnt vmcnt(0)
	v_xor_b32_e32 v68, v68, v75
	v_and_b32_e32 v75, 0xffffff00, v68
	v_sub_i16 v74, v75, v74 clamp
	v_lshlrev_b16_e32 v75, 8, v68
	v_sub_i16 v72, v75, v72 clamp
	v_perm_b32 v72, v72, v74, s22
	v_and_b32_sdwa v74, v68, s26 dst_sel:DWORD dst_unused:UNUSED_PAD src0_sel:WORD_1 src1_sel:DWORD
	v_lshlrev_b16_sdwa v68, v48, v68 dst_sel:DWORD dst_unused:UNUSED_PAD src0_sel:DWORD src1_sel:WORD_1
	v_sub_i16 v74, v74, v76 clamp
	v_sub_i16 v68, v68, v73 clamp
	v_perm_b32 v68, v68, v74, s22
	v_lshl_or_b32 v68, v68, 16, v72
	v_dot4_i32_i8 v68, v68, v9, v70
	v_and_b32_e32 v70, 0x80402010, v71
	v_cmp_ne_u16_sdwa s[2:3], v70, v13 src0_sel:BYTE_3 src1_sel:DWORD
	v_cmp_ne_u16_sdwa s[38:39], v70, v13 src0_sel:BYTE_1 src1_sel:DWORD
	v_lshrrev_b32_e32 v71, 22, v71
	v_lshrrev_b16_e32 v70, 4, v70
	v_cndmask_b32_e64 v72, 0, -1, s[38:39]
	v_cndmask_b32_e64 v74, 0, -1, s[2:3]
	v_bfe_i32 v70, v70, 0, 1
	v_lshlrev_b16_e32 v72, 8, v72
	v_bfe_i32 v71, v71, 0, 1
	v_lshlrev_b16_e32 v74, 8, v74
	v_or_b32_sdwa v73, v70, v72 dst_sel:DWORD dst_unused:UNUSED_PAD src0_sel:BYTE_0 src1_sel:DWORD
	v_or_b32_sdwa v75, v71, v74 dst_sel:WORD_1 dst_unused:UNUSED_PAD src0_sel:BYTE_0 src1_sel:DWORD
	v_or_b32_sdwa v73, v73, v75 dst_sel:DWORD dst_unused:UNUSED_PAD src0_sel:WORD_0 src1_sel:DWORD
	v_xor_b32_e32 v69, v69, v73
	v_and_b32_e32 v73, 0xffffff00, v69
	v_sub_i16 v72, v73, v72 clamp
	v_lshlrev_b16_e32 v73, 8, v69
	v_lshlrev_b16_e32 v70, 8, v70
	v_sub_i16 v70, v73, v70 clamp
	v_perm_b32 v70, v70, v72, s22
	v_and_b32_sdwa v72, v69, s26 dst_sel:DWORD dst_unused:UNUSED_PAD src0_sel:WORD_1 src1_sel:DWORD
	v_lshlrev_b16_sdwa v69, v48, v69 dst_sel:DWORD dst_unused:UNUSED_PAD src0_sel:DWORD src1_sel:WORD_1
	v_lshlrev_b16_e32 v71, 8, v71
	v_sub_i16 v72, v72, v74 clamp
	v_sub_i16 v69, v69, v71 clamp
	v_perm_b32 v69, v69, v72, s22
	v_lshl_or_b32 v69, v69, 16, v70
	v_dot4_i32_i8 v70, v69, v2, v68
	v_lshlrev_b32_sdwa v68, v47, v66 dst_sel:DWORD dst_unused:UNUSED_PAD src0_sel:DWORD src1_sel:BYTE_2
	global_load_dwordx2 v[68:69], v68, vcc
	v_bfe_u32 v71, v67, 14, 8
	v_bcnt_u32_b32 v72, v71, 0
	v_and_b32_e32 v72, 1, v72
	v_lshlrev_b32_e32 v72, 7, v72
	v_xor_b32_e32 v71, v72, v71
	v_mul_lo_u32 v71, v71, s35
	v_lshlrev_b32_sdwa v66, v47, v66 dst_sel:DWORD dst_unused:UNUSED_PAD src0_sel:DWORD src1_sel:BYTE_3
	v_and_b32_e32 v72, 0x8040201, v71
	v_cmp_ne_u16_sdwa s[2:3], v72, v13 src0_sel:BYTE_3 src1_sel:DWORD
	v_cmp_ne_u16_sdwa s[38:39], v72, v13 src0_sel:BYTE_1 src1_sel:DWORD
	v_lshrrev_b32_e32 v73, 18, v71
	v_cndmask_b32_e64 v74, 0, -1, s[38:39]
	v_cndmask_b32_e64 v76, 0, -1, s[2:3]
	v_bfe_i32 v72, v71, 0, 1
	v_lshlrev_b16_e32 v74, 8, v74
	v_bfe_i32 v73, v73, 0, 1
	v_lshlrev_b16_e32 v76, 8, v76
	v_or_b32_sdwa v75, v72, v74 dst_sel:DWORD dst_unused:UNUSED_PAD src0_sel:BYTE_0 src1_sel:DWORD
	v_or_b32_sdwa v77, v73, v76 dst_sel:WORD_1 dst_unused:UNUSED_PAD src0_sel:BYTE_0 src1_sel:DWORD
	v_or_b32_sdwa v75, v75, v77 dst_sel:DWORD dst_unused:UNUSED_PAD src0_sel:WORD_0 src1_sel:DWORD
	v_lshlrev_b16_e32 v72, 8, v72
	v_lshlrev_b16_e32 v73, 8, v73
	s_waitcnt vmcnt(0)
	v_xor_b32_e32 v68, v68, v75
	v_and_b32_e32 v75, 0xffffff00, v68
	v_sub_i16 v74, v75, v74 clamp
	v_lshlrev_b16_e32 v75, 8, v68
	v_sub_i16 v72, v75, v72 clamp
	v_perm_b32 v72, v72, v74, s22
	v_and_b32_sdwa v74, v68, s26 dst_sel:DWORD dst_unused:UNUSED_PAD src0_sel:WORD_1 src1_sel:DWORD
	v_lshlrev_b16_sdwa v68, v48, v68 dst_sel:DWORD dst_unused:UNUSED_PAD src0_sel:DWORD src1_sel:WORD_1
	v_sub_i16 v74, v74, v76 clamp
	v_sub_i16 v68, v68, v73 clamp
	v_perm_b32 v68, v68, v74, s22
	v_lshl_or_b32 v68, v68, 16, v72
	v_dot4_i32_i8 v68, v68, v3, v70
	v_and_b32_e32 v70, 0x80402010, v71
	v_cmp_ne_u16_sdwa s[2:3], v70, v13 src0_sel:BYTE_3 src1_sel:DWORD
	v_cmp_ne_u16_sdwa s[38:39], v70, v13 src0_sel:BYTE_1 src1_sel:DWORD
	v_lshrrev_b32_e32 v71, 22, v71
	v_lshrrev_b16_e32 v70, 4, v70
	v_cndmask_b32_e64 v72, 0, -1, s[38:39]
	v_cndmask_b32_e64 v74, 0, -1, s[2:3]
	v_bfe_i32 v70, v70, 0, 1
	v_lshlrev_b16_e32 v72, 8, v72
	v_bfe_i32 v71, v71, 0, 1
	v_lshlrev_b16_e32 v74, 8, v74
	v_or_b32_sdwa v73, v70, v72 dst_sel:DWORD dst_unused:UNUSED_PAD src0_sel:BYTE_0 src1_sel:DWORD
	v_or_b32_sdwa v75, v71, v74 dst_sel:WORD_1 dst_unused:UNUSED_PAD src0_sel:BYTE_0 src1_sel:DWORD
	v_or_b32_sdwa v73, v73, v75 dst_sel:DWORD dst_unused:UNUSED_PAD src0_sel:WORD_0 src1_sel:DWORD
	v_xor_b32_e32 v69, v69, v73
	v_and_b32_e32 v73, 0xffffff00, v69
	v_sub_i16 v72, v73, v72 clamp
	v_lshlrev_b16_e32 v73, 8, v69
	v_lshlrev_b16_e32 v70, 8, v70
	v_sub_i16 v70, v73, v70 clamp
	v_perm_b32 v70, v70, v72, s22
	v_and_b32_sdwa v72, v69, s26 dst_sel:DWORD dst_unused:UNUSED_PAD src0_sel:WORD_1 src1_sel:DWORD
	v_lshlrev_b16_sdwa v69, v48, v69 dst_sel:DWORD dst_unused:UNUSED_PAD src0_sel:DWORD src1_sel:WORD_1
	v_lshlrev_b16_e32 v71, 8, v71
	v_sub_i16 v72, v72, v74 clamp
	v_sub_i16 v69, v69, v71 clamp
	v_perm_b32 v69, v69, v72, s22
	v_lshl_or_b32 v69, v69, 16, v70
	v_dot4_i32_i8 v70, v69, v4, v68
	global_load_dwordx2 v[68:69], v66, vcc
	v_bfe_u32 v66, v67, 21, 8
	v_bcnt_u32_b32 v71, v66, 0
	v_and_b32_e32 v71, 1, v71
	v_lshlrev_b32_e32 v71, 7, v71
	v_xor_b32_e32 v66, v71, v66
	v_mul_lo_u32 v66, v66, s35
	v_lshrrev_b32_e32 v67, 27, v67
	v_or_b32_e32 v67, 1, v67
	v_and_b32_e32 v71, 0x8040201, v66
	v_cmp_ne_u16_sdwa s[2:3], v71, v13 src0_sel:BYTE_3 src1_sel:DWORD
	v_cmp_ne_u16_sdwa s[38:39], v71, v13 src0_sel:BYTE_1 src1_sel:DWORD
	v_lshrrev_b32_e32 v72, 18, v66
	v_cndmask_b32_e64 v73, 0, -1, s[38:39]
	v_cndmask_b32_e64 v75, 0, -1, s[2:3]
	v_bfe_i32 v71, v66, 0, 1
	v_lshlrev_b16_e32 v73, 8, v73
	v_bfe_i32 v72, v72, 0, 1
	v_lshlrev_b16_e32 v75, 8, v75
	v_or_b32_sdwa v74, v71, v73 dst_sel:DWORD dst_unused:UNUSED_PAD src0_sel:BYTE_0 src1_sel:DWORD
	v_or_b32_sdwa v76, v72, v75 dst_sel:WORD_1 dst_unused:UNUSED_PAD src0_sel:BYTE_0 src1_sel:DWORD
	v_or_b32_sdwa v74, v74, v76 dst_sel:DWORD dst_unused:UNUSED_PAD src0_sel:WORD_0 src1_sel:DWORD
	v_lshlrev_b16_e32 v71, 8, v71
	v_lshlrev_b16_e32 v72, 8, v72
	s_waitcnt vmcnt(0)
	v_xor_b32_e32 v68, v68, v74
	v_and_b32_e32 v74, 0xffffff00, v68
	v_sub_i16 v73, v74, v73 clamp
	v_lshlrev_b16_e32 v74, 8, v68
	v_sub_i16 v71, v74, v71 clamp
	v_perm_b32 v71, v71, v73, s22
	v_and_b32_sdwa v73, v68, s26 dst_sel:DWORD dst_unused:UNUSED_PAD src0_sel:WORD_1 src1_sel:DWORD
	v_lshlrev_b16_sdwa v68, v48, v68 dst_sel:DWORD dst_unused:UNUSED_PAD src0_sel:DWORD src1_sel:WORD_1
	v_sub_i16 v73, v73, v75 clamp
	v_sub_i16 v68, v68, v72 clamp
	v_perm_b32 v68, v68, v73, s22
	v_lshl_or_b32 v68, v68, 16, v71
	v_dot4_i32_i8 v68, v68, v5, v70
	v_and_b32_e32 v70, 0x80402010, v66
	v_cmp_ne_u16_sdwa s[2:3], v70, v13 src0_sel:BYTE_3 src1_sel:DWORD
	v_cmp_ne_u16_sdwa s[38:39], v70, v13 src0_sel:BYTE_1 src1_sel:DWORD
	v_lshrrev_b32_e32 v66, 22, v66
	v_lshrrev_b16_e32 v70, 4, v70
	v_cndmask_b32_e64 v71, 0, -1, s[38:39]
	v_cndmask_b32_e64 v73, 0, -1, s[2:3]
	v_bfe_i32 v70, v70, 0, 1
	v_lshlrev_b16_e32 v71, 8, v71
	v_bfe_i32 v66, v66, 0, 1
	v_lshlrev_b16_e32 v73, 8, v73
	v_or_b32_sdwa v72, v70, v71 dst_sel:DWORD dst_unused:UNUSED_PAD src0_sel:BYTE_0 src1_sel:DWORD
	v_or_b32_sdwa v74, v66, v73 dst_sel:WORD_1 dst_unused:UNUSED_PAD src0_sel:BYTE_0 src1_sel:DWORD
	v_or_b32_sdwa v72, v72, v74 dst_sel:DWORD dst_unused:UNUSED_PAD src0_sel:WORD_0 src1_sel:DWORD
	v_xor_b32_e32 v69, v69, v72
	v_and_b32_e32 v72, 0xffffff00, v69
	v_sub_i16 v71, v72, v71 clamp
	v_lshlrev_b16_e32 v72, 8, v69
	v_lshlrev_b16_e32 v70, 8, v70
	v_sub_i16 v70, v72, v70 clamp
	v_perm_b32 v70, v70, v71, s22
	v_and_b32_sdwa v71, v69, s26 dst_sel:DWORD dst_unused:UNUSED_PAD src0_sel:WORD_1 src1_sel:DWORD
	v_lshlrev_b16_sdwa v69, v48, v69 dst_sel:DWORD dst_unused:UNUSED_PAD src0_sel:DWORD src1_sel:WORD_1
	v_lshlrev_b16_e32 v66, 8, v66
	v_sub_i16 v71, v71, v73 clamp
	v_sub_i16 v66, v69, v66 clamp
	v_perm_b32 v66, v66, v71, s22
	v_lshl_or_b32 v66, v66, 16, v70
	v_dot4_i32_i8 v66, v66, v49, v68
	v_mul_lo_u32 v66, v66, v67
	v_ashrrev_i32_e32 v67, 31, v66
	v_lshrrev_b32_e32 v67, 29, v67
	v_add_u32_e32 v66, v66, v67
	v_ashrrev_i32_e32 v66, 3, v66
	v_cvt_f32_i32_e32 v40, v66
	v_fma_f32 v11, v39, v40, v11
	s_branch .LBB157_17
.LBB157_22:
	s_or_b64 exec, exec, s[14:15]
	v_readlane_b32 s26, v78, 2
	v_readlane_b32 s27, v78, 3
.LBB157_23:
	s_or_b64 exec, exec, s[30:31]
	s_load_dword s14, s[4:5], 0x30
	v_cmp_eq_u32_e64 s[6:7], 0, v1
	v_cmp_ne_u32_e32 vcc, 0, v1
	v_lshlrev_b32_e32 v2, 2, v0
	s_and_saveexec_b64 s[10:11], vcc
	s_cbranch_execz .LBB157_28
; %bb.24:
	v_readlane_b32 s2, v78, 0
	v_lshl_or_b32 v1, v1, 9, v2
	v_readlane_b32 s3, v78, 1
	v_add_u32_e32 v3, 0xfffffe00, v1
	s_mov_b64 s[12:13], -1
	s_and_b64 vcc, exec, s[2:3]
	ds_write_b32 v3, v14
	s_cbranch_vccz .LBB157_26
; %bb.25:
	ds_write_b32 v3, v12 offset:256
	s_mov_b64 s[12:13], 0
.LBB157_26:
	s_andn2_b64 vcc, exec, s[12:13]
	s_cbranch_vccnz .LBB157_28
; %bb.27:
	ds_write_b32 v3, v12 offset:256
	ds_write2st64_b32 v1, v10, v11 offset1:1
.LBB157_28:
	s_or_b64 exec, exec, s[10:11]
	s_waitcnt vmcnt(0) lgkmcnt(0)
	s_barrier
	s_and_saveexec_b64 s[2:3], s[6:7]
	s_cbranch_execz .LBB157_61
; %bb.29:
	ds_read_b32 v4, v2
	v_cmp_ne_u32_e64 s[6:7], 1, v44
	s_andn2_b64 vcc, exec, s[18:19]
	v_or_b32_e32 v3, 0x200, v2
	s_cbranch_vccnz .LBB157_31
; %bb.30:
	ds_read_b32 v1, v3
	s_waitcnt lgkmcnt(0)
	v_add_f32_e32 v10, v10, v1
.LBB157_31:
	v_mbcnt_lo_u32_b32 v1, -1, 0
	v_mbcnt_hi_u32_b32 v5, -1, v1
	v_and_b32_e32 v1, 64, v5
	v_add_u32_e32 v13, 64, v1
	v_xor_b32_e32 v1, 32, v5
	v_cmp_lt_i32_e32 vcc, v1, v13
	v_cndmask_b32_e32 v1, v5, v1, vcc
	v_lshlrev_b32_e32 v1, 2, v1
	s_waitcnt lgkmcnt(0)
	v_add_f32_e32 v4, v14, v4
	ds_bpermute_b32 v7, v1, v4
	v_xor_b32_e32 v6, 16, v5
	v_cmp_lt_i32_e32 vcc, v6, v13
	v_cndmask_b32_e32 v6, v5, v6, vcc
	v_lshlrev_b32_e32 v6, 2, v6
	s_waitcnt lgkmcnt(0)
	v_add_f32_e32 v4, v4, v7
	ds_bpermute_b32 v8, v6, v4
	;; [unrolled: 7-line block ×6, first 2 shown]
	s_and_b64 vcc, exec, s[6:7]
	s_cbranch_vccnz .LBB157_33
; %bb.32:
	ds_bpermute_b32 v14, v1, v10
	s_waitcnt lgkmcnt(0)
	v_add_f32_e32 v10, v10, v14
	ds_bpermute_b32 v14, v6, v10
	s_waitcnt lgkmcnt(0)
	v_add_f32_e32 v10, v10, v14
	;; [unrolled: 3-line block ×6, first 2 shown]
.LBB157_33:
	ds_read_b32 v14, v2 offset:256
	s_and_b64 vcc, exec, s[6:7]
	s_cbranch_vccnz .LBB157_35
; %bb.34:
	ds_read_b32 v3, v3 offset:256
	s_waitcnt lgkmcnt(0)
	v_add_f32_e32 v11, v11, v3
.LBB157_35:
	s_waitcnt lgkmcnt(0)
	v_add_f32_e32 v3, v12, v14
	ds_bpermute_b32 v12, v1, v3
	s_and_b64 vcc, exec, s[6:7]
	s_waitcnt lgkmcnt(0)
	v_add_f32_e32 v3, v3, v12
	ds_bpermute_b32 v12, v6, v3
	s_waitcnt lgkmcnt(0)
	v_add_f32_e32 v3, v3, v12
	ds_bpermute_b32 v12, v7, v3
	;; [unrolled: 3-line block ×5, first 2 shown]
	s_cbranch_vccnz .LBB157_37
; %bb.36:
	ds_bpermute_b32 v1, v1, v11
	s_waitcnt lgkmcnt(0)
	v_add_f32_e32 v1, v11, v1
	ds_bpermute_b32 v6, v6, v1
	s_waitcnt lgkmcnt(0)
	v_add_f32_e32 v1, v1, v6
	;; [unrolled: 3-line block ×6, first 2 shown]
.LBB157_37:
	v_cmp_gt_u32_e32 vcc, s9, v41
	v_cmp_gt_u32_e64 s[10:11], 2, v0
	s_and_b64 s[2:3], s[10:11], vcc
	s_and_b64 exec, exec, s[2:3]
	s_cbranch_execz .LBB157_61
; %bb.38:
	v_add_f32_e32 v1, v4, v5
	s_waitcnt lgkmcnt(0)
	v_add_f32_e32 v3, v3, v12
	v_cmp_eq_u32_e64 s[10:11], 1, v0
	v_cndmask_b32_e64 v0, v1, v3, s[10:11]
	v_add_f32_e32 v1, v43, v0
	s_and_b64 vcc, exec, s[6:7]
	v_cndmask_b32_e64 v0, v1, v0, s[0:1]
	s_cbranch_vccnz .LBB157_60
; %bb.39:
	v_cndmask_b32_e64 v1, v10, v11, s[10:11]
	v_add_f32_e32 v3, v42, v1
	v_cndmask_b32_e64 v1, v1, v3, s[26:27]
	s_cmp_lt_i32 s14, 2
	s_mov_b64 s[0:1], 0
	s_cbranch_scc1 .LBB157_43
; %bb.40:
	s_cmp_gt_i32 s14, 2
	s_cbranch_scc0 .LBB157_44
; %bb.41:
	s_cmp_eq_u32 s14, 3
	s_cbranch_scc0 .LBB157_45
; %bb.42:
	v_max_f32_e32 v3, v1, v1
	v_min_f32_e32 v3, 0x40e00000, v3
	v_mul_f32_e32 v4, 0xbfd9db23, v3
	s_mov_b32 s2, 0x3fb8aa3b
	v_mul_f32_e32 v5, 0x3fb8aa3b, v4
	v_fma_f32 v6, v4, s2, -v5
	v_rndne_f32_e32 v7, v5
	v_fmac_f32_e32 v6, 0x32a5705f, v4
	v_sub_f32_e32 v5, v5, v7
	v_add_f32_e32 v5, v5, v6
	v_exp_f32_e32 v5, v5
	v_cvt_i32_f32_e32 v6, v7
	s_mov_b32 s2, 0xc2ce8ed0
	v_cmp_ngt_f32_e32 vcc, s2, v4
	s_mov_b32 s2, 0x42b17218
	v_ldexp_f32 v5, v5, v6
	v_cndmask_b32_e32 v5, 0, v5, vcc
	v_mov_b32_e32 v6, 0x7f800000
	v_cmp_nlt_f32_e32 vcc, s2, v4
	v_cndmask_b32_e32 v4, v6, v5, vcc
	v_add_f32_e32 v4, 1.0, v4
	v_div_scale_f32 v5, s[2:3], v4, v4, v3
	v_div_scale_f32 v6, vcc, v3, v4, v3
	s_mov_b64 s[2:3], 0
	v_rcp_f32_e32 v7, v5
	v_fma_f32 v8, -v5, v7, 1.0
	v_fmac_f32_e32 v7, v8, v7
	v_mul_f32_e32 v8, v6, v7
	v_fma_f32 v9, -v5, v8, v6
	v_fmac_f32_e32 v8, v9, v7
	v_fma_f32 v5, -v5, v8, v6
	v_div_fmas_f32 v5, v5, v7, v8
	v_max_f32_e32 v6, v0, v0
	v_min_f32_e32 v6, 0x40e00000, v6
	v_max_f32_e32 v6, 0xc0e00000, v6
	v_add_f32_e32 v6, 1.0, v6
	v_div_fixup_f32 v3, v5, v4, v3
	v_mul_f32_e32 v3, v6, v3
	s_branch .LBB157_46
.LBB157_43:
                                        ; implicit-def: $vgpr3
	s_mov_b64 s[2:3], 0
	s_cbranch_execnz .LBB157_50
	s_branch .LBB157_51
.LBB157_44:
	s_mov_b64 s[6:7], -1
	s_mov_b64 s[2:3], 0
                                        ; implicit-def: $vgpr3
	s_branch .LBB157_47
.LBB157_45:
	s_mov_b64 s[2:3], -1
                                        ; implicit-def: $vgpr3
.LBB157_46:
	s_mov_b64 s[6:7], 0
.LBB157_47:
	s_and_b64 vcc, exec, s[6:7]
	s_cbranch_vccz .LBB157_49
; %bb.48:
	v_mul_f32_e32 v3, 0xbfb8aa3b, v1
	s_mov_b32 s6, 0xbfb8aa3b
	v_rndne_f32_e32 v4, v3
	v_sub_f32_e32 v5, v3, v4
	v_fma_f32 v3, v1, s6, -v3
	v_fmac_f32_e32 v3, 0xb2a5705f, v1
	v_add_f32_e32 v3, v5, v3
	v_exp_f32_e32 v3, v3
	v_cvt_i32_f32_e32 v4, v4
	s_mov_b32 s6, 0x42ce8ed0
	v_cmp_nlt_f32_e32 vcc, s6, v1
	s_mov_b32 s6, 0xc2b17218
	v_ldexp_f32 v3, v3, v4
	v_cndmask_b32_e32 v3, 0, v3, vcc
	v_mov_b32_e32 v4, 0x7f800000
	v_cmp_ngt_f32_e32 vcc, s6, v1
	v_cndmask_b32_e32 v3, v4, v3, vcc
	v_add_f32_e32 v3, 1.0, v3
	v_div_scale_f32 v4, s[6:7], v3, v3, v1
	v_div_scale_f32 v5, vcc, v1, v3, v1
	v_rcp_f32_e32 v6, v4
	v_fma_f32 v7, -v4, v6, 1.0
	v_fmac_f32_e32 v6, v7, v6
	v_mul_f32_e32 v7, v5, v6
	v_fma_f32 v8, -v4, v7, v5
	v_fmac_f32_e32 v7, v8, v6
	v_fma_f32 v4, -v4, v7, v5
	v_div_fmas_f32 v4, v4, v6, v7
	v_div_fixup_f32 v3, v4, v3, v1
	v_mul_f32_e32 v3, v0, v3
.LBB157_49:
	s_branch .LBB157_51
.LBB157_50:
	s_cmp_lg_u32 s14, 1
	s_mov_b64 s[0:1], -1
	s_cselect_b64 s[2:3], -1, 0
.LBB157_51:
	s_andn2_b64 vcc, exec, s[2:3]
	s_cbranch_vccz .LBB157_53
; %bb.52:
	s_andn2_b64 vcc, exec, s[0:1]
	s_cbranch_vccz .LBB157_54
	s_branch .LBB157_59
.LBB157_53:
	v_mul_f32_e32 v3, v1, v0
	s_cbranch_execnz .LBB157_59
.LBB157_54:
	v_mul_f32_e32 v4, 0x3d372713, v1
	v_mul_f32_e32 v3, 0x3f4c422a, v1
	v_fma_f32 v4, v1, v4, 1.0
	v_mul_f32_e32 v3, v3, v4
	s_mov_b32 s0, 0x3f200000
	v_cmp_nlt_f32_e64 s[0:1], |v3|, s0
                                        ; implicit-def: $vgpr4
	s_and_saveexec_b64 s[2:3], s[0:1]
	s_xor_b64 s[0:1], exec, s[2:3]
	s_cbranch_execz .LBB157_56
; %bb.55:
	v_add_f32_e64 v4, |v3|, |v3|
	v_mul_f32_e32 v5, 0x3fb8aa3b, v4
	s_mov_b32 s2, 0x3fb8aa3b
	v_rndne_f32_e32 v6, v5
	v_sub_f32_e32 v7, v5, v6
	v_fma_f32 v5, v4, s2, -v5
	v_fmac_f32_e32 v5, 0x32a5705f, v4
	v_add_f32_e32 v5, v7, v5
	v_exp_f32_e32 v5, v5
	v_cvt_i32_f32_e32 v6, v6
	s_mov_b32 s2, 0xc2ce8ed0
	v_cmp_ngt_f32_e32 vcc, s2, v4
	s_mov_b32 s2, 0x42b17218
	v_ldexp_f32 v5, v5, v6
	v_cndmask_b32_e32 v5, 0, v5, vcc
	v_mov_b32_e32 v6, 0x7f800000
	v_cmp_nlt_f32_e32 vcc, s2, v4
	v_cndmask_b32_e32 v4, v6, v5, vcc
	v_add_f32_e32 v4, 1.0, v4
	v_rcp_f32_e32 v4, v4
	v_fma_f32 v4, v4, -2.0, 1.0
.LBB157_56:
	s_andn2_saveexec_b64 s[0:1], s[0:1]
	s_cbranch_execz .LBB157_58
; %bb.57:
	v_mul_f32_e32 v4, v3, v3
	v_mov_b32_e32 v5, 0x3ca908c9
	v_fmac_f32_e32 v5, 0xbbbac73d, v4
	v_mov_b32_e32 v6, 0xbd5c1c4e
	v_fmac_f32_e32 v6, v4, v5
	;; [unrolled: 2-line block ×4, first 2 shown]
	v_mul_f32_e64 v5, |v3|, v6
	v_fma_f32 v4, v4, v5, |v3|
.LBB157_58:
	s_or_b64 exec, exec, s[0:1]
	s_brev_b32 s0, -2
	v_bfi_b32 v3, s0, v4, v3
	v_mul_f32_e32 v1, 0.5, v1
	v_add_f32_e32 v3, 1.0, v3
	v_mul_f32_e32 v1, v1, v3
	v_mul_f32_e32 v3, v0, v1
.LBB157_59:
	v_mov_b32_e32 v0, v3
.LBB157_60:
	s_load_dwordx4 s[0:3], s[4:5], 0x80
	s_waitcnt lgkmcnt(0)
	s_load_dwordx2 s[0:1], s[4:5], 0x38
	s_mul_i32 s2, s2, s8
	s_load_dwordx4 s[8:11], s[4:5], 0x68
	s_waitcnt lgkmcnt(0)
	s_mul_i32 s3, s10, s34
	s_add_i32 s3, s3, s16
	s_add_i32 s2, s3, s2
	s_mov_b32 s3, 0
	s_lshl_b64 s[2:3], s[2:3], 2
	s_add_u32 s0, s0, s2
	s_addc_u32 s1, s1, s3
	global_store_dword v2, v0, s[0:1]
.LBB157_61:
	s_endpgm
	.section	.rodata,"a",@progbits
	.p2align	6, 0x0
	.amdhsa_kernel _ZL13mul_mat_vec_qIL9ggml_type16ELi1ELb1ELb1EEvPKvS2_PKi31ggml_cuda_mm_fusion_args_devicePfj15HIP_vector_typeIjLj3EEjjjS8_jjjS8_jjjj
		.amdhsa_group_segment_fixed_size 1024
		.amdhsa_private_segment_fixed_size 0
		.amdhsa_kernarg_size 144
		.amdhsa_user_sgpr_count 6
		.amdhsa_user_sgpr_private_segment_buffer 1
		.amdhsa_user_sgpr_dispatch_ptr 0
		.amdhsa_user_sgpr_queue_ptr 0
		.amdhsa_user_sgpr_kernarg_segment_ptr 1
		.amdhsa_user_sgpr_dispatch_id 0
		.amdhsa_user_sgpr_flat_scratch_init 0
		.amdhsa_user_sgpr_private_segment_size 0
		.amdhsa_uses_dynamic_stack 0
		.amdhsa_system_sgpr_private_segment_wavefront_offset 0
		.amdhsa_system_sgpr_workgroup_id_x 1
		.amdhsa_system_sgpr_workgroup_id_y 1
		.amdhsa_system_sgpr_workgroup_id_z 1
		.amdhsa_system_sgpr_workgroup_info 0
		.amdhsa_system_vgpr_workitem_id 1
		.amdhsa_next_free_vgpr 79
		.amdhsa_next_free_sgpr 96
		.amdhsa_reserve_vcc 1
		.amdhsa_reserve_flat_scratch 0
		.amdhsa_float_round_mode_32 0
		.amdhsa_float_round_mode_16_64 0
		.amdhsa_float_denorm_mode_32 3
		.amdhsa_float_denorm_mode_16_64 3
		.amdhsa_dx10_clamp 1
		.amdhsa_ieee_mode 1
		.amdhsa_fp16_overflow 0
		.amdhsa_exception_fp_ieee_invalid_op 0
		.amdhsa_exception_fp_denorm_src 0
		.amdhsa_exception_fp_ieee_div_zero 0
		.amdhsa_exception_fp_ieee_overflow 0
		.amdhsa_exception_fp_ieee_underflow 0
		.amdhsa_exception_fp_ieee_inexact 0
		.amdhsa_exception_int_div_zero 0
	.end_amdhsa_kernel
	.section	.text._ZL13mul_mat_vec_qIL9ggml_type16ELi1ELb1ELb1EEvPKvS2_PKi31ggml_cuda_mm_fusion_args_devicePfj15HIP_vector_typeIjLj3EEjjjS8_jjjS8_jjjj,"axG",@progbits,_ZL13mul_mat_vec_qIL9ggml_type16ELi1ELb1ELb1EEvPKvS2_PKi31ggml_cuda_mm_fusion_args_devicePfj15HIP_vector_typeIjLj3EEjjjS8_jjjS8_jjjj,comdat
.Lfunc_end157:
	.size	_ZL13mul_mat_vec_qIL9ggml_type16ELi1ELb1ELb1EEvPKvS2_PKi31ggml_cuda_mm_fusion_args_devicePfj15HIP_vector_typeIjLj3EEjjjS8_jjjS8_jjjj, .Lfunc_end157-_ZL13mul_mat_vec_qIL9ggml_type16ELi1ELb1ELb1EEvPKvS2_PKi31ggml_cuda_mm_fusion_args_devicePfj15HIP_vector_typeIjLj3EEjjjS8_jjjS8_jjjj
                                        ; -- End function
	.set _ZL13mul_mat_vec_qIL9ggml_type16ELi1ELb1ELb1EEvPKvS2_PKi31ggml_cuda_mm_fusion_args_devicePfj15HIP_vector_typeIjLj3EEjjjS8_jjjS8_jjjj.num_vgpr, 79
	.set _ZL13mul_mat_vec_qIL9ggml_type16ELi1ELb1ELb1EEvPKvS2_PKi31ggml_cuda_mm_fusion_args_devicePfj15HIP_vector_typeIjLj3EEjjjS8_jjjS8_jjjj.num_agpr, 0
	.set _ZL13mul_mat_vec_qIL9ggml_type16ELi1ELb1ELb1EEvPKvS2_PKi31ggml_cuda_mm_fusion_args_devicePfj15HIP_vector_typeIjLj3EEjjjS8_jjjS8_jjjj.numbered_sgpr, 96
	.set _ZL13mul_mat_vec_qIL9ggml_type16ELi1ELb1ELb1EEvPKvS2_PKi31ggml_cuda_mm_fusion_args_devicePfj15HIP_vector_typeIjLj3EEjjjS8_jjjS8_jjjj.num_named_barrier, 0
	.set _ZL13mul_mat_vec_qIL9ggml_type16ELi1ELb1ELb1EEvPKvS2_PKi31ggml_cuda_mm_fusion_args_devicePfj15HIP_vector_typeIjLj3EEjjjS8_jjjS8_jjjj.private_seg_size, 0
	.set _ZL13mul_mat_vec_qIL9ggml_type16ELi1ELb1ELb1EEvPKvS2_PKi31ggml_cuda_mm_fusion_args_devicePfj15HIP_vector_typeIjLj3EEjjjS8_jjjS8_jjjj.uses_vcc, 1
	.set _ZL13mul_mat_vec_qIL9ggml_type16ELi1ELb1ELb1EEvPKvS2_PKi31ggml_cuda_mm_fusion_args_devicePfj15HIP_vector_typeIjLj3EEjjjS8_jjjS8_jjjj.uses_flat_scratch, 0
	.set _ZL13mul_mat_vec_qIL9ggml_type16ELi1ELb1ELb1EEvPKvS2_PKi31ggml_cuda_mm_fusion_args_devicePfj15HIP_vector_typeIjLj3EEjjjS8_jjjS8_jjjj.has_dyn_sized_stack, 0
	.set _ZL13mul_mat_vec_qIL9ggml_type16ELi1ELb1ELb1EEvPKvS2_PKi31ggml_cuda_mm_fusion_args_devicePfj15HIP_vector_typeIjLj3EEjjjS8_jjjS8_jjjj.has_recursion, 0
	.set _ZL13mul_mat_vec_qIL9ggml_type16ELi1ELb1ELb1EEvPKvS2_PKi31ggml_cuda_mm_fusion_args_devicePfj15HIP_vector_typeIjLj3EEjjjS8_jjjS8_jjjj.has_indirect_call, 0
	.section	.AMDGPU.csdata,"",@progbits
; Kernel info:
; codeLenInByte = 10352
; TotalNumSgprs: 100
; NumVgprs: 79
; ScratchSize: 0
; MemoryBound: 0
; FloatMode: 240
; IeeeMode: 1
; LDSByteSize: 1024 bytes/workgroup (compile time only)
; SGPRBlocks: 12
; VGPRBlocks: 19
; NumSGPRsForWavesPerEU: 100
; NumVGPRsForWavesPerEU: 79
; Occupancy: 3
; WaveLimiterHint : 0
; COMPUTE_PGM_RSRC2:SCRATCH_EN: 0
; COMPUTE_PGM_RSRC2:USER_SGPR: 6
; COMPUTE_PGM_RSRC2:TRAP_HANDLER: 0
; COMPUTE_PGM_RSRC2:TGID_X_EN: 1
; COMPUTE_PGM_RSRC2:TGID_Y_EN: 1
; COMPUTE_PGM_RSRC2:TGID_Z_EN: 1
; COMPUTE_PGM_RSRC2:TIDIG_COMP_CNT: 1
	.section	.text._ZL13mul_mat_vec_qIL9ggml_type16ELi1ELb0ELb1EEvPKvS2_PKi31ggml_cuda_mm_fusion_args_devicePfj15HIP_vector_typeIjLj3EEjjjS8_jjjS8_jjjj,"axG",@progbits,_ZL13mul_mat_vec_qIL9ggml_type16ELi1ELb0ELb1EEvPKvS2_PKi31ggml_cuda_mm_fusion_args_devicePfj15HIP_vector_typeIjLj3EEjjjS8_jjjS8_jjjj,comdat
	.globl	_ZL13mul_mat_vec_qIL9ggml_type16ELi1ELb0ELb1EEvPKvS2_PKi31ggml_cuda_mm_fusion_args_devicePfj15HIP_vector_typeIjLj3EEjjjS8_jjjS8_jjjj ; -- Begin function _ZL13mul_mat_vec_qIL9ggml_type16ELi1ELb0ELb1EEvPKvS2_PKi31ggml_cuda_mm_fusion_args_devicePfj15HIP_vector_typeIjLj3EEjjjS8_jjjS8_jjjj
	.p2align	8
	.type	_ZL13mul_mat_vec_qIL9ggml_type16ELi1ELb0ELb1EEvPKvS2_PKi31ggml_cuda_mm_fusion_args_devicePfj15HIP_vector_typeIjLj3EEjjjS8_jjjS8_jjjj,@function
_ZL13mul_mat_vec_qIL9ggml_type16ELi1ELb0ELb1EEvPKvS2_PKi31ggml_cuda_mm_fusion_args_devicePfj15HIP_vector_typeIjLj3EEjjjS8_jjjS8_jjjj: ; @_ZL13mul_mat_vec_qIL9ggml_type16ELi1ELb0ELb1EEvPKvS2_PKi31ggml_cuda_mm_fusion_args_devicePfj15HIP_vector_typeIjLj3EEjjjS8_jjjS8_jjjj
; %bb.0:
	s_load_dwordx2 s[0:1], s[4:5], 0x10
	s_load_dwordx4 s[16:19], s[4:5], 0x40
	s_mov_b32 s10, s7
	s_mov_b64 s[14:15], 0
	s_waitcnt lgkmcnt(0)
	s_cmp_lg_u64 s[0:1], 0
	s_cselect_b64 s[12:13], -1, 0
	s_cmp_eq_u64 s[0:1], 0
	s_cbranch_scc1 .LBB158_5
; %bb.1:
	s_mov_b32 s11, 0
	s_lshl_b64 s[2:3], s[10:11], 2
	s_add_u32 s0, s0, s2
	s_addc_u32 s1, s1, s3
	s_load_dword s21, s[0:1], 0x0
	s_nop 0
	s_load_dwordx4 s[0:3], s[4:5], 0x68
	s_load_dword s20, s[4:5], 0x50
	s_andn2_b64 vcc, exec, s[14:15]
	s_cbranch_vccnz .LBB158_3
.LBB158_2:
	s_load_dwordx2 s[14:15], s[4:5], 0x5c
	s_waitcnt lgkmcnt(0)
	s_mul_hi_u32 s7, s14, s10
	s_add_i32 s7, s10, s7
	s_lshr_b32 s21, s7, s15
.LBB158_3:
	s_load_dword s22, s[4:5], 0x78
	s_andn2_b64 vcc, exec, s[12:13]
	s_cbranch_vccnz .LBB158_6
; %bb.4:
	s_mul_hi_u32 s7, s17, s10
	s_add_i32 s7, s10, s7
	s_lshr_b32 s7, s7, s18
	s_mul_i32 s7, s7, s19
	s_sub_i32 s23, s10, s7
	s_branch .LBB158_7
.LBB158_5:
                                        ; implicit-def: $sgpr21
	s_load_dwordx4 s[0:3], s[4:5], 0x68
	s_load_dword s20, s[4:5], 0x50
	s_branch .LBB158_2
.LBB158_6:
	s_mov_b32 s23, s10
.LBB158_7:
	s_load_dwordx4 s[12:15], s[4:5], 0x80
	v_lshl_add_u32 v2, v1, 6, v0
	s_lshr_b32 s11, s16, 8
	v_lshrrev_b32_e32 v18, 3, v2
	s_lshl_b32 s9, s6, 1
	v_cmp_gt_u32_e32 vcc, s11, v18
	v_mov_b32_e32 v16, 0
	v_mov_b32_e32 v17, 0
	s_and_saveexec_b64 s[6:7], vcc
	s_cbranch_execz .LBB158_11
; %bb.8:
	s_waitcnt lgkmcnt(0)
	s_mul_hi_u32 s3, s3, s8
	s_add_i32 s3, s8, s3
	s_lshr_b32 s3, s3, s22
	s_mul_i32 s0, s21, s0
	s_mul_i32 s3, s3, s12
	;; [unrolled: 1-line block ×3, first 2 shown]
	v_lshlrev_b32_e32 v3, 1, v0
	v_and_b32_e32 v3, 14, v3
	s_add_i32 s15, s0, s3
	s_mul_hi_u32 s0, s1, 36
	s_mul_i32 s1, s1, 36
	v_lshlrev_b32_e32 v4, 1, v3
	v_lshrrev_b32_e32 v6, 3, v2
	v_mov_b32_e32 v2, s1
	v_mov_b32_e32 v3, s0
	s_movk_i32 s0, 0x120
	v_mad_u64_u32 v[2:3], s[0:1], v6, s0, v[2:3]
	s_mul_i32 s12, s13, s8
	s_mul_i32 s0, s9, s20
	s_add_i32 s3, s15, s0
	v_mad_u64_u32 v[2:3], s[0:1], s12, 36, v[2:3]
	s_load_dwordx4 s[16:19], s[4:5], 0x0
	v_and_b32_e32 v5, 7, v0
	s_add_i32 s0, s9, 1
	s_mul_i32 s20, s20, s0
	v_mad_u64_u32 v[2:3], s[0:1], v5, 36, v[2:3]
	s_waitcnt lgkmcnt(0)
	v_mov_b32_e32 v5, s19
	v_mov_b32_e32 v12, s16
	v_add_co_u32_e32 v2, vcc, s18, v2
	v_addc_co_u32_e32 v3, vcc, v5, v3, vcc
	v_add_co_u32_e32 v10, vcc, 32, v2
	v_mov_b32_e32 v19, 0
	s_add_i32 s15, s15, s20
	v_addc_co_u32_e32 v11, vcc, 0, v3, vcc
	s_mov_b64 s[0:1], 0
	s_movk_i32 s18, 0x42
	v_mov_b32_e32 v13, s17
	v_lshlrev_b32_e32 v20, 1, v4
	s_mov_b32 s16, 0x1010101
	s_movk_i32 s17, 0xff00
	s_mov_b32 s19, 0xc0c0105
	v_mov_b32_e32 v21, 3
	v_mov_b32_e32 v22, 8
	;; [unrolled: 1-line block ×4, first 2 shown]
.LBB158_9:                              ; =>This Inner Loop Header: Depth=1
	v_add_u32_e32 v14, s3, v18
	v_mad_i64_i32 v[14:15], s[12:13], v14, s18, v[12:13]
	global_load_dword v23, v[10:11], off
	global_load_dwordx4 v[2:5], v[10:11], off offset:-16
	global_load_dwordx4 v[6:9], v[10:11], off offset:-32
	s_getpc_b64 s[12:13]
	s_add_u32 s12, s12, _ZL11iq2xxs_grid@rel32@lo+4
	s_addc_u32 s13, s13, _ZL11iq2xxs_grid@rel32@hi+12
	v_add_co_u32_e32 v24, vcc, v14, v20
	v_addc_co_u32_e32 v25, vcc, 0, v15, vcc
	global_load_dwordx2 v[24:25], v[24:25], off offset:2
	s_waitcnt vmcnt(1)
	v_cvt_f32_f16_e32 v6, v6
	global_load_ushort v14, v[14:15], off
	s_waitcnt vmcnt(1)
	v_lshlrev_b32_sdwa v26, v21, v24 dst_sel:DWORD dst_unused:UNUSED_PAD src0_sel:DWORD src1_sel:BYTE_0
	global_load_dwordx2 v[26:27], v26, s[12:13]
	v_and_b32_e32 v28, 0xff, v25
	v_bcnt_u32_b32 v29, v28, 0
	v_and_b32_e32 v29, 1, v29
	v_lshlrev_b32_e32 v29, 7, v29
	v_xor_b32_e32 v28, v29, v28
	v_mul_lo_u32 v28, v28, s16
	v_and_b32_e32 v29, 0x8040201, v28
	v_cmp_ne_u16_sdwa s[20:21], v29, v19 src0_sel:BYTE_3 src1_sel:DWORD
	v_cmp_ne_u16_sdwa s[22:23], v29, v19 src0_sel:BYTE_1 src1_sel:DWORD
	v_lshrrev_b32_e32 v30, 18, v28
	v_cndmask_b32_e64 v31, 0, -1, s[22:23]
	v_cndmask_b32_e64 v33, 0, -1, s[20:21]
	v_bfe_i32 v29, v28, 0, 1
	v_lshlrev_b16_e32 v31, 8, v31
	v_bfe_i32 v30, v30, 0, 1
	v_lshlrev_b16_e32 v33, 8, v33
	v_or_b32_sdwa v32, v29, v31 dst_sel:DWORD dst_unused:UNUSED_PAD src0_sel:BYTE_0 src1_sel:DWORD
	v_or_b32_sdwa v34, v30, v33 dst_sel:WORD_1 dst_unused:UNUSED_PAD src0_sel:BYTE_0 src1_sel:DWORD
	v_or_b32_sdwa v32, v32, v34 dst_sel:DWORD dst_unused:UNUSED_PAD src0_sel:WORD_0 src1_sel:DWORD
	v_lshlrev_b16_e32 v29, 8, v29
	v_lshlrev_b16_e32 v30, 8, v30
	s_waitcnt vmcnt(1)
	v_cvt_f32_f16_e32 v14, v14
	v_mul_f32_e32 v14, v14, v6
	s_waitcnt vmcnt(0)
	v_xor_b32_e32 v26, v26, v32
	v_and_b32_e32 v32, 0xffffff00, v26
	v_sub_i16 v31, v32, v31 clamp
	v_lshlrev_b16_e32 v32, 8, v26
	v_sub_i16 v29, v32, v29 clamp
	v_perm_b32 v29, v29, v31, s19
	v_and_b32_sdwa v31, v26, s17 dst_sel:DWORD dst_unused:UNUSED_PAD src0_sel:WORD_1 src1_sel:DWORD
	v_lshlrev_b16_sdwa v26, v22, v26 dst_sel:DWORD dst_unused:UNUSED_PAD src0_sel:DWORD src1_sel:WORD_1
	v_sub_i16 v31, v31, v33 clamp
	v_sub_i16 v26, v26, v30 clamp
	v_perm_b32 v26, v26, v31, s19
	v_lshl_or_b32 v26, v26, 16, v29
	v_and_b32_e32 v29, 0x80402010, v28
	v_cmp_ne_u16_sdwa s[20:21], v29, v19 src0_sel:BYTE_3 src1_sel:DWORD
	v_cmp_ne_u16_sdwa s[22:23], v29, v19 src0_sel:BYTE_1 src1_sel:DWORD
	v_lshrrev_b32_e32 v28, 22, v28
	v_lshrrev_b16_e32 v29, 4, v29
	v_cndmask_b32_e64 v30, 0, -1, s[22:23]
	v_cndmask_b32_e64 v32, 0, -1, s[20:21]
	v_bfe_i32 v29, v29, 0, 1
	v_lshlrev_b16_e32 v30, 8, v30
	v_bfe_i32 v28, v28, 0, 1
	v_lshlrev_b16_e32 v32, 8, v32
	v_or_b32_sdwa v31, v29, v30 dst_sel:DWORD dst_unused:UNUSED_PAD src0_sel:BYTE_0 src1_sel:DWORD
	v_or_b32_sdwa v33, v28, v32 dst_sel:WORD_1 dst_unused:UNUSED_PAD src0_sel:BYTE_0 src1_sel:DWORD
	v_or_b32_sdwa v31, v31, v33 dst_sel:DWORD dst_unused:UNUSED_PAD src0_sel:WORD_0 src1_sel:DWORD
	v_xor_b32_e32 v27, v27, v31
	v_and_b32_e32 v31, 0xffffff00, v27
	v_sub_i16 v30, v31, v30 clamp
	v_lshlrev_b16_e32 v31, 8, v27
	v_lshlrev_b16_e32 v29, 8, v29
	v_sub_i16 v29, v31, v29 clamp
	v_perm_b32 v29, v29, v30, s19
	v_and_b32_sdwa v30, v27, s17 dst_sel:DWORD dst_unused:UNUSED_PAD src0_sel:WORD_1 src1_sel:DWORD
	v_lshlrev_b16_sdwa v27, v22, v27 dst_sel:DWORD dst_unused:UNUSED_PAD src0_sel:DWORD src1_sel:WORD_1
	v_lshlrev_b16_e32 v28, 8, v28
	v_sub_i16 v30, v30, v32 clamp
	v_sub_i16 v27, v27, v28 clamp
	v_perm_b32 v27, v27, v30, s19
	v_dot4_i32_i8 v26, v26, v7, 0
	v_lshl_or_b32 v27, v27, 16, v29
	v_dot4_i32_i8 v28, v27, v8, v26
	v_lshlrev_b32_sdwa v26, v21, v24 dst_sel:DWORD dst_unused:UNUSED_PAD src0_sel:DWORD src1_sel:BYTE_1
	global_load_dwordx2 v[26:27], v26, s[12:13]
	v_bfe_u32 v29, v25, 7, 8
	v_bcnt_u32_b32 v30, v29, 0
	v_and_b32_e32 v30, 1, v30
	v_lshlrev_b32_e32 v30, 7, v30
	v_xor_b32_e32 v29, v30, v29
	v_mul_lo_u32 v29, v29, s16
	v_and_b32_e32 v30, 0x8040201, v29
	v_cmp_ne_u16_sdwa s[20:21], v30, v19 src0_sel:BYTE_3 src1_sel:DWORD
	v_cmp_ne_u16_sdwa s[22:23], v30, v19 src0_sel:BYTE_1 src1_sel:DWORD
	v_lshrrev_b32_e32 v31, 18, v29
	v_cndmask_b32_e64 v32, 0, -1, s[22:23]
	v_cndmask_b32_e64 v34, 0, -1, s[20:21]
	v_bfe_i32 v30, v29, 0, 1
	v_lshlrev_b16_e32 v32, 8, v32
	v_bfe_i32 v31, v31, 0, 1
	v_lshlrev_b16_e32 v34, 8, v34
	v_or_b32_sdwa v33, v30, v32 dst_sel:DWORD dst_unused:UNUSED_PAD src0_sel:BYTE_0 src1_sel:DWORD
	v_or_b32_sdwa v35, v31, v34 dst_sel:WORD_1 dst_unused:UNUSED_PAD src0_sel:BYTE_0 src1_sel:DWORD
	v_or_b32_sdwa v33, v33, v35 dst_sel:DWORD dst_unused:UNUSED_PAD src0_sel:WORD_0 src1_sel:DWORD
	v_lshlrev_b16_e32 v30, 8, v30
	v_lshlrev_b16_e32 v31, 8, v31
	s_waitcnt vmcnt(0)
	v_xor_b32_e32 v26, v26, v33
	v_and_b32_e32 v33, 0xffffff00, v26
	v_sub_i16 v32, v33, v32 clamp
	v_lshlrev_b16_e32 v33, 8, v26
	v_sub_i16 v30, v33, v30 clamp
	v_perm_b32 v30, v30, v32, s19
	v_and_b32_sdwa v32, v26, s17 dst_sel:DWORD dst_unused:UNUSED_PAD src0_sel:WORD_1 src1_sel:DWORD
	v_lshlrev_b16_sdwa v26, v22, v26 dst_sel:DWORD dst_unused:UNUSED_PAD src0_sel:DWORD src1_sel:WORD_1
	v_sub_i16 v32, v32, v34 clamp
	v_sub_i16 v26, v26, v31 clamp
	v_perm_b32 v26, v26, v32, s19
	v_lshl_or_b32 v26, v26, 16, v30
	v_dot4_i32_i8 v26, v26, v9, v28
	v_and_b32_e32 v28, 0x80402010, v29
	v_cmp_ne_u16_sdwa s[20:21], v28, v19 src0_sel:BYTE_3 src1_sel:DWORD
	v_cmp_ne_u16_sdwa s[22:23], v28, v19 src0_sel:BYTE_1 src1_sel:DWORD
	v_lshrrev_b32_e32 v29, 22, v29
	v_lshrrev_b16_e32 v28, 4, v28
	v_cndmask_b32_e64 v30, 0, -1, s[22:23]
	v_cndmask_b32_e64 v32, 0, -1, s[20:21]
	v_bfe_i32 v28, v28, 0, 1
	v_lshlrev_b16_e32 v30, 8, v30
	v_bfe_i32 v29, v29, 0, 1
	v_lshlrev_b16_e32 v32, 8, v32
	v_or_b32_sdwa v31, v28, v30 dst_sel:DWORD dst_unused:UNUSED_PAD src0_sel:BYTE_0 src1_sel:DWORD
	v_or_b32_sdwa v33, v29, v32 dst_sel:WORD_1 dst_unused:UNUSED_PAD src0_sel:BYTE_0 src1_sel:DWORD
	v_or_b32_sdwa v31, v31, v33 dst_sel:DWORD dst_unused:UNUSED_PAD src0_sel:WORD_0 src1_sel:DWORD
	v_xor_b32_e32 v27, v27, v31
	v_and_b32_e32 v31, 0xffffff00, v27
	v_sub_i16 v30, v31, v30 clamp
	v_lshlrev_b16_e32 v31, 8, v27
	v_lshlrev_b16_e32 v28, 8, v28
	v_sub_i16 v28, v31, v28 clamp
	v_perm_b32 v28, v28, v30, s19
	v_and_b32_sdwa v30, v27, s17 dst_sel:DWORD dst_unused:UNUSED_PAD src0_sel:WORD_1 src1_sel:DWORD
	v_lshlrev_b16_sdwa v27, v22, v27 dst_sel:DWORD dst_unused:UNUSED_PAD src0_sel:DWORD src1_sel:WORD_1
	v_lshlrev_b16_e32 v29, 8, v29
	v_sub_i16 v30, v30, v32 clamp
	v_sub_i16 v27, v27, v29 clamp
	v_perm_b32 v27, v27, v30, s19
	v_lshl_or_b32 v27, v27, 16, v28
	v_dot4_i32_i8 v28, v27, v2, v26
	v_lshlrev_b32_sdwa v26, v21, v24 dst_sel:DWORD dst_unused:UNUSED_PAD src0_sel:DWORD src1_sel:BYTE_2
	global_load_dwordx2 v[26:27], v26, s[12:13]
	v_bfe_u32 v29, v25, 14, 8
	v_bcnt_u32_b32 v30, v29, 0
	v_and_b32_e32 v30, 1, v30
	v_lshlrev_b32_e32 v30, 7, v30
	v_xor_b32_e32 v29, v30, v29
	v_mul_lo_u32 v29, v29, s16
	v_lshlrev_b32_sdwa v24, v21, v24 dst_sel:DWORD dst_unused:UNUSED_PAD src0_sel:DWORD src1_sel:BYTE_3
	v_and_b32_e32 v30, 0x8040201, v29
	v_cmp_ne_u16_sdwa s[20:21], v30, v19 src0_sel:BYTE_3 src1_sel:DWORD
	v_cmp_ne_u16_sdwa s[22:23], v30, v19 src0_sel:BYTE_1 src1_sel:DWORD
	v_lshrrev_b32_e32 v31, 18, v29
	v_cndmask_b32_e64 v32, 0, -1, s[22:23]
	v_cndmask_b32_e64 v34, 0, -1, s[20:21]
	v_bfe_i32 v30, v29, 0, 1
	v_lshlrev_b16_e32 v32, 8, v32
	v_bfe_i32 v31, v31, 0, 1
	v_lshlrev_b16_e32 v34, 8, v34
	v_or_b32_sdwa v33, v30, v32 dst_sel:DWORD dst_unused:UNUSED_PAD src0_sel:BYTE_0 src1_sel:DWORD
	v_or_b32_sdwa v35, v31, v34 dst_sel:WORD_1 dst_unused:UNUSED_PAD src0_sel:BYTE_0 src1_sel:DWORD
	v_or_b32_sdwa v33, v33, v35 dst_sel:DWORD dst_unused:UNUSED_PAD src0_sel:WORD_0 src1_sel:DWORD
	v_lshlrev_b16_e32 v30, 8, v30
	v_lshlrev_b16_e32 v31, 8, v31
	s_waitcnt vmcnt(0)
	v_xor_b32_e32 v26, v26, v33
	v_and_b32_e32 v33, 0xffffff00, v26
	v_sub_i16 v32, v33, v32 clamp
	v_lshlrev_b16_e32 v33, 8, v26
	v_sub_i16 v30, v33, v30 clamp
	v_perm_b32 v30, v30, v32, s19
	v_and_b32_sdwa v32, v26, s17 dst_sel:DWORD dst_unused:UNUSED_PAD src0_sel:WORD_1 src1_sel:DWORD
	v_lshlrev_b16_sdwa v26, v22, v26 dst_sel:DWORD dst_unused:UNUSED_PAD src0_sel:DWORD src1_sel:WORD_1
	v_sub_i16 v32, v32, v34 clamp
	v_sub_i16 v26, v26, v31 clamp
	v_perm_b32 v26, v26, v32, s19
	v_lshl_or_b32 v26, v26, 16, v30
	v_dot4_i32_i8 v26, v26, v3, v28
	v_and_b32_e32 v28, 0x80402010, v29
	v_cmp_ne_u16_sdwa s[20:21], v28, v19 src0_sel:BYTE_3 src1_sel:DWORD
	v_cmp_ne_u16_sdwa s[22:23], v28, v19 src0_sel:BYTE_1 src1_sel:DWORD
	v_lshrrev_b32_e32 v29, 22, v29
	v_lshrrev_b16_e32 v28, 4, v28
	v_cndmask_b32_e64 v30, 0, -1, s[22:23]
	v_cndmask_b32_e64 v32, 0, -1, s[20:21]
	v_bfe_i32 v28, v28, 0, 1
	v_lshlrev_b16_e32 v30, 8, v30
	v_bfe_i32 v29, v29, 0, 1
	v_lshlrev_b16_e32 v32, 8, v32
	v_or_b32_sdwa v31, v28, v30 dst_sel:DWORD dst_unused:UNUSED_PAD src0_sel:BYTE_0 src1_sel:DWORD
	v_or_b32_sdwa v33, v29, v32 dst_sel:WORD_1 dst_unused:UNUSED_PAD src0_sel:BYTE_0 src1_sel:DWORD
	v_or_b32_sdwa v31, v31, v33 dst_sel:DWORD dst_unused:UNUSED_PAD src0_sel:WORD_0 src1_sel:DWORD
	v_xor_b32_e32 v27, v27, v31
	v_and_b32_e32 v31, 0xffffff00, v27
	v_sub_i16 v30, v31, v30 clamp
	v_lshlrev_b16_e32 v31, 8, v27
	v_lshlrev_b16_e32 v28, 8, v28
	v_sub_i16 v28, v31, v28 clamp
	v_perm_b32 v28, v28, v30, s19
	v_and_b32_sdwa v30, v27, s17 dst_sel:DWORD dst_unused:UNUSED_PAD src0_sel:WORD_1 src1_sel:DWORD
	v_lshlrev_b16_sdwa v27, v22, v27 dst_sel:DWORD dst_unused:UNUSED_PAD src0_sel:DWORD src1_sel:WORD_1
	v_lshlrev_b16_e32 v29, 8, v29
	v_sub_i16 v30, v30, v32 clamp
	v_sub_i16 v27, v27, v29 clamp
	v_perm_b32 v27, v27, v30, s19
	v_lshl_or_b32 v27, v27, 16, v28
	v_dot4_i32_i8 v28, v27, v4, v26
	global_load_dwordx2 v[26:27], v24, s[12:13]
	v_bfe_u32 v24, v25, 21, 8
	v_bcnt_u32_b32 v29, v24, 0
	v_and_b32_e32 v29, 1, v29
	v_lshlrev_b32_e32 v29, 7, v29
	v_xor_b32_e32 v24, v29, v24
	v_mul_lo_u32 v24, v24, s16
	v_lshrrev_b32_e32 v25, 27, v25
	v_or_b32_e32 v25, 1, v25
	v_and_b32_e32 v29, 0x8040201, v24
	v_cmp_ne_u16_sdwa s[20:21], v29, v19 src0_sel:BYTE_3 src1_sel:DWORD
	v_cmp_ne_u16_sdwa s[22:23], v29, v19 src0_sel:BYTE_1 src1_sel:DWORD
	v_lshrrev_b32_e32 v30, 18, v24
	v_cndmask_b32_e64 v31, 0, -1, s[22:23]
	v_cndmask_b32_e64 v33, 0, -1, s[20:21]
	v_bfe_i32 v29, v24, 0, 1
	v_lshlrev_b16_e32 v31, 8, v31
	v_bfe_i32 v30, v30, 0, 1
	v_lshlrev_b16_e32 v33, 8, v33
	v_or_b32_sdwa v32, v29, v31 dst_sel:DWORD dst_unused:UNUSED_PAD src0_sel:BYTE_0 src1_sel:DWORD
	v_or_b32_sdwa v34, v30, v33 dst_sel:WORD_1 dst_unused:UNUSED_PAD src0_sel:BYTE_0 src1_sel:DWORD
	v_or_b32_sdwa v32, v32, v34 dst_sel:DWORD dst_unused:UNUSED_PAD src0_sel:WORD_0 src1_sel:DWORD
	v_lshlrev_b16_e32 v29, 8, v29
	v_lshlrev_b16_e32 v30, 8, v30
	s_waitcnt vmcnt(0)
	v_xor_b32_e32 v26, v26, v32
	v_and_b32_e32 v32, 0xffffff00, v26
	v_sub_i16 v31, v32, v31 clamp
	v_lshlrev_b16_e32 v32, 8, v26
	v_sub_i16 v29, v32, v29 clamp
	v_perm_b32 v29, v29, v31, s19
	v_and_b32_sdwa v31, v26, s17 dst_sel:DWORD dst_unused:UNUSED_PAD src0_sel:WORD_1 src1_sel:DWORD
	v_lshlrev_b16_sdwa v26, v22, v26 dst_sel:DWORD dst_unused:UNUSED_PAD src0_sel:DWORD src1_sel:WORD_1
	v_sub_i16 v31, v31, v33 clamp
	v_sub_i16 v26, v26, v30 clamp
	v_perm_b32 v26, v26, v31, s19
	v_lshl_or_b32 v26, v26, 16, v29
	v_dot4_i32_i8 v26, v26, v5, v28
	v_and_b32_e32 v28, 0x80402010, v24
	v_cmp_ne_u16_sdwa s[20:21], v28, v19 src0_sel:BYTE_3 src1_sel:DWORD
	v_cmp_ne_u16_sdwa s[22:23], v28, v19 src0_sel:BYTE_1 src1_sel:DWORD
	v_lshrrev_b32_e32 v24, 22, v24
	v_lshrrev_b16_e32 v28, 4, v28
	v_cndmask_b32_e64 v29, 0, -1, s[22:23]
	v_cndmask_b32_e64 v31, 0, -1, s[20:21]
	v_bfe_i32 v28, v28, 0, 1
	v_lshlrev_b16_e32 v29, 8, v29
	v_bfe_i32 v24, v24, 0, 1
	v_lshlrev_b16_e32 v31, 8, v31
	v_or_b32_sdwa v30, v28, v29 dst_sel:DWORD dst_unused:UNUSED_PAD src0_sel:BYTE_0 src1_sel:DWORD
	v_or_b32_sdwa v32, v24, v31 dst_sel:WORD_1 dst_unused:UNUSED_PAD src0_sel:BYTE_0 src1_sel:DWORD
	v_or_b32_sdwa v30, v30, v32 dst_sel:DWORD dst_unused:UNUSED_PAD src0_sel:WORD_0 src1_sel:DWORD
	v_xor_b32_e32 v27, v27, v30
	v_and_b32_e32 v30, 0xffffff00, v27
	v_sub_i16 v29, v30, v29 clamp
	v_lshlrev_b16_e32 v30, 8, v27
	v_lshlrev_b16_e32 v28, 8, v28
	v_sub_i16 v28, v30, v28 clamp
	v_perm_b32 v28, v28, v29, s19
	v_and_b32_sdwa v29, v27, s17 dst_sel:DWORD dst_unused:UNUSED_PAD src0_sel:WORD_1 src1_sel:DWORD
	v_lshlrev_b16_sdwa v27, v22, v27 dst_sel:DWORD dst_unused:UNUSED_PAD src0_sel:DWORD src1_sel:WORD_1
	v_lshlrev_b16_e32 v24, 8, v24
	v_sub_i16 v29, v29, v31 clamp
	v_sub_i16 v24, v27, v24 clamp
	v_perm_b32 v24, v24, v29, s19
	v_lshl_or_b32 v24, v24, 16, v28
	v_dot4_i32_i8 v24, v24, v23, v26
	v_mul_lo_u32 v24, v24, v25
	v_ashrrev_i32_e32 v25, 31, v24
	v_lshrrev_b32_e32 v25, 29, v25
	v_add_u32_e32 v24, v24, v25
	v_ashrrev_i32_e32 v24, 3, v24
	v_cvt_f32_i32_e32 v15, v24
	v_fmac_f32_e32 v17, v14, v15
	v_add_u32_e32 v14, s15, v18
	v_mad_i64_i32 v[14:15], s[20:21], v14, s18, v[12:13]
	v_add_u32_e32 v18, 16, v18
	v_add_co_u32_e32 v24, vcc, v14, v20
	v_addc_co_u32_e32 v25, vcc, 0, v15, vcc
	global_load_dwordx2 v[24:25], v[24:25], off offset:2
	v_add_co_u32_e32 v10, vcc, 0x1200, v10
	v_addc_co_u32_e32 v11, vcc, 0, v11, vcc
	v_cmp_le_u32_e32 vcc, s11, v18
	s_or_b64 s[0:1], vcc, s[0:1]
	s_waitcnt vmcnt(0)
	v_lshlrev_b32_sdwa v26, v21, v24 dst_sel:DWORD dst_unused:UNUSED_PAD src0_sel:DWORD src1_sel:BYTE_0
	global_load_dwordx2 v[26:27], v26, s[12:13]
	v_and_b32_e32 v28, 0xff, v25
	v_bcnt_u32_b32 v29, v28, 0
	v_and_b32_e32 v29, 1, v29
	v_lshlrev_b32_e32 v29, 7, v29
	v_xor_b32_e32 v28, v29, v28
	v_mul_lo_u32 v28, v28, s16
	v_and_b32_e32 v29, 0x8040201, v28
	v_cmp_ne_u16_sdwa s[20:21], v29, v19 src0_sel:BYTE_3 src1_sel:DWORD
	v_cmp_ne_u16_sdwa s[22:23], v29, v19 src0_sel:BYTE_1 src1_sel:DWORD
	v_lshrrev_b32_e32 v30, 18, v28
	v_cndmask_b32_e64 v31, 0, -1, s[22:23]
	v_cndmask_b32_e64 v33, 0, -1, s[20:21]
	v_bfe_i32 v29, v28, 0, 1
	v_lshlrev_b16_e32 v31, 8, v31
	v_bfe_i32 v30, v30, 0, 1
	v_lshlrev_b16_e32 v33, 8, v33
	v_or_b32_sdwa v32, v29, v31 dst_sel:DWORD dst_unused:UNUSED_PAD src0_sel:BYTE_0 src1_sel:DWORD
	v_or_b32_sdwa v34, v30, v33 dst_sel:WORD_1 dst_unused:UNUSED_PAD src0_sel:BYTE_0 src1_sel:DWORD
	v_or_b32_sdwa v32, v32, v34 dst_sel:DWORD dst_unused:UNUSED_PAD src0_sel:WORD_0 src1_sel:DWORD
	v_lshlrev_b16_e32 v29, 8, v29
	v_lshlrev_b16_e32 v30, 8, v30
	s_waitcnt vmcnt(0)
	v_xor_b32_e32 v26, v26, v32
	v_and_b32_e32 v32, 0xffffff00, v26
	v_sub_i16 v31, v32, v31 clamp
	v_lshlrev_b16_e32 v32, 8, v26
	v_sub_i16 v29, v32, v29 clamp
	v_perm_b32 v29, v29, v31, s19
	v_and_b32_sdwa v31, v26, s17 dst_sel:DWORD dst_unused:UNUSED_PAD src0_sel:WORD_1 src1_sel:DWORD
	v_lshlrev_b16_sdwa v26, v22, v26 dst_sel:DWORD dst_unused:UNUSED_PAD src0_sel:DWORD src1_sel:WORD_1
	v_sub_i16 v31, v31, v33 clamp
	v_sub_i16 v26, v26, v30 clamp
	v_perm_b32 v26, v26, v31, s19
	v_lshl_or_b32 v26, v26, 16, v29
	v_dot4_i32_i8 v7, v26, v7, 0
	v_and_b32_e32 v26, 0x80402010, v28
	v_cmp_ne_u16_sdwa s[20:21], v26, v19 src0_sel:BYTE_3 src1_sel:DWORD
	v_cmp_ne_u16_sdwa s[22:23], v26, v19 src0_sel:BYTE_1 src1_sel:DWORD
	v_lshrrev_b32_e32 v28, 22, v28
	v_lshrrev_b16_e32 v26, 4, v26
	v_cndmask_b32_e64 v29, 0, -1, s[22:23]
	v_cndmask_b32_e64 v31, 0, -1, s[20:21]
	v_bfe_i32 v26, v26, 0, 1
	v_lshlrev_b16_e32 v29, 8, v29
	v_bfe_i32 v28, v28, 0, 1
	v_lshlrev_b16_e32 v31, 8, v31
	v_or_b32_sdwa v30, v26, v29 dst_sel:DWORD dst_unused:UNUSED_PAD src0_sel:BYTE_0 src1_sel:DWORD
	v_or_b32_sdwa v32, v28, v31 dst_sel:WORD_1 dst_unused:UNUSED_PAD src0_sel:BYTE_0 src1_sel:DWORD
	v_or_b32_sdwa v30, v30, v32 dst_sel:DWORD dst_unused:UNUSED_PAD src0_sel:WORD_0 src1_sel:DWORD
	v_xor_b32_e32 v27, v27, v30
	v_and_b32_e32 v30, 0xffffff00, v27
	v_sub_i16 v29, v30, v29 clamp
	v_lshlrev_b16_e32 v30, 8, v27
	v_lshlrev_b16_e32 v26, 8, v26
	v_sub_i16 v26, v30, v26 clamp
	v_perm_b32 v26, v26, v29, s19
	v_and_b32_sdwa v29, v27, s17 dst_sel:DWORD dst_unused:UNUSED_PAD src0_sel:WORD_1 src1_sel:DWORD
	v_lshlrev_b16_sdwa v27, v22, v27 dst_sel:DWORD dst_unused:UNUSED_PAD src0_sel:DWORD src1_sel:WORD_1
	v_lshlrev_b16_e32 v28, 8, v28
	v_sub_i16 v29, v29, v31 clamp
	v_sub_i16 v27, v27, v28 clamp
	v_perm_b32 v27, v27, v29, s19
	v_lshl_or_b32 v26, v27, 16, v26
	v_dot4_i32_i8 v26, v26, v8, v7
	v_lshlrev_b32_sdwa v7, v21, v24 dst_sel:DWORD dst_unused:UNUSED_PAD src0_sel:DWORD src1_sel:BYTE_1
	global_load_dwordx2 v[7:8], v7, s[12:13]
	v_bfe_u32 v27, v25, 7, 8
	v_bcnt_u32_b32 v28, v27, 0
	v_and_b32_e32 v28, 1, v28
	v_lshlrev_b32_e32 v28, 7, v28
	v_xor_b32_e32 v27, v28, v27
	v_mul_lo_u32 v27, v27, s16
	v_and_b32_e32 v28, 0x8040201, v27
	v_cmp_ne_u16_sdwa s[20:21], v28, v19 src0_sel:BYTE_3 src1_sel:DWORD
	v_cmp_ne_u16_sdwa s[22:23], v28, v19 src0_sel:BYTE_1 src1_sel:DWORD
	v_lshrrev_b32_e32 v29, 18, v27
	v_cndmask_b32_e64 v30, 0, -1, s[22:23]
	v_cndmask_b32_e64 v32, 0, -1, s[20:21]
	v_bfe_i32 v28, v27, 0, 1
	v_lshlrev_b16_e32 v30, 8, v30
	v_bfe_i32 v29, v29, 0, 1
	v_lshlrev_b16_e32 v32, 8, v32
	v_or_b32_sdwa v31, v28, v30 dst_sel:DWORD dst_unused:UNUSED_PAD src0_sel:BYTE_0 src1_sel:DWORD
	v_or_b32_sdwa v33, v29, v32 dst_sel:WORD_1 dst_unused:UNUSED_PAD src0_sel:BYTE_0 src1_sel:DWORD
	v_or_b32_sdwa v31, v31, v33 dst_sel:DWORD dst_unused:UNUSED_PAD src0_sel:WORD_0 src1_sel:DWORD
	v_lshlrev_b16_e32 v28, 8, v28
	v_lshlrev_b16_e32 v29, 8, v29
	s_waitcnt vmcnt(0)
	v_xor_b32_e32 v7, v7, v31
	v_and_b32_e32 v31, 0xffffff00, v7
	v_sub_i16 v30, v31, v30 clamp
	v_lshlrev_b16_e32 v31, 8, v7
	v_sub_i16 v28, v31, v28 clamp
	v_perm_b32 v28, v28, v30, s19
	v_and_b32_sdwa v30, v7, s17 dst_sel:DWORD dst_unused:UNUSED_PAD src0_sel:WORD_1 src1_sel:DWORD
	v_lshlrev_b16_sdwa v7, v22, v7 dst_sel:DWORD dst_unused:UNUSED_PAD src0_sel:DWORD src1_sel:WORD_1
	v_sub_i16 v30, v30, v32 clamp
	v_sub_i16 v7, v7, v29 clamp
	v_perm_b32 v7, v7, v30, s19
	v_lshl_or_b32 v7, v7, 16, v28
	v_dot4_i32_i8 v7, v7, v9, v26
	v_and_b32_e32 v9, 0x80402010, v27
	v_cmp_ne_u16_sdwa s[20:21], v9, v19 src0_sel:BYTE_3 src1_sel:DWORD
	v_cmp_ne_u16_sdwa s[22:23], v9, v19 src0_sel:BYTE_1 src1_sel:DWORD
	v_lshrrev_b32_e32 v26, 22, v27
	v_lshrrev_b16_e32 v9, 4, v9
	v_cndmask_b32_e64 v27, 0, -1, s[22:23]
	v_cndmask_b32_e64 v29, 0, -1, s[20:21]
	v_bfe_i32 v9, v9, 0, 1
	v_lshlrev_b16_e32 v27, 8, v27
	v_bfe_i32 v26, v26, 0, 1
	v_lshlrev_b16_e32 v29, 8, v29
	v_or_b32_sdwa v28, v9, v27 dst_sel:DWORD dst_unused:UNUSED_PAD src0_sel:BYTE_0 src1_sel:DWORD
	v_or_b32_sdwa v30, v26, v29 dst_sel:WORD_1 dst_unused:UNUSED_PAD src0_sel:BYTE_0 src1_sel:DWORD
	v_or_b32_sdwa v28, v28, v30 dst_sel:DWORD dst_unused:UNUSED_PAD src0_sel:WORD_0 src1_sel:DWORD
	v_xor_b32_e32 v8, v8, v28
	v_and_b32_e32 v28, 0xffffff00, v8
	v_sub_i16 v27, v28, v27 clamp
	v_lshlrev_b16_e32 v28, 8, v8
	v_lshlrev_b16_e32 v9, 8, v9
	v_sub_i16 v9, v28, v9 clamp
	v_perm_b32 v9, v9, v27, s19
	v_and_b32_sdwa v27, v8, s17 dst_sel:DWORD dst_unused:UNUSED_PAD src0_sel:WORD_1 src1_sel:DWORD
	v_lshlrev_b16_sdwa v8, v22, v8 dst_sel:DWORD dst_unused:UNUSED_PAD src0_sel:DWORD src1_sel:WORD_1
	v_lshlrev_b16_e32 v26, 8, v26
	v_sub_i16 v27, v27, v29 clamp
	v_sub_i16 v8, v8, v26 clamp
	v_perm_b32 v8, v8, v27, s19
	v_lshl_or_b32 v8, v8, 16, v9
	v_dot4_i32_i8 v2, v8, v2, v7
	v_lshlrev_b32_sdwa v7, v21, v24 dst_sel:DWORD dst_unused:UNUSED_PAD src0_sel:DWORD src1_sel:BYTE_2
	global_load_dwordx2 v[7:8], v7, s[12:13]
	v_bfe_u32 v9, v25, 14, 8
	v_bcnt_u32_b32 v26, v9, 0
	v_and_b32_e32 v26, 1, v26
	v_lshlrev_b32_e32 v26, 7, v26
	v_xor_b32_e32 v9, v26, v9
	v_mul_lo_u32 v9, v9, s16
	v_and_b32_e32 v26, 0x8040201, v9
	v_cmp_ne_u16_sdwa s[20:21], v26, v19 src0_sel:BYTE_3 src1_sel:DWORD
	v_cmp_ne_u16_sdwa s[22:23], v26, v19 src0_sel:BYTE_1 src1_sel:DWORD
	v_lshrrev_b32_e32 v27, 18, v9
	v_cndmask_b32_e64 v28, 0, -1, s[22:23]
	v_cndmask_b32_e64 v30, 0, -1, s[20:21]
	v_bfe_i32 v26, v9, 0, 1
	v_lshlrev_b16_e32 v28, 8, v28
	v_bfe_i32 v27, v27, 0, 1
	v_lshlrev_b16_e32 v30, 8, v30
	v_or_b32_sdwa v29, v26, v28 dst_sel:DWORD dst_unused:UNUSED_PAD src0_sel:BYTE_0 src1_sel:DWORD
	v_or_b32_sdwa v31, v27, v30 dst_sel:WORD_1 dst_unused:UNUSED_PAD src0_sel:BYTE_0 src1_sel:DWORD
	v_or_b32_sdwa v29, v29, v31 dst_sel:DWORD dst_unused:UNUSED_PAD src0_sel:WORD_0 src1_sel:DWORD
	v_lshlrev_b16_e32 v26, 8, v26
	v_lshlrev_b16_e32 v27, 8, v27
	s_waitcnt vmcnt(0)
	v_xor_b32_e32 v7, v7, v29
	v_and_b32_e32 v29, 0xffffff00, v7
	v_sub_i16 v28, v29, v28 clamp
	v_lshlrev_b16_e32 v29, 8, v7
	v_sub_i16 v26, v29, v26 clamp
	v_perm_b32 v26, v26, v28, s19
	v_and_b32_sdwa v28, v7, s17 dst_sel:DWORD dst_unused:UNUSED_PAD src0_sel:WORD_1 src1_sel:DWORD
	v_lshlrev_b16_sdwa v7, v22, v7 dst_sel:DWORD dst_unused:UNUSED_PAD src0_sel:DWORD src1_sel:WORD_1
	v_sub_i16 v28, v28, v30 clamp
	v_sub_i16 v7, v7, v27 clamp
	v_perm_b32 v7, v7, v28, s19
	v_lshl_or_b32 v7, v7, 16, v26
	v_dot4_i32_i8 v2, v7, v3, v2
	v_and_b32_e32 v3, 0x80402010, v9
	v_cmp_ne_u16_sdwa s[20:21], v3, v19 src0_sel:BYTE_3 src1_sel:DWORD
	v_cmp_ne_u16_sdwa s[22:23], v3, v19 src0_sel:BYTE_1 src1_sel:DWORD
	v_lshrrev_b32_e32 v7, 22, v9
	v_lshrrev_b16_e32 v3, 4, v3
	v_cndmask_b32_e64 v9, 0, -1, s[22:23]
	v_cndmask_b32_e64 v27, 0, -1, s[20:21]
	v_bfe_i32 v3, v3, 0, 1
	v_lshlrev_b16_e32 v9, 8, v9
	v_bfe_i32 v7, v7, 0, 1
	v_lshlrev_b16_e32 v27, 8, v27
	v_or_b32_sdwa v26, v3, v9 dst_sel:DWORD dst_unused:UNUSED_PAD src0_sel:BYTE_0 src1_sel:DWORD
	v_or_b32_sdwa v28, v7, v27 dst_sel:WORD_1 dst_unused:UNUSED_PAD src0_sel:BYTE_0 src1_sel:DWORD
	v_or_b32_sdwa v26, v26, v28 dst_sel:DWORD dst_unused:UNUSED_PAD src0_sel:WORD_0 src1_sel:DWORD
	v_xor_b32_e32 v8, v8, v26
	v_and_b32_e32 v26, 0xffffff00, v8
	v_sub_i16 v9, v26, v9 clamp
	v_lshlrev_b16_e32 v26, 8, v8
	v_lshlrev_b16_e32 v3, 8, v3
	v_sub_i16 v3, v26, v3 clamp
	v_perm_b32 v3, v3, v9, s19
	v_and_b32_sdwa v9, v8, s17 dst_sel:DWORD dst_unused:UNUSED_PAD src0_sel:WORD_1 src1_sel:DWORD
	v_lshlrev_b16_sdwa v8, v22, v8 dst_sel:DWORD dst_unused:UNUSED_PAD src0_sel:DWORD src1_sel:WORD_1
	v_lshlrev_b16_e32 v7, 8, v7
	v_sub_i16 v9, v9, v27 clamp
	v_sub_i16 v7, v8, v7 clamp
	v_perm_b32 v7, v7, v9, s19
	v_lshl_or_b32 v3, v7, 16, v3
	v_dot4_i32_i8 v4, v3, v4, v2
	v_lshlrev_b32_sdwa v2, v21, v24 dst_sel:DWORD dst_unused:UNUSED_PAD src0_sel:DWORD src1_sel:BYTE_3
	global_load_dwordx2 v[2:3], v2, s[12:13]
	v_bfe_u32 v7, v25, 21, 8
	v_bcnt_u32_b32 v8, v7, 0
	v_and_b32_e32 v8, 1, v8
	v_lshlrev_b32_e32 v8, 7, v8
	v_xor_b32_e32 v7, v8, v7
	v_mul_lo_u32 v7, v7, s16
	v_and_b32_e32 v8, 0x8040201, v7
	v_cmp_ne_u16_sdwa s[12:13], v8, v19 src0_sel:BYTE_3 src1_sel:DWORD
	v_cmp_ne_u16_sdwa s[20:21], v8, v19 src0_sel:BYTE_1 src1_sel:DWORD
	v_lshrrev_b32_e32 v9, 18, v7
	v_cndmask_b32_e64 v24, 0, -1, s[20:21]
	v_cndmask_b32_e64 v27, 0, -1, s[12:13]
	v_bfe_i32 v8, v7, 0, 1
	v_lshlrev_b16_e32 v24, 8, v24
	v_bfe_i32 v9, v9, 0, 1
	v_lshlrev_b16_e32 v27, 8, v27
	v_or_b32_sdwa v26, v8, v24 dst_sel:DWORD dst_unused:UNUSED_PAD src0_sel:BYTE_0 src1_sel:DWORD
	v_or_b32_sdwa v28, v9, v27 dst_sel:WORD_1 dst_unused:UNUSED_PAD src0_sel:BYTE_0 src1_sel:DWORD
	v_or_b32_sdwa v26, v26, v28 dst_sel:DWORD dst_unused:UNUSED_PAD src0_sel:WORD_0 src1_sel:DWORD
	v_lshlrev_b16_e32 v8, 8, v8
	v_lshlrev_b16_e32 v9, 8, v9
	s_waitcnt vmcnt(0)
	v_xor_b32_e32 v2, v2, v26
	v_and_b32_e32 v26, 0xffffff00, v2
	v_sub_i16 v24, v26, v24 clamp
	v_lshlrev_b16_e32 v26, 8, v2
	v_sub_i16 v8, v26, v8 clamp
	v_perm_b32 v8, v8, v24, s19
	v_and_b32_sdwa v24, v2, s17 dst_sel:DWORD dst_unused:UNUSED_PAD src0_sel:WORD_1 src1_sel:DWORD
	v_lshlrev_b16_sdwa v2, v22, v2 dst_sel:DWORD dst_unused:UNUSED_PAD src0_sel:DWORD src1_sel:WORD_1
	v_sub_i16 v24, v24, v27 clamp
	v_sub_i16 v2, v2, v9 clamp
	v_perm_b32 v2, v2, v24, s19
	v_lshl_or_b32 v2, v2, 16, v8
	v_dot4_i32_i8 v2, v2, v5, v4
	v_and_b32_e32 v4, 0x80402010, v7
	v_cmp_ne_u16_sdwa s[12:13], v4, v19 src0_sel:BYTE_3 src1_sel:DWORD
	v_cmp_ne_u16_sdwa s[20:21], v4, v19 src0_sel:BYTE_1 src1_sel:DWORD
	v_lshrrev_b32_e32 v5, 22, v7
	v_lshrrev_b16_e32 v4, 4, v4
	v_cndmask_b32_e64 v7, 0, -1, s[20:21]
	v_cndmask_b32_e64 v9, 0, -1, s[12:13]
	v_bfe_i32 v4, v4, 0, 1
	v_lshlrev_b16_e32 v7, 8, v7
	v_bfe_i32 v5, v5, 0, 1
	v_lshlrev_b16_e32 v9, 8, v9
	v_or_b32_sdwa v8, v4, v7 dst_sel:DWORD dst_unused:UNUSED_PAD src0_sel:BYTE_0 src1_sel:DWORD
	v_or_b32_sdwa v24, v5, v9 dst_sel:WORD_1 dst_unused:UNUSED_PAD src0_sel:BYTE_0 src1_sel:DWORD
	v_or_b32_sdwa v8, v8, v24 dst_sel:DWORD dst_unused:UNUSED_PAD src0_sel:WORD_0 src1_sel:DWORD
	v_xor_b32_e32 v3, v3, v8
	v_and_b32_e32 v8, 0xffffff00, v3
	v_sub_i16 v7, v8, v7 clamp
	v_lshlrev_b16_e32 v8, 8, v3
	v_lshlrev_b16_e32 v4, 8, v4
	v_sub_i16 v4, v8, v4 clamp
	v_perm_b32 v4, v4, v7, s19
	v_and_b32_sdwa v7, v3, s17 dst_sel:DWORD dst_unused:UNUSED_PAD src0_sel:WORD_1 src1_sel:DWORD
	v_lshlrev_b16_sdwa v3, v22, v3 dst_sel:DWORD dst_unused:UNUSED_PAD src0_sel:DWORD src1_sel:WORD_1
	v_lshlrev_b16_e32 v5, 8, v5
	v_sub_i16 v7, v7, v9 clamp
	v_sub_i16 v3, v3, v5 clamp
	v_perm_b32 v3, v3, v7, s19
	v_lshl_or_b32 v3, v3, 16, v4
	v_dot4_i32_i8 v2, v3, v23, v2
	v_lshrrev_b32_e32 v3, 27, v25
	v_or_b32_e32 v3, 1, v3
	v_mul_lo_u32 v2, v2, v3
	v_ashrrev_i32_e32 v3, 31, v2
	v_lshrrev_b32_e32 v3, 29, v3
	v_add_u32_e32 v2, v2, v3
	global_load_ushort v3, v[14:15], off
	v_ashrrev_i32_e32 v2, 3, v2
	v_cvt_f32_i32_e32 v2, v2
	s_waitcnt vmcnt(0)
	v_cvt_f32_f16_e32 v3, v3
	v_mul_f32_e32 v3, v3, v6
	v_fmac_f32_e32 v16, v3, v2
	s_andn2_b64 exec, exec, s[0:1]
	s_cbranch_execnz .LBB158_9
; %bb.10:
	s_or_b64 exec, exec, s[0:1]
.LBB158_11:
	s_or_b64 exec, exec, s[6:7]
	v_cmp_eq_u32_e32 vcc, 0, v1
	s_waitcnt lgkmcnt(0)
	v_cmp_ne_u32_e64 s[0:1], 0, v1
	v_lshlrev_b32_e32 v2, 2, v0
	s_and_saveexec_b64 s[6:7], s[0:1]
; %bb.12:
	v_lshl_or_b32 v1, v1, 9, v2
	v_add_u32_e32 v1, 0xfffffe00, v1
	ds_write2st64_b32 v1, v17, v16 offset1:1
; %bb.13:
	s_or_b64 exec, exec, s[6:7]
	s_waitcnt lgkmcnt(0)
	s_barrier
	s_and_saveexec_b64 s[0:1], vcc
	s_cbranch_execz .LBB158_16
; %bb.14:
	v_mbcnt_lo_u32_b32 v1, -1, 0
	v_mbcnt_hi_u32_b32 v1, -1, v1
	v_and_b32_e32 v3, 64, v1
	v_add_u32_e32 v5, 64, v3
	v_xor_b32_e32 v3, 32, v1
	v_cmp_lt_i32_e32 vcc, v3, v5
	v_cndmask_b32_e32 v3, v1, v3, vcc
	v_lshlrev_b32_e32 v6, 2, v3
	v_xor_b32_e32 v3, 16, v1
	v_cmp_lt_i32_e32 vcc, v3, v5
	v_cndmask_b32_e32 v3, v1, v3, vcc
	v_lshlrev_b32_e32 v7, 2, v3
	ds_read2st64_b32 v[3:4], v2 offset1:1
	v_xor_b32_e32 v8, 8, v1
	v_cmp_lt_i32_e32 vcc, v8, v5
	v_cndmask_b32_e32 v8, v1, v8, vcc
	v_lshlrev_b32_e32 v8, 2, v8
	s_waitcnt lgkmcnt(0)
	v_add_f32_e32 v3, v17, v3
	v_add_f32_e32 v4, v16, v4
	ds_bpermute_b32 v10, v6, v3
	ds_bpermute_b32 v6, v6, v4
	v_xor_b32_e32 v9, 4, v1
	v_cmp_lt_i32_e32 vcc, v9, v5
	v_cndmask_b32_e32 v9, v1, v9, vcc
	s_waitcnt lgkmcnt(1)
	v_add_f32_e32 v3, v3, v10
	s_waitcnt lgkmcnt(0)
	v_add_f32_e32 v4, v4, v6
	ds_bpermute_b32 v10, v7, v3
	ds_bpermute_b32 v6, v7, v4
	v_lshlrev_b32_e32 v7, 2, v9
	v_xor_b32_e32 v9, 2, v1
	v_cmp_lt_i32_e32 vcc, v9, v5
	s_waitcnt lgkmcnt(1)
	v_add_f32_e32 v3, v3, v10
	s_waitcnt lgkmcnt(0)
	v_add_f32_e32 v4, v4, v6
	ds_bpermute_b32 v10, v8, v3
	ds_bpermute_b32 v6, v8, v4
	v_cndmask_b32_e32 v8, v1, v9, vcc
	s_load_dword s0, s[4:5], 0x58
	s_mov_b32 s3, 0
	s_waitcnt lgkmcnt(0)
	v_add_f32_e32 v3, v3, v10
	v_add_f32_e32 v4, v4, v6
	ds_bpermute_b32 v9, v7, v3
	ds_bpermute_b32 v6, v7, v4
	v_lshlrev_b32_e32 v7, 2, v8
	v_xor_b32_e32 v8, 1, v1
	v_cmp_lt_i32_e32 vcc, v8, v5
	s_waitcnt lgkmcnt(1)
	v_add_f32_e32 v3, v3, v9
	s_waitcnt lgkmcnt(0)
	v_add_f32_e32 v4, v4, v6
	ds_bpermute_b32 v9, v7, v3
	ds_bpermute_b32 v6, v7, v4
	v_cndmask_b32_e32 v1, v1, v8, vcc
	v_lshlrev_b32_e32 v5, 2, v1
	s_waitcnt lgkmcnt(1)
	v_add_f32_e32 v1, v3, v9
	s_waitcnt lgkmcnt(0)
	v_add_f32_e32 v4, v4, v6
	ds_bpermute_b32 v3, v5, v1
	ds_bpermute_b32 v5, v5, v4
	v_or_b32_e32 v6, s9, v0
	v_cmp_gt_u32_e32 vcc, s0, v6
	v_cmp_gt_u32_e64 s[0:1], 2, v0
	s_and_b64 s[0:1], s[0:1], vcc
	s_and_b64 exec, exec, s[0:1]
	s_cbranch_execz .LBB158_16
; %bb.15:
	s_load_dwordx2 s[0:1], s[4:5], 0x38
	s_mul_i32 s2, s2, s10
	s_add_i32 s2, s2, s9
	s_mul_i32 s4, s14, s8
	s_add_i32 s2, s2, s4
	s_lshl_b64 s[2:3], s[2:3], 2
	s_waitcnt lgkmcnt(0)
	s_add_u32 s0, s0, s2
	v_add_f32_e32 v4, v4, v5
	v_add_f32_e32 v1, v1, v3
	v_cmp_eq_u32_e32 vcc, 1, v0
	s_addc_u32 s1, s1, s3
	v_cndmask_b32_e32 v0, v1, v4, vcc
	global_store_dword v2, v0, s[0:1]
.LBB158_16:
	s_endpgm
	.section	.rodata,"a",@progbits
	.p2align	6, 0x0
	.amdhsa_kernel _ZL13mul_mat_vec_qIL9ggml_type16ELi1ELb0ELb1EEvPKvS2_PKi31ggml_cuda_mm_fusion_args_devicePfj15HIP_vector_typeIjLj3EEjjjS8_jjjS8_jjjj
		.amdhsa_group_segment_fixed_size 512
		.amdhsa_private_segment_fixed_size 0
		.amdhsa_kernarg_size 144
		.amdhsa_user_sgpr_count 6
		.amdhsa_user_sgpr_private_segment_buffer 1
		.amdhsa_user_sgpr_dispatch_ptr 0
		.amdhsa_user_sgpr_queue_ptr 0
		.amdhsa_user_sgpr_kernarg_segment_ptr 1
		.amdhsa_user_sgpr_dispatch_id 0
		.amdhsa_user_sgpr_flat_scratch_init 0
		.amdhsa_user_sgpr_private_segment_size 0
		.amdhsa_uses_dynamic_stack 0
		.amdhsa_system_sgpr_private_segment_wavefront_offset 0
		.amdhsa_system_sgpr_workgroup_id_x 1
		.amdhsa_system_sgpr_workgroup_id_y 1
		.amdhsa_system_sgpr_workgroup_id_z 1
		.amdhsa_system_sgpr_workgroup_info 0
		.amdhsa_system_vgpr_workitem_id 1
		.amdhsa_next_free_vgpr 36
		.amdhsa_next_free_sgpr 24
		.amdhsa_reserve_vcc 1
		.amdhsa_reserve_flat_scratch 0
		.amdhsa_float_round_mode_32 0
		.amdhsa_float_round_mode_16_64 0
		.amdhsa_float_denorm_mode_32 3
		.amdhsa_float_denorm_mode_16_64 3
		.amdhsa_dx10_clamp 1
		.amdhsa_ieee_mode 1
		.amdhsa_fp16_overflow 0
		.amdhsa_exception_fp_ieee_invalid_op 0
		.amdhsa_exception_fp_denorm_src 0
		.amdhsa_exception_fp_ieee_div_zero 0
		.amdhsa_exception_fp_ieee_overflow 0
		.amdhsa_exception_fp_ieee_underflow 0
		.amdhsa_exception_fp_ieee_inexact 0
		.amdhsa_exception_int_div_zero 0
	.end_amdhsa_kernel
	.section	.text._ZL13mul_mat_vec_qIL9ggml_type16ELi1ELb0ELb1EEvPKvS2_PKi31ggml_cuda_mm_fusion_args_devicePfj15HIP_vector_typeIjLj3EEjjjS8_jjjS8_jjjj,"axG",@progbits,_ZL13mul_mat_vec_qIL9ggml_type16ELi1ELb0ELb1EEvPKvS2_PKi31ggml_cuda_mm_fusion_args_devicePfj15HIP_vector_typeIjLj3EEjjjS8_jjjS8_jjjj,comdat
.Lfunc_end158:
	.size	_ZL13mul_mat_vec_qIL9ggml_type16ELi1ELb0ELb1EEvPKvS2_PKi31ggml_cuda_mm_fusion_args_devicePfj15HIP_vector_typeIjLj3EEjjjS8_jjjS8_jjjj, .Lfunc_end158-_ZL13mul_mat_vec_qIL9ggml_type16ELi1ELb0ELb1EEvPKvS2_PKi31ggml_cuda_mm_fusion_args_devicePfj15HIP_vector_typeIjLj3EEjjjS8_jjjS8_jjjj
                                        ; -- End function
	.set _ZL13mul_mat_vec_qIL9ggml_type16ELi1ELb0ELb1EEvPKvS2_PKi31ggml_cuda_mm_fusion_args_devicePfj15HIP_vector_typeIjLj3EEjjjS8_jjjS8_jjjj.num_vgpr, 36
	.set _ZL13mul_mat_vec_qIL9ggml_type16ELi1ELb0ELb1EEvPKvS2_PKi31ggml_cuda_mm_fusion_args_devicePfj15HIP_vector_typeIjLj3EEjjjS8_jjjS8_jjjj.num_agpr, 0
	.set _ZL13mul_mat_vec_qIL9ggml_type16ELi1ELb0ELb1EEvPKvS2_PKi31ggml_cuda_mm_fusion_args_devicePfj15HIP_vector_typeIjLj3EEjjjS8_jjjS8_jjjj.numbered_sgpr, 24
	.set _ZL13mul_mat_vec_qIL9ggml_type16ELi1ELb0ELb1EEvPKvS2_PKi31ggml_cuda_mm_fusion_args_devicePfj15HIP_vector_typeIjLj3EEjjjS8_jjjS8_jjjj.num_named_barrier, 0
	.set _ZL13mul_mat_vec_qIL9ggml_type16ELi1ELb0ELb1EEvPKvS2_PKi31ggml_cuda_mm_fusion_args_devicePfj15HIP_vector_typeIjLj3EEjjjS8_jjjS8_jjjj.private_seg_size, 0
	.set _ZL13mul_mat_vec_qIL9ggml_type16ELi1ELb0ELb1EEvPKvS2_PKi31ggml_cuda_mm_fusion_args_devicePfj15HIP_vector_typeIjLj3EEjjjS8_jjjS8_jjjj.uses_vcc, 1
	.set _ZL13mul_mat_vec_qIL9ggml_type16ELi1ELb0ELb1EEvPKvS2_PKi31ggml_cuda_mm_fusion_args_devicePfj15HIP_vector_typeIjLj3EEjjjS8_jjjS8_jjjj.uses_flat_scratch, 0
	.set _ZL13mul_mat_vec_qIL9ggml_type16ELi1ELb0ELb1EEvPKvS2_PKi31ggml_cuda_mm_fusion_args_devicePfj15HIP_vector_typeIjLj3EEjjjS8_jjjS8_jjjj.has_dyn_sized_stack, 0
	.set _ZL13mul_mat_vec_qIL9ggml_type16ELi1ELb0ELb1EEvPKvS2_PKi31ggml_cuda_mm_fusion_args_devicePfj15HIP_vector_typeIjLj3EEjjjS8_jjjS8_jjjj.has_recursion, 0
	.set _ZL13mul_mat_vec_qIL9ggml_type16ELi1ELb0ELb1EEvPKvS2_PKi31ggml_cuda_mm_fusion_args_devicePfj15HIP_vector_typeIjLj3EEjjjS8_jjjS8_jjjj.has_indirect_call, 0
	.section	.AMDGPU.csdata,"",@progbits
; Kernel info:
; codeLenInByte = 4824
; TotalNumSgprs: 28
; NumVgprs: 36
; ScratchSize: 0
; MemoryBound: 0
; FloatMode: 240
; IeeeMode: 1
; LDSByteSize: 512 bytes/workgroup (compile time only)
; SGPRBlocks: 3
; VGPRBlocks: 8
; NumSGPRsForWavesPerEU: 28
; NumVGPRsForWavesPerEU: 36
; Occupancy: 7
; WaveLimiterHint : 0
; COMPUTE_PGM_RSRC2:SCRATCH_EN: 0
; COMPUTE_PGM_RSRC2:USER_SGPR: 6
; COMPUTE_PGM_RSRC2:TRAP_HANDLER: 0
; COMPUTE_PGM_RSRC2:TGID_X_EN: 1
; COMPUTE_PGM_RSRC2:TGID_Y_EN: 1
; COMPUTE_PGM_RSRC2:TGID_Z_EN: 1
; COMPUTE_PGM_RSRC2:TIDIG_COMP_CNT: 1
	.section	.text._ZL13mul_mat_vec_qIL9ggml_type16ELi1ELb1ELb0EEvPKvS2_PKi31ggml_cuda_mm_fusion_args_devicePfj15HIP_vector_typeIjLj3EEjjjS8_jjjS8_jjjj,"axG",@progbits,_ZL13mul_mat_vec_qIL9ggml_type16ELi1ELb1ELb0EEvPKvS2_PKi31ggml_cuda_mm_fusion_args_devicePfj15HIP_vector_typeIjLj3EEjjjS8_jjjS8_jjjj,comdat
	.globl	_ZL13mul_mat_vec_qIL9ggml_type16ELi1ELb1ELb0EEvPKvS2_PKi31ggml_cuda_mm_fusion_args_devicePfj15HIP_vector_typeIjLj3EEjjjS8_jjjS8_jjjj ; -- Begin function _ZL13mul_mat_vec_qIL9ggml_type16ELi1ELb1ELb0EEvPKvS2_PKi31ggml_cuda_mm_fusion_args_devicePfj15HIP_vector_typeIjLj3EEjjjS8_jjjS8_jjjj
	.p2align	8
	.type	_ZL13mul_mat_vec_qIL9ggml_type16ELi1ELb1ELb0EEvPKvS2_PKi31ggml_cuda_mm_fusion_args_devicePfj15HIP_vector_typeIjLj3EEjjjS8_jjjS8_jjjj,@function
_ZL13mul_mat_vec_qIL9ggml_type16ELi1ELb1ELb0EEvPKvS2_PKi31ggml_cuda_mm_fusion_args_devicePfj15HIP_vector_typeIjLj3EEjjjS8_jjjS8_jjjj: ; @_ZL13mul_mat_vec_qIL9ggml_type16ELi1ELb1ELb0EEvPKvS2_PKi31ggml_cuda_mm_fusion_args_devicePfj15HIP_vector_typeIjLj3EEjjjS8_jjjS8_jjjj
; %bb.0:
	s_load_dwordx8 s[16:23], s[4:5], 0x0
	s_load_dwordx4 s[36:39], s[4:5], 0x20
	s_load_dwordx4 s[12:15], s[4:5], 0x40
	;; [unrolled: 1-line block ×3, first 2 shown]
	s_mov_b32 s34, s7
	s_waitcnt lgkmcnt(0)
	s_cmp_lg_u64 s[20:21], 0
	s_cselect_b64 s[0:1], -1, 0
	s_cmp_eq_u64 s[20:21], 0
	s_mov_b64 s[2:3], 0
	s_cbranch_scc1 .LBB159_5
; %bb.1:
	s_mov_b32 s35, 0
	s_lshl_b64 s[10:11], s[34:35], 2
	s_add_u32 s10, s20, s10
	s_addc_u32 s11, s21, s11
	s_load_dword s9, s[10:11], 0x0
	s_load_dword s33, s[4:5], 0x50
	s_load_dword s35, s[4:5], 0x78
	s_andn2_b64 vcc, exec, s[2:3]
	s_cbranch_vccnz .LBB159_3
.LBB159_2:
	s_load_dwordx2 s[2:3], s[4:5], 0x5c
	s_waitcnt lgkmcnt(0)
	s_mul_hi_u32 s2, s2, s34
	s_add_i32 s2, s34, s2
	s_lshr_b32 s9, s2, s3
.LBB159_3:
	s_andn2_b64 vcc, exec, s[0:1]
	s_cbranch_vccnz .LBB159_6
; %bb.4:
	s_mul_hi_u32 s0, s13, s34
	s_add_i32 s0, s34, s0
	s_lshr_b32 s0, s0, s14
	s_mul_i32 s0, s0, s15
	s_sub_i32 s40, s34, s0
	s_waitcnt lgkmcnt(0)
	s_mov_b32 s2, s9
	s_branch .LBB159_7
.LBB159_5:
                                        ; implicit-def: $sgpr9
	s_load_dword s33, s[4:5], 0x50
	s_load_dword s35, s[4:5], 0x78
	s_branch .LBB159_2
.LBB159_6:
	s_mov_b32 s2, s34
	s_mov_b32 s40, s34
.LBB159_7:
	s_load_dwordx4 s[28:31], s[4:5], 0x80
	s_cmp_lg_u64 s[22:23], 0
	v_or_b32_e32 v2, v0, v1
	s_cselect_b64 s[0:1], -1, 0
	v_cmp_eq_u32_e32 vcc, 0, v2
	s_mov_b32 s15, 0
	s_and_b64 s[20:21], s[0:1], vcc
	v_mov_b32_e32 v27, 0
	s_mul_i32 s10, s2, s26
	v_lshlrev_b32_e32 v26, 2, v0
	v_mov_b32_e32 v28, 0
	s_and_saveexec_b64 s[2:3], s[20:21]
	s_cbranch_execz .LBB159_9
; %bb.8:
	s_waitcnt lgkmcnt(0)
	s_mul_i32 s14, s30, s8
	s_lshl_b64 s[20:21], s[14:15], 2
	s_add_u32 s7, s22, s20
	s_mov_b32 s11, s15
	s_addc_u32 s13, s23, s21
	s_lshl_b64 s[14:15], s[10:11], 2
	s_add_u32 s11, s7, s14
	s_addc_u32 s13, s13, s15
	s_ashr_i32 s7, s6, 31
	s_lshl_b64 s[14:15], s[6:7], 2
	s_add_u32 s14, s11, s14
	s_addc_u32 s15, s13, s15
	global_load_dword v28, v26, s[14:15]
.LBB159_9:
	s_or_b64 exec, exec, s[2:3]
	s_cmp_lg_u64 s[36:37], 0
	s_cselect_b64 s[14:15], -1, 0
	s_cmp_lg_u64 s[38:39], 0
	s_cselect_b64 s[2:3], -1, 0
	s_and_b64 s[20:21], s[2:3], s[14:15]
	s_and_b64 s[22:23], s[20:21], vcc
	s_and_saveexec_b64 s[20:21], s[22:23]
	s_cbranch_execz .LBB159_11
; %bb.10:
	s_waitcnt lgkmcnt(0)
	s_mul_i32 s22, s30, s8
	s_mov_b32 s23, 0
	s_lshl_b64 s[42:43], s[22:23], 2
	s_add_u32 s7, s38, s42
	s_mov_b32 s11, s23
	s_addc_u32 s13, s39, s43
	s_lshl_b64 s[10:11], s[10:11], 2
	s_add_u32 s22, s7, s10
	s_addc_u32 s13, s13, s11
	s_ashr_i32 s7, s6, 31
	s_lshl_b64 s[10:11], s[6:7], 2
	s_add_u32 s10, s22, s10
	s_addc_u32 s11, s13, s11
	global_load_dword v27, v26, s[10:11]
.LBB159_11:
	s_or_b64 exec, exec, s[20:21]
	v_lshl_add_u32 v2, v1, 6, v0
	s_lshr_b32 s7, s12, 8
	v_lshrrev_b32_e32 v31, 3, v2
	v_cndmask_b32_e64 v3, 0, 1, s[14:15]
	v_cmp_gt_u32_e32 vcc, s7, v31
	v_mov_b32_e32 v30, 0
	v_cmp_ne_u32_e64 s[12:13], 1, v3
	v_mov_b32_e32 v29, 0
	s_and_saveexec_b64 s[20:21], vcc
	s_cbranch_execz .LBB159_17
; %bb.12:
	s_mul_hi_u32 s10, s27, s8
	s_add_i32 s10, s8, s10
	s_waitcnt lgkmcnt(0)
	s_lshr_b32 s10, s10, s35
	s_mul_i32 s22, s10, s28
	s_mul_i32 s10, s40, s25
	v_lshlrev_b32_e32 v3, 1, v0
	s_mul_hi_u32 s11, s10, 36
	s_mul_i32 s10, s10, 36
	v_and_b32_e32 v4, 14, v3
	v_lshrrev_b32_e32 v5, 3, v2
	v_mov_b32_e32 v2, s10
	v_mov_b32_e32 v3, s11
	s_movk_i32 s10, 0x120
	v_mad_u64_u32 v[2:3], s[10:11], v5, s10, v[2:3]
	s_mul_i32 s23, s29, s8
	v_and_b32_e32 v5, 7, v0
	v_mad_u64_u32 v[2:3], s[10:11], s23, 36, v[2:3]
	s_mul_i32 s33, s33, s6
	s_mul_i32 s9, s9, s24
	v_mad_u64_u32 v[2:3], s[10:11], v5, 36, v[2:3]
	v_mov_b32_e32 v5, s19
	s_add_i32 s22, s22, s33
	v_add_co_u32_e32 v2, vcc, s18, v2
	v_addc_co_u32_e32 v3, vcc, v5, v3, vcc
	v_lshlrev_b32_e32 v4, 1, v4
	v_add_co_u32_e32 v10, vcc, 32, v2
	v_mov_b32_e32 v12, s16
	s_add_i32 s9, s9, s22
	v_mov_b32_e32 v32, 0
	v_addc_co_u32_e32 v11, vcc, 0, v3, vcc
	s_mov_b64 s[18:19], 0
	s_movk_i32 s22, 0x42
	v_mov_b32_e32 v13, s17
	v_lshlrev_b32_e32 v33, 1, v4
	s_mov_b32 s16, 0x1010101
	s_movk_i32 s17, 0xff00
	s_mov_b32 s23, 0xc0c0105
	v_mov_b32_e32 v34, 3
	v_mov_b32_e32 v35, 8
	;; [unrolled: 1-line block ×4, first 2 shown]
	s_branch .LBB159_14
.LBB159_13:                             ;   in Loop: Header=BB159_14 Depth=1
	v_and_b32_e32 v14, 0xff, v15
	v_bcnt_u32_b32 v24, v14, 0
	v_and_b32_e32 v24, 1, v24
	v_lshlrev_b32_e32 v24, 7, v24
	v_xor_b32_e32 v14, v24, v14
	v_mul_lo_u32 v14, v14, s16
	v_add_u32_e32 v31, 16, v31
	v_add_co_u32_e32 v10, vcc, 0x1200, v10
	v_and_b32_e32 v24, 0x8040201, v14
	v_cmp_ne_u16_sdwa s[10:11], v24, v32 src0_sel:BYTE_1 src1_sel:DWORD
	v_cndmask_b32_e64 v39, 0, -1, s[10:11]
	v_cmp_ne_u16_sdwa s[10:11], v24, v32 src0_sel:BYTE_3 src1_sel:DWORD
	v_lshrrev_b32_e32 v25, 18, v14
	v_cndmask_b32_e64 v24, 0, -1, s[10:11]
	v_bfe_i32 v38, v14, 0, 1
	v_lshlrev_b16_e32 v39, 8, v39
	v_bfe_i32 v25, v25, 0, 1
	v_lshlrev_b16_e32 v24, 8, v24
	v_or_b32_sdwa v40, v38, v39 dst_sel:DWORD dst_unused:UNUSED_PAD src0_sel:BYTE_0 src1_sel:DWORD
	v_or_b32_sdwa v41, v25, v24 dst_sel:WORD_1 dst_unused:UNUSED_PAD src0_sel:BYTE_0 src1_sel:DWORD
	v_or_b32_sdwa v40, v40, v41 dst_sel:DWORD dst_unused:UNUSED_PAD src0_sel:WORD_0 src1_sel:DWORD
	s_waitcnt vmcnt(4)
	v_xor_b32_e32 v22, v22, v40
	v_and_b32_e32 v40, 0xffffff00, v22
	v_sub_i16 v39, v40, v39 clamp
	v_lshlrev_b16_e32 v40, 8, v22
	v_lshlrev_b16_e32 v38, 8, v38
	v_sub_i16 v38, v40, v38 clamp
	v_perm_b32 v38, v38, v39, s23
	v_and_b32_sdwa v39, v22, s17 dst_sel:DWORD dst_unused:UNUSED_PAD src0_sel:WORD_1 src1_sel:DWORD
	v_lshlrev_b16_sdwa v22, v35, v22 dst_sel:DWORD dst_unused:UNUSED_PAD src0_sel:DWORD src1_sel:WORD_1
	v_lshlrev_b16_e32 v25, 8, v25
	v_sub_i16 v24, v39, v24 clamp
	v_sub_i16 v22, v22, v25 clamp
	v_perm_b32 v22, v22, v24, s23
	v_lshl_or_b32 v22, v22, 16, v38
	v_dot4_i32_i8 v7, v22, v7, 0
	v_and_b32_e32 v22, 0x80402010, v14
	v_cmp_ne_u16_sdwa s[10:11], v22, v32 src0_sel:BYTE_1 src1_sel:DWORD
	v_cndmask_b32_e64 v25, 0, -1, s[10:11]
	v_cmp_ne_u16_sdwa s[10:11], v22, v32 src0_sel:BYTE_3 src1_sel:DWORD
	v_lshrrev_b32_e32 v14, 22, v14
	v_lshrrev_b16_e32 v24, 4, v22
	v_cndmask_b32_e64 v22, 0, -1, s[10:11]
	v_bfe_i32 v24, v24, 0, 1
	v_lshlrev_b16_e32 v25, 8, v25
	v_bfe_i32 v14, v14, 0, 1
	v_lshlrev_b16_e32 v22, 8, v22
	v_or_b32_sdwa v38, v24, v25 dst_sel:DWORD dst_unused:UNUSED_PAD src0_sel:BYTE_0 src1_sel:DWORD
	v_or_b32_sdwa v39, v14, v22 dst_sel:WORD_1 dst_unused:UNUSED_PAD src0_sel:BYTE_0 src1_sel:DWORD
	v_or_b32_sdwa v38, v38, v39 dst_sel:DWORD dst_unused:UNUSED_PAD src0_sel:WORD_0 src1_sel:DWORD
	v_xor_b32_e32 v23, v23, v38
	v_and_b32_e32 v38, 0xffffff00, v23
	v_sub_i16 v25, v38, v25 clamp
	v_lshlrev_b16_e32 v38, 8, v23
	v_lshlrev_b16_e32 v24, 8, v24
	v_sub_i16 v24, v38, v24 clamp
	v_perm_b32 v24, v24, v25, s23
	v_and_b32_sdwa v25, v23, s17 dst_sel:DWORD dst_unused:UNUSED_PAD src0_sel:WORD_1 src1_sel:DWORD
	v_lshlrev_b16_sdwa v23, v35, v23 dst_sel:DWORD dst_unused:UNUSED_PAD src0_sel:DWORD src1_sel:WORD_1
	v_lshlrev_b16_e32 v14, 8, v14
	v_sub_i16 v14, v23, v14 clamp
	v_bfe_u32 v23, v15, 7, 8
	v_sub_i16 v22, v25, v22 clamp
	v_bcnt_u32_b32 v25, v23, 0
	v_and_b32_e32 v25, 1, v25
	v_lshlrev_b32_e32 v25, 7, v25
	v_xor_b32_e32 v23, v25, v23
	v_mul_lo_u32 v23, v23, s16
	v_perm_b32 v14, v14, v22, s23
	v_lshl_or_b32 v14, v14, 16, v24
	v_dot4_i32_i8 v7, v14, v8, v7
	v_and_b32_e32 v8, 0x8040201, v23
	v_cmp_ne_u16_sdwa s[10:11], v8, v32 src0_sel:BYTE_1 src1_sel:DWORD
	v_cndmask_b32_e64 v24, 0, -1, s[10:11]
	v_cmp_ne_u16_sdwa s[10:11], v8, v32 src0_sel:BYTE_3 src1_sel:DWORD
	v_lshrrev_b32_e32 v14, 18, v23
	v_cndmask_b32_e64 v8, 0, -1, s[10:11]
	v_bfe_i32 v22, v23, 0, 1
	v_lshlrev_b16_e32 v24, 8, v24
	v_bfe_i32 v14, v14, 0, 1
	v_lshlrev_b16_e32 v8, 8, v8
	v_or_b32_sdwa v25, v22, v24 dst_sel:DWORD dst_unused:UNUSED_PAD src0_sel:BYTE_0 src1_sel:DWORD
	v_or_b32_sdwa v38, v14, v8 dst_sel:WORD_1 dst_unused:UNUSED_PAD src0_sel:BYTE_0 src1_sel:DWORD
	v_or_b32_sdwa v25, v25, v38 dst_sel:DWORD dst_unused:UNUSED_PAD src0_sel:WORD_0 src1_sel:DWORD
	s_waitcnt vmcnt(3)
	v_xor_b32_e32 v20, v20, v25
	v_and_b32_e32 v25, 0xffffff00, v20
	v_sub_i16 v24, v25, v24 clamp
	v_lshlrev_b16_e32 v25, 8, v20
	v_lshlrev_b16_e32 v22, 8, v22
	v_sub_i16 v22, v25, v22 clamp
	v_perm_b32 v22, v22, v24, s23
	v_and_b32_sdwa v24, v20, s17 dst_sel:DWORD dst_unused:UNUSED_PAD src0_sel:WORD_1 src1_sel:DWORD
	v_lshlrev_b16_sdwa v20, v35, v20 dst_sel:DWORD dst_unused:UNUSED_PAD src0_sel:DWORD src1_sel:WORD_1
	v_lshlrev_b16_e32 v14, 8, v14
	v_sub_i16 v8, v24, v8 clamp
	v_sub_i16 v14, v20, v14 clamp
	v_perm_b32 v8, v14, v8, s23
	v_lshl_or_b32 v8, v8, 16, v22
	v_dot4_i32_i8 v7, v8, v9, v7
	v_and_b32_e32 v8, 0x80402010, v23
	v_cmp_ne_u16_sdwa s[10:11], v8, v32 src0_sel:BYTE_1 src1_sel:DWORD
	v_cndmask_b32_e64 v20, 0, -1, s[10:11]
	v_cmp_ne_u16_sdwa s[10:11], v8, v32 src0_sel:BYTE_3 src1_sel:DWORD
	v_lshrrev_b32_e32 v9, 22, v23
	v_lshrrev_b16_e32 v14, 4, v8
	v_cndmask_b32_e64 v8, 0, -1, s[10:11]
	v_bfe_i32 v14, v14, 0, 1
	v_lshlrev_b16_e32 v20, 8, v20
	v_bfe_i32 v9, v9, 0, 1
	v_lshlrev_b16_e32 v8, 8, v8
	v_or_b32_sdwa v22, v14, v20 dst_sel:DWORD dst_unused:UNUSED_PAD src0_sel:BYTE_0 src1_sel:DWORD
	v_or_b32_sdwa v23, v9, v8 dst_sel:WORD_1 dst_unused:UNUSED_PAD src0_sel:BYTE_0 src1_sel:DWORD
	v_or_b32_sdwa v22, v22, v23 dst_sel:DWORD dst_unused:UNUSED_PAD src0_sel:WORD_0 src1_sel:DWORD
	v_xor_b32_e32 v21, v21, v22
	v_and_b32_e32 v22, 0xffffff00, v21
	v_sub_i16 v20, v22, v20 clamp
	v_lshlrev_b16_e32 v22, 8, v21
	v_lshlrev_b16_e32 v14, 8, v14
	v_sub_i16 v14, v22, v14 clamp
	v_perm_b32 v14, v14, v20, s23
	v_and_b32_sdwa v20, v21, s17 dst_sel:DWORD dst_unused:UNUSED_PAD src0_sel:WORD_1 src1_sel:DWORD
	v_sub_i16 v8, v20, v8 clamp
	v_lshlrev_b16_sdwa v20, v35, v21 dst_sel:DWORD dst_unused:UNUSED_PAD src0_sel:DWORD src1_sel:WORD_1
	v_lshlrev_b16_e32 v9, 8, v9
	v_sub_i16 v9, v20, v9 clamp
	v_bfe_u32 v20, v15, 14, 8
	v_bcnt_u32_b32 v21, v20, 0
	v_and_b32_e32 v21, 1, v21
	v_lshlrev_b32_e32 v21, 7, v21
	v_xor_b32_e32 v20, v21, v20
	v_mul_lo_u32 v20, v20, s16
	v_perm_b32 v8, v9, v8, s23
	v_lshl_or_b32 v8, v8, 16, v14
	s_waitcnt vmcnt(0)
	v_dot4_i32_i8 v2, v8, v2, v7
	v_and_b32_e32 v7, 0x8040201, v20
	v_cmp_ne_u16_sdwa s[10:11], v7, v32 src0_sel:BYTE_1 src1_sel:DWORD
	v_cndmask_b32_e64 v14, 0, -1, s[10:11]
	v_cmp_ne_u16_sdwa s[10:11], v7, v32 src0_sel:BYTE_3 src1_sel:DWORD
	v_lshrrev_b32_e32 v8, 18, v20
	v_cndmask_b32_e64 v7, 0, -1, s[10:11]
	v_bfe_i32 v9, v20, 0, 1
	v_lshlrev_b16_e32 v14, 8, v14
	v_bfe_i32 v8, v8, 0, 1
	v_lshlrev_b16_e32 v7, 8, v7
	v_or_b32_sdwa v21, v9, v14 dst_sel:DWORD dst_unused:UNUSED_PAD src0_sel:BYTE_0 src1_sel:DWORD
	v_or_b32_sdwa v22, v8, v7 dst_sel:WORD_1 dst_unused:UNUSED_PAD src0_sel:BYTE_0 src1_sel:DWORD
	v_or_b32_sdwa v21, v21, v22 dst_sel:DWORD dst_unused:UNUSED_PAD src0_sel:WORD_0 src1_sel:DWORD
	v_xor_b32_e32 v18, v18, v21
	v_and_b32_e32 v21, 0xffffff00, v18
	v_sub_i16 v14, v21, v14 clamp
	v_lshlrev_b16_e32 v21, 8, v18
	v_lshlrev_b16_e32 v9, 8, v9
	v_sub_i16 v9, v21, v9 clamp
	v_perm_b32 v9, v9, v14, s23
	v_and_b32_sdwa v14, v18, s17 dst_sel:DWORD dst_unused:UNUSED_PAD src0_sel:WORD_1 src1_sel:DWORD
	v_sub_i16 v7, v14, v7 clamp
	v_lshlrev_b16_sdwa v14, v35, v18 dst_sel:DWORD dst_unused:UNUSED_PAD src0_sel:DWORD src1_sel:WORD_1
	v_lshlrev_b16_e32 v8, 8, v8
	v_sub_i16 v8, v14, v8 clamp
	v_perm_b32 v7, v8, v7, s23
	v_lshl_or_b32 v7, v7, 16, v9
	v_dot4_i32_i8 v2, v7, v3, v2
	v_and_b32_e32 v3, 0x80402010, v20
	v_cmp_ne_u16_sdwa s[10:11], v3, v32 src0_sel:BYTE_1 src1_sel:DWORD
	v_cndmask_b32_e64 v9, 0, -1, s[10:11]
	v_cmp_ne_u16_sdwa s[10:11], v3, v32 src0_sel:BYTE_3 src1_sel:DWORD
	v_lshrrev_b32_e32 v7, 22, v20
	v_lshrrev_b16_e32 v8, 4, v3
	v_cndmask_b32_e64 v3, 0, -1, s[10:11]
	v_bfe_i32 v8, v8, 0, 1
	v_lshlrev_b16_e32 v9, 8, v9
	v_bfe_i32 v7, v7, 0, 1
	v_lshlrev_b16_e32 v3, 8, v3
	v_or_b32_sdwa v14, v8, v9 dst_sel:DWORD dst_unused:UNUSED_PAD src0_sel:BYTE_0 src1_sel:DWORD
	v_or_b32_sdwa v18, v7, v3 dst_sel:WORD_1 dst_unused:UNUSED_PAD src0_sel:BYTE_0 src1_sel:DWORD
	v_or_b32_sdwa v14, v14, v18 dst_sel:DWORD dst_unused:UNUSED_PAD src0_sel:WORD_0 src1_sel:DWORD
	v_xor_b32_e32 v14, v19, v14
	v_and_b32_e32 v18, 0xffffff00, v14
	v_sub_i16 v9, v18, v9 clamp
	v_lshlrev_b16_e32 v18, 8, v14
	v_lshlrev_b16_e32 v8, 8, v8
	v_sub_i16 v8, v18, v8 clamp
	v_perm_b32 v8, v8, v9, s23
	v_and_b32_sdwa v9, v14, s17 dst_sel:DWORD dst_unused:UNUSED_PAD src0_sel:WORD_1 src1_sel:DWORD
	v_sub_i16 v3, v9, v3 clamp
	v_lshlrev_b16_sdwa v9, v35, v14 dst_sel:DWORD dst_unused:UNUSED_PAD src0_sel:DWORD src1_sel:WORD_1
	v_lshlrev_b16_e32 v7, 8, v7
	v_sub_i16 v7, v9, v7 clamp
	v_bfe_u32 v9, v15, 21, 8
	v_bcnt_u32_b32 v14, v9, 0
	v_and_b32_e32 v14, 1, v14
	v_lshlrev_b32_e32 v14, 7, v14
	v_xor_b32_e32 v9, v14, v9
	v_mul_lo_u32 v9, v9, s16
	v_perm_b32 v3, v7, v3, s23
	v_lshl_or_b32 v3, v3, 16, v8
	v_dot4_i32_i8 v2, v3, v4, v2
	v_and_b32_e32 v3, 0x8040201, v9
	v_cmp_ne_u16_sdwa s[10:11], v3, v32 src0_sel:BYTE_1 src1_sel:DWORD
	v_cndmask_b32_e64 v8, 0, -1, s[10:11]
	v_cmp_ne_u16_sdwa s[10:11], v3, v32 src0_sel:BYTE_3 src1_sel:DWORD
	v_lshrrev_b32_e32 v4, 18, v9
	v_cndmask_b32_e64 v3, 0, -1, s[10:11]
	v_bfe_i32 v7, v9, 0, 1
	v_lshlrev_b16_e32 v8, 8, v8
	v_bfe_i32 v4, v4, 0, 1
	v_lshlrev_b16_e32 v3, 8, v3
	v_or_b32_sdwa v14, v7, v8 dst_sel:DWORD dst_unused:UNUSED_PAD src0_sel:BYTE_0 src1_sel:DWORD
	v_or_b32_sdwa v18, v4, v3 dst_sel:WORD_1 dst_unused:UNUSED_PAD src0_sel:BYTE_0 src1_sel:DWORD
	v_or_b32_sdwa v14, v14, v18 dst_sel:DWORD dst_unused:UNUSED_PAD src0_sel:WORD_0 src1_sel:DWORD
	v_xor_b32_e32 v14, v16, v14
	v_and_b32_e32 v16, 0xffffff00, v14
	v_sub_i16 v8, v16, v8 clamp
	v_lshlrev_b16_e32 v16, 8, v14
	v_lshlrev_b16_e32 v7, 8, v7
	v_sub_i16 v7, v16, v7 clamp
	v_perm_b32 v7, v7, v8, s23
	v_and_b32_sdwa v8, v14, s17 dst_sel:DWORD dst_unused:UNUSED_PAD src0_sel:WORD_1 src1_sel:DWORD
	v_sub_i16 v3, v8, v3 clamp
	v_lshlrev_b16_sdwa v8, v35, v14 dst_sel:DWORD dst_unused:UNUSED_PAD src0_sel:DWORD src1_sel:WORD_1
	v_lshlrev_b16_e32 v4, 8, v4
	v_sub_i16 v4, v8, v4 clamp
	v_perm_b32 v3, v4, v3, s23
	v_lshl_or_b32 v3, v3, 16, v7
	v_dot4_i32_i8 v2, v3, v5, v2
	v_and_b32_e32 v3, 0x80402010, v9
	v_cmp_ne_u16_sdwa s[10:11], v3, v32 src0_sel:BYTE_1 src1_sel:DWORD
	v_cndmask_b32_e64 v7, 0, -1, s[10:11]
	v_cmp_ne_u16_sdwa s[10:11], v3, v32 src0_sel:BYTE_3 src1_sel:DWORD
	v_lshrrev_b32_e32 v4, 22, v9
	v_lshrrev_b16_e32 v5, 4, v3
	v_cndmask_b32_e64 v3, 0, -1, s[10:11]
	v_bfe_i32 v5, v5, 0, 1
	v_lshlrev_b16_e32 v7, 8, v7
	v_bfe_i32 v4, v4, 0, 1
	v_lshlrev_b16_e32 v3, 8, v3
	v_or_b32_sdwa v8, v5, v7 dst_sel:DWORD dst_unused:UNUSED_PAD src0_sel:BYTE_0 src1_sel:DWORD
	v_or_b32_sdwa v9, v4, v3 dst_sel:WORD_1 dst_unused:UNUSED_PAD src0_sel:BYTE_0 src1_sel:DWORD
	v_or_b32_sdwa v8, v8, v9 dst_sel:DWORD dst_unused:UNUSED_PAD src0_sel:WORD_0 src1_sel:DWORD
	v_xor_b32_e32 v8, v17, v8
	v_and_b32_e32 v9, 0xffffff00, v8
	v_sub_i16 v7, v9, v7 clamp
	v_lshlrev_b16_e32 v9, 8, v8
	v_lshlrev_b16_e32 v5, 8, v5
	v_sub_i16 v5, v9, v5 clamp
	v_perm_b32 v5, v5, v7, s23
	v_and_b32_sdwa v7, v8, s17 dst_sel:DWORD dst_unused:UNUSED_PAD src0_sel:WORD_1 src1_sel:DWORD
	v_sub_i16 v3, v7, v3 clamp
	v_lshlrev_b16_sdwa v7, v35, v8 dst_sel:DWORD dst_unused:UNUSED_PAD src0_sel:DWORD src1_sel:WORD_1
	v_lshlrev_b16_e32 v4, 8, v4
	v_sub_i16 v4, v7, v4 clamp
	v_perm_b32 v3, v4, v3, s23
	v_lshl_or_b32 v3, v3, 16, v5
	v_dot4_i32_i8 v2, v3, v36, v2
	v_lshrrev_b32_e32 v3, 27, v15
	v_or_b32_e32 v3, 1, v3
	v_mul_lo_u32 v2, v2, v3
	v_cmp_le_u32_e64 s[10:11], s7, v31
	s_or_b64 s[18:19], s[10:11], s[18:19]
	v_addc_co_u32_e32 v11, vcc, 0, v11, vcc
	v_ashrrev_i32_e32 v3, 31, v2
	v_lshrrev_b32_e32 v3, 29, v3
	v_add_u32_e32 v2, v2, v3
	v_ashrrev_i32_e32 v2, 3, v2
	v_cvt_f32_f16_e32 v3, v37
	v_cvt_f32_i32_e32 v2, v2
	v_mul_f32_e32 v3, v3, v6
	v_fmac_f32_e32 v30, v3, v2
	s_andn2_b64 exec, exec, s[18:19]
	s_cbranch_execz .LBB159_16
.LBB159_14:                             ; =>This Inner Loop Header: Depth=1
	v_add_u32_e32 v24, s9, v31
	v_mad_i64_i32 v[2:3], s[10:11], v24, s22, v[12:13]
	s_getpc_b64 s[10:11]
	s_add_u32 s10, s10, _ZL11iq2xxs_grid@rel32@lo+4
	s_addc_u32 s11, s11, _ZL11iq2xxs_grid@rel32@hi+12
	v_add_co_u32_e32 v4, vcc, v2, v33
	v_addc_co_u32_e32 v5, vcc, 0, v3, vcc
	global_load_dwordx2 v[14:15], v[4:5], off offset:2
	global_load_dword v36, v[10:11], off
	global_load_dwordx4 v[6:9], v[10:11], off offset:-32
	global_load_ushort v37, v[2:3], off
	s_and_b64 vcc, exec, s[12:13]
	s_waitcnt vmcnt(1)
	v_cvt_f32_f16_e32 v6, v6
	v_lshlrev_b32_sdwa v25, v34, v14 dst_sel:DWORD dst_unused:UNUSED_PAD src0_sel:DWORD src1_sel:BYTE_0
	v_lshlrev_b32_sdwa v38, v34, v14 dst_sel:DWORD dst_unused:UNUSED_PAD src0_sel:DWORD src1_sel:BYTE_1
	v_lshlrev_b32_sdwa v39, v34, v14 dst_sel:DWORD dst_unused:UNUSED_PAD src0_sel:DWORD src1_sel:BYTE_2
	v_lshlrev_b32_sdwa v14, v34, v14 dst_sel:DWORD dst_unused:UNUSED_PAD src0_sel:DWORD src1_sel:BYTE_3
	global_load_dwordx2 v[22:23], v25, s[10:11]
	global_load_dwordx2 v[20:21], v38, s[10:11]
	;; [unrolled: 1-line block ×4, first 2 shown]
	global_load_dwordx4 v[2:5], v[10:11], off offset:-16
	s_cbranch_vccnz .LBB159_13
; %bb.15:                               ;   in Loop: Header=BB159_14 Depth=1
	v_mov_b32_e32 v39, s37
	v_mov_b32_e32 v38, s36
	v_mad_i64_i32 v[24:25], s[24:25], v24, s22, v[38:39]
	v_add_co_u32_e32 v38, vcc, v24, v33
	v_addc_co_u32_e32 v39, vcc, 0, v25, vcc
	global_load_dwordx2 v[38:39], v[38:39], off offset:2
	s_nop 0
	global_load_ushort v24, v[24:25], off
	s_waitcnt vmcnt(1)
	v_lshlrev_b32_sdwa v14, v34, v38 dst_sel:DWORD dst_unused:UNUSED_PAD src0_sel:DWORD src1_sel:BYTE_0
	global_load_dwordx2 v[40:41], v14, s[10:11]
	v_and_b32_e32 v14, 0xff, v39
	v_bcnt_u32_b32 v42, v14, 0
	v_and_b32_e32 v42, 1, v42
	v_lshlrev_b32_e32 v42, 7, v42
	v_xor_b32_e32 v14, v42, v14
	v_mul_lo_u32 v14, v14, s16
	s_waitcnt vmcnt(1)
	v_cvt_f32_f16_e32 v24, v24
	v_and_b32_e32 v42, 0x8040201, v14
	v_cmp_ne_u16_sdwa s[24:25], v42, v32 src0_sel:BYTE_3 src1_sel:DWORD
	v_cmp_ne_u16_sdwa s[28:29], v42, v32 src0_sel:BYTE_1 src1_sel:DWORD
	v_lshrrev_b32_e32 v43, 18, v14
	v_cndmask_b32_e64 v44, 0, -1, s[28:29]
	v_cndmask_b32_e64 v46, 0, -1, s[24:25]
	v_bfe_i32 v42, v14, 0, 1
	v_lshlrev_b16_e32 v44, 8, v44
	v_bfe_i32 v43, v43, 0, 1
	v_lshlrev_b16_e32 v46, 8, v46
	v_or_b32_sdwa v45, v42, v44 dst_sel:DWORD dst_unused:UNUSED_PAD src0_sel:BYTE_0 src1_sel:DWORD
	v_or_b32_sdwa v47, v43, v46 dst_sel:WORD_1 dst_unused:UNUSED_PAD src0_sel:BYTE_0 src1_sel:DWORD
	v_or_b32_sdwa v45, v45, v47 dst_sel:DWORD dst_unused:UNUSED_PAD src0_sel:WORD_0 src1_sel:DWORD
	v_lshlrev_b16_e32 v42, 8, v42
	v_lshlrev_b16_e32 v43, 8, v43
	v_mul_f32_e32 v24, v6, v24
	s_waitcnt vmcnt(0)
	v_xor_b32_e32 v40, v40, v45
	v_and_b32_e32 v45, 0xffffff00, v40
	v_sub_i16 v44, v45, v44 clamp
	v_lshlrev_b16_e32 v45, 8, v40
	v_sub_i16 v42, v45, v42 clamp
	v_perm_b32 v42, v42, v44, s23
	v_and_b32_sdwa v44, v40, s17 dst_sel:DWORD dst_unused:UNUSED_PAD src0_sel:WORD_1 src1_sel:DWORD
	v_lshlrev_b16_sdwa v40, v35, v40 dst_sel:DWORD dst_unused:UNUSED_PAD src0_sel:DWORD src1_sel:WORD_1
	v_sub_i16 v44, v44, v46 clamp
	v_sub_i16 v40, v40, v43 clamp
	v_perm_b32 v40, v40, v44, s23
	v_lshl_or_b32 v40, v40, 16, v42
	v_and_b32_e32 v42, 0x80402010, v14
	v_cmp_ne_u16_sdwa s[24:25], v42, v32 src0_sel:BYTE_3 src1_sel:DWORD
	v_cmp_ne_u16_sdwa s[28:29], v42, v32 src0_sel:BYTE_1 src1_sel:DWORD
	v_lshrrev_b32_e32 v14, 22, v14
	v_lshrrev_b16_e32 v42, 4, v42
	v_cndmask_b32_e64 v43, 0, -1, s[28:29]
	v_cndmask_b32_e64 v45, 0, -1, s[24:25]
	v_bfe_i32 v42, v42, 0, 1
	v_lshlrev_b16_e32 v43, 8, v43
	v_bfe_i32 v14, v14, 0, 1
	v_lshlrev_b16_e32 v45, 8, v45
	v_or_b32_sdwa v44, v42, v43 dst_sel:DWORD dst_unused:UNUSED_PAD src0_sel:BYTE_0 src1_sel:DWORD
	v_or_b32_sdwa v46, v14, v45 dst_sel:WORD_1 dst_unused:UNUSED_PAD src0_sel:BYTE_0 src1_sel:DWORD
	v_or_b32_sdwa v44, v44, v46 dst_sel:DWORD dst_unused:UNUSED_PAD src0_sel:WORD_0 src1_sel:DWORD
	v_xor_b32_e32 v41, v41, v44
	v_and_b32_e32 v44, 0xffffff00, v41
	v_sub_i16 v43, v44, v43 clamp
	v_lshlrev_b16_e32 v44, 8, v41
	v_lshlrev_b16_e32 v42, 8, v42
	v_sub_i16 v42, v44, v42 clamp
	v_perm_b32 v42, v42, v43, s23
	v_and_b32_sdwa v43, v41, s17 dst_sel:DWORD dst_unused:UNUSED_PAD src0_sel:WORD_1 src1_sel:DWORD
	v_lshlrev_b16_sdwa v41, v35, v41 dst_sel:DWORD dst_unused:UNUSED_PAD src0_sel:DWORD src1_sel:WORD_1
	v_lshlrev_b16_e32 v14, 8, v14
	v_sub_i16 v43, v43, v45 clamp
	v_sub_i16 v14, v41, v14 clamp
	v_perm_b32 v14, v14, v43, s23
	v_dot4_i32_i8 v40, v40, v7, 0
	v_lshl_or_b32 v14, v14, 16, v42
	v_dot4_i32_i8 v14, v14, v8, v40
	v_lshlrev_b32_sdwa v40, v34, v38 dst_sel:DWORD dst_unused:UNUSED_PAD src0_sel:DWORD src1_sel:BYTE_1
	global_load_dwordx2 v[40:41], v40, s[10:11]
	v_bfe_u32 v42, v39, 7, 8
	v_bcnt_u32_b32 v43, v42, 0
	v_and_b32_e32 v43, 1, v43
	v_lshlrev_b32_e32 v43, 7, v43
	v_xor_b32_e32 v42, v43, v42
	v_mul_lo_u32 v42, v42, s16
	v_and_b32_e32 v43, 0x8040201, v42
	v_cmp_ne_u16_sdwa s[24:25], v43, v32 src0_sel:BYTE_3 src1_sel:DWORD
	v_cmp_ne_u16_sdwa s[28:29], v43, v32 src0_sel:BYTE_1 src1_sel:DWORD
	v_lshrrev_b32_e32 v44, 18, v42
	v_cndmask_b32_e64 v45, 0, -1, s[28:29]
	v_cndmask_b32_e64 v47, 0, -1, s[24:25]
	v_bfe_i32 v43, v42, 0, 1
	v_lshlrev_b16_e32 v45, 8, v45
	v_bfe_i32 v44, v44, 0, 1
	v_lshlrev_b16_e32 v47, 8, v47
	v_or_b32_sdwa v46, v43, v45 dst_sel:DWORD dst_unused:UNUSED_PAD src0_sel:BYTE_0 src1_sel:DWORD
	v_or_b32_sdwa v48, v44, v47 dst_sel:WORD_1 dst_unused:UNUSED_PAD src0_sel:BYTE_0 src1_sel:DWORD
	v_or_b32_sdwa v46, v46, v48 dst_sel:DWORD dst_unused:UNUSED_PAD src0_sel:WORD_0 src1_sel:DWORD
	v_lshlrev_b16_e32 v43, 8, v43
	v_lshlrev_b16_e32 v44, 8, v44
	s_waitcnt vmcnt(0)
	v_xor_b32_e32 v40, v40, v46
	v_and_b32_e32 v46, 0xffffff00, v40
	v_sub_i16 v45, v46, v45 clamp
	v_lshlrev_b16_e32 v46, 8, v40
	v_sub_i16 v43, v46, v43 clamp
	v_perm_b32 v43, v43, v45, s23
	v_and_b32_sdwa v45, v40, s17 dst_sel:DWORD dst_unused:UNUSED_PAD src0_sel:WORD_1 src1_sel:DWORD
	v_lshlrev_b16_sdwa v40, v35, v40 dst_sel:DWORD dst_unused:UNUSED_PAD src0_sel:DWORD src1_sel:WORD_1
	v_sub_i16 v45, v45, v47 clamp
	v_sub_i16 v40, v40, v44 clamp
	v_perm_b32 v40, v40, v45, s23
	v_lshl_or_b32 v40, v40, 16, v43
	v_dot4_i32_i8 v14, v40, v9, v14
	v_and_b32_e32 v40, 0x80402010, v42
	v_cmp_ne_u16_sdwa s[24:25], v40, v32 src0_sel:BYTE_3 src1_sel:DWORD
	v_cmp_ne_u16_sdwa s[28:29], v40, v32 src0_sel:BYTE_1 src1_sel:DWORD
	v_lshrrev_b32_e32 v42, 22, v42
	v_lshrrev_b16_e32 v40, 4, v40
	v_cndmask_b32_e64 v43, 0, -1, s[28:29]
	v_cndmask_b32_e64 v45, 0, -1, s[24:25]
	v_bfe_i32 v40, v40, 0, 1
	v_lshlrev_b16_e32 v43, 8, v43
	v_bfe_i32 v42, v42, 0, 1
	v_lshlrev_b16_e32 v45, 8, v45
	v_or_b32_sdwa v44, v40, v43 dst_sel:DWORD dst_unused:UNUSED_PAD src0_sel:BYTE_0 src1_sel:DWORD
	v_or_b32_sdwa v46, v42, v45 dst_sel:WORD_1 dst_unused:UNUSED_PAD src0_sel:BYTE_0 src1_sel:DWORD
	v_or_b32_sdwa v44, v44, v46 dst_sel:DWORD dst_unused:UNUSED_PAD src0_sel:WORD_0 src1_sel:DWORD
	v_xor_b32_e32 v41, v41, v44
	v_and_b32_e32 v44, 0xffffff00, v41
	v_sub_i16 v43, v44, v43 clamp
	v_lshlrev_b16_e32 v44, 8, v41
	v_lshlrev_b16_e32 v40, 8, v40
	v_sub_i16 v40, v44, v40 clamp
	v_perm_b32 v40, v40, v43, s23
	v_and_b32_sdwa v43, v41, s17 dst_sel:DWORD dst_unused:UNUSED_PAD src0_sel:WORD_1 src1_sel:DWORD
	v_lshlrev_b16_sdwa v41, v35, v41 dst_sel:DWORD dst_unused:UNUSED_PAD src0_sel:DWORD src1_sel:WORD_1
	v_lshlrev_b16_e32 v42, 8, v42
	v_sub_i16 v43, v43, v45 clamp
	v_sub_i16 v41, v41, v42 clamp
	v_perm_b32 v41, v41, v43, s23
	v_lshl_or_b32 v40, v41, 16, v40
	v_dot4_i32_i8 v14, v40, v2, v14
	v_lshlrev_b32_sdwa v40, v34, v38 dst_sel:DWORD dst_unused:UNUSED_PAD src0_sel:DWORD src1_sel:BYTE_2
	global_load_dwordx2 v[40:41], v40, s[10:11]
	v_bfe_u32 v42, v39, 14, 8
	v_bcnt_u32_b32 v43, v42, 0
	v_and_b32_e32 v43, 1, v43
	v_lshlrev_b32_e32 v43, 7, v43
	v_xor_b32_e32 v42, v43, v42
	v_mul_lo_u32 v42, v42, s16
	v_lshlrev_b32_sdwa v38, v34, v38 dst_sel:DWORD dst_unused:UNUSED_PAD src0_sel:DWORD src1_sel:BYTE_3
	v_and_b32_e32 v43, 0x8040201, v42
	v_cmp_ne_u16_sdwa s[24:25], v43, v32 src0_sel:BYTE_3 src1_sel:DWORD
	v_cmp_ne_u16_sdwa s[28:29], v43, v32 src0_sel:BYTE_1 src1_sel:DWORD
	v_lshrrev_b32_e32 v44, 18, v42
	v_cndmask_b32_e64 v45, 0, -1, s[28:29]
	v_cndmask_b32_e64 v47, 0, -1, s[24:25]
	v_bfe_i32 v43, v42, 0, 1
	v_lshlrev_b16_e32 v45, 8, v45
	v_bfe_i32 v44, v44, 0, 1
	v_lshlrev_b16_e32 v47, 8, v47
	v_or_b32_sdwa v46, v43, v45 dst_sel:DWORD dst_unused:UNUSED_PAD src0_sel:BYTE_0 src1_sel:DWORD
	v_or_b32_sdwa v48, v44, v47 dst_sel:WORD_1 dst_unused:UNUSED_PAD src0_sel:BYTE_0 src1_sel:DWORD
	v_or_b32_sdwa v46, v46, v48 dst_sel:DWORD dst_unused:UNUSED_PAD src0_sel:WORD_0 src1_sel:DWORD
	v_lshlrev_b16_e32 v43, 8, v43
	v_lshlrev_b16_e32 v44, 8, v44
	s_waitcnt vmcnt(0)
	v_xor_b32_e32 v40, v40, v46
	v_and_b32_e32 v46, 0xffffff00, v40
	v_sub_i16 v45, v46, v45 clamp
	v_lshlrev_b16_e32 v46, 8, v40
	v_sub_i16 v43, v46, v43 clamp
	v_perm_b32 v43, v43, v45, s23
	v_and_b32_sdwa v45, v40, s17 dst_sel:DWORD dst_unused:UNUSED_PAD src0_sel:WORD_1 src1_sel:DWORD
	v_lshlrev_b16_sdwa v40, v35, v40 dst_sel:DWORD dst_unused:UNUSED_PAD src0_sel:DWORD src1_sel:WORD_1
	v_sub_i16 v45, v45, v47 clamp
	v_sub_i16 v40, v40, v44 clamp
	v_perm_b32 v40, v40, v45, s23
	v_lshl_or_b32 v40, v40, 16, v43
	v_dot4_i32_i8 v14, v40, v3, v14
	v_and_b32_e32 v40, 0x80402010, v42
	v_cmp_ne_u16_sdwa s[24:25], v40, v32 src0_sel:BYTE_3 src1_sel:DWORD
	v_cmp_ne_u16_sdwa s[28:29], v40, v32 src0_sel:BYTE_1 src1_sel:DWORD
	v_lshrrev_b32_e32 v42, 22, v42
	v_lshrrev_b16_e32 v40, 4, v40
	v_cndmask_b32_e64 v43, 0, -1, s[28:29]
	v_cndmask_b32_e64 v45, 0, -1, s[24:25]
	v_bfe_i32 v40, v40, 0, 1
	v_lshlrev_b16_e32 v43, 8, v43
	v_bfe_i32 v42, v42, 0, 1
	v_lshlrev_b16_e32 v45, 8, v45
	v_or_b32_sdwa v44, v40, v43 dst_sel:DWORD dst_unused:UNUSED_PAD src0_sel:BYTE_0 src1_sel:DWORD
	v_or_b32_sdwa v46, v42, v45 dst_sel:WORD_1 dst_unused:UNUSED_PAD src0_sel:BYTE_0 src1_sel:DWORD
	v_or_b32_sdwa v44, v44, v46 dst_sel:DWORD dst_unused:UNUSED_PAD src0_sel:WORD_0 src1_sel:DWORD
	v_xor_b32_e32 v41, v41, v44
	v_and_b32_e32 v44, 0xffffff00, v41
	v_sub_i16 v43, v44, v43 clamp
	v_lshlrev_b16_e32 v44, 8, v41
	v_lshlrev_b16_e32 v40, 8, v40
	v_sub_i16 v40, v44, v40 clamp
	v_perm_b32 v40, v40, v43, s23
	v_and_b32_sdwa v43, v41, s17 dst_sel:DWORD dst_unused:UNUSED_PAD src0_sel:WORD_1 src1_sel:DWORD
	v_lshlrev_b16_sdwa v41, v35, v41 dst_sel:DWORD dst_unused:UNUSED_PAD src0_sel:DWORD src1_sel:WORD_1
	v_lshlrev_b16_e32 v42, 8, v42
	v_sub_i16 v43, v43, v45 clamp
	v_sub_i16 v41, v41, v42 clamp
	v_perm_b32 v41, v41, v43, s23
	v_lshl_or_b32 v40, v41, 16, v40
	v_dot4_i32_i8 v14, v40, v4, v14
	global_load_dwordx2 v[40:41], v38, s[10:11]
	v_bfe_u32 v38, v39, 21, 8
	v_bcnt_u32_b32 v42, v38, 0
	v_and_b32_e32 v42, 1, v42
	v_lshlrev_b32_e32 v42, 7, v42
	v_xor_b32_e32 v38, v42, v38
	v_mul_lo_u32 v38, v38, s16
	v_and_b32_e32 v42, 0x8040201, v38
	v_cmp_ne_u16_sdwa s[10:11], v42, v32 src0_sel:BYTE_3 src1_sel:DWORD
	v_cmp_ne_u16_sdwa s[24:25], v42, v32 src0_sel:BYTE_1 src1_sel:DWORD
	v_lshrrev_b32_e32 v43, 18, v38
	v_cndmask_b32_e64 v44, 0, -1, s[24:25]
	v_cndmask_b32_e64 v46, 0, -1, s[10:11]
	v_bfe_i32 v42, v38, 0, 1
	v_lshlrev_b16_e32 v44, 8, v44
	v_bfe_i32 v43, v43, 0, 1
	v_lshlrev_b16_e32 v46, 8, v46
	v_or_b32_sdwa v45, v42, v44 dst_sel:DWORD dst_unused:UNUSED_PAD src0_sel:BYTE_0 src1_sel:DWORD
	v_or_b32_sdwa v47, v43, v46 dst_sel:WORD_1 dst_unused:UNUSED_PAD src0_sel:BYTE_0 src1_sel:DWORD
	v_or_b32_sdwa v45, v45, v47 dst_sel:DWORD dst_unused:UNUSED_PAD src0_sel:WORD_0 src1_sel:DWORD
	v_lshlrev_b16_e32 v42, 8, v42
	v_lshlrev_b16_e32 v43, 8, v43
	s_waitcnt vmcnt(0)
	v_xor_b32_e32 v40, v40, v45
	v_and_b32_e32 v45, 0xffffff00, v40
	v_sub_i16 v44, v45, v44 clamp
	v_lshlrev_b16_e32 v45, 8, v40
	v_sub_i16 v42, v45, v42 clamp
	v_perm_b32 v42, v42, v44, s23
	v_and_b32_sdwa v44, v40, s17 dst_sel:DWORD dst_unused:UNUSED_PAD src0_sel:WORD_1 src1_sel:DWORD
	v_lshlrev_b16_sdwa v40, v35, v40 dst_sel:DWORD dst_unused:UNUSED_PAD src0_sel:DWORD src1_sel:WORD_1
	v_sub_i16 v44, v44, v46 clamp
	v_sub_i16 v40, v40, v43 clamp
	v_perm_b32 v40, v40, v44, s23
	v_lshl_or_b32 v40, v40, 16, v42
	v_dot4_i32_i8 v14, v40, v5, v14
	v_and_b32_e32 v40, 0x80402010, v38
	v_cmp_ne_u16_sdwa s[10:11], v40, v32 src0_sel:BYTE_3 src1_sel:DWORD
	v_cmp_ne_u16_sdwa s[24:25], v40, v32 src0_sel:BYTE_1 src1_sel:DWORD
	v_lshrrev_b32_e32 v38, 22, v38
	v_lshrrev_b16_e32 v40, 4, v40
	v_cndmask_b32_e64 v42, 0, -1, s[24:25]
	v_cndmask_b32_e64 v44, 0, -1, s[10:11]
	v_bfe_i32 v40, v40, 0, 1
	v_lshlrev_b16_e32 v42, 8, v42
	v_bfe_i32 v38, v38, 0, 1
	v_lshlrev_b16_e32 v44, 8, v44
	v_or_b32_sdwa v43, v40, v42 dst_sel:DWORD dst_unused:UNUSED_PAD src0_sel:BYTE_0 src1_sel:DWORD
	v_or_b32_sdwa v45, v38, v44 dst_sel:WORD_1 dst_unused:UNUSED_PAD src0_sel:BYTE_0 src1_sel:DWORD
	v_or_b32_sdwa v43, v43, v45 dst_sel:DWORD dst_unused:UNUSED_PAD src0_sel:WORD_0 src1_sel:DWORD
	v_xor_b32_e32 v41, v41, v43
	v_and_b32_e32 v43, 0xffffff00, v41
	v_sub_i16 v42, v43, v42 clamp
	v_lshlrev_b16_e32 v43, 8, v41
	v_lshlrev_b16_e32 v40, 8, v40
	v_sub_i16 v40, v43, v40 clamp
	v_perm_b32 v40, v40, v42, s23
	v_and_b32_sdwa v42, v41, s17 dst_sel:DWORD dst_unused:UNUSED_PAD src0_sel:WORD_1 src1_sel:DWORD
	v_lshlrev_b16_sdwa v41, v35, v41 dst_sel:DWORD dst_unused:UNUSED_PAD src0_sel:DWORD src1_sel:WORD_1
	v_lshlrev_b16_e32 v38, 8, v38
	v_sub_i16 v42, v42, v44 clamp
	v_sub_i16 v38, v41, v38 clamp
	v_perm_b32 v38, v38, v42, s23
	v_lshl_or_b32 v38, v38, 16, v40
	v_dot4_i32_i8 v14, v38, v36, v14
	v_lshrrev_b32_e32 v38, 27, v39
	v_or_b32_e32 v38, 1, v38
	v_mul_lo_u32 v14, v14, v38
	v_ashrrev_i32_e32 v38, 31, v14
	v_lshrrev_b32_e32 v38, 29, v38
	v_add_u32_e32 v14, v14, v38
	v_ashrrev_i32_e32 v14, 3, v14
	v_cvt_f32_i32_e32 v14, v14
	v_fmac_f32_e32 v29, v24, v14
	s_branch .LBB159_13
.LBB159_16:
	s_or_b64 exec, exec, s[18:19]
.LBB159_17:
	s_or_b64 exec, exec, s[20:21]
	s_load_dword s7, s[4:5], 0x30
	v_cmp_eq_u32_e64 s[10:11], 0, v1
	v_cmp_ne_u32_e32 vcc, 0, v1
	s_and_saveexec_b64 s[16:17], vcc
	s_cbranch_execz .LBB159_21
; %bb.18:
	s_and_b64 vcc, exec, s[14:15]
	s_cbranch_vccz .LBB159_20
; %bb.19:
	v_lshl_add_u32 v2, v1, 8, v26
	ds_write_b32 v2, v29
.LBB159_20:
	v_lshlrev_b32_e32 v1, 8, v1
	s_waitcnt lgkmcnt(0)
	s_movk_i32 s9, 0xff00
	v_add3_u32 v1, v1, v26, s9
	ds_write_b32 v1, v30
.LBB159_21:
	s_or_b64 exec, exec, s[16:17]
	s_waitcnt vmcnt(0) lgkmcnt(0)
	s_barrier
	s_and_saveexec_b64 s[14:15], s[10:11]
	s_cbranch_execz .LBB159_50
; %bb.22:
	ds_read_b32 v2, v26
	s_and_b64 vcc, exec, s[12:13]
	s_cbranch_vccnz .LBB159_24
; %bb.23:
	ds_read_b32 v1, v26 offset:256
	s_waitcnt lgkmcnt(0)
	v_add_f32_e32 v29, v29, v1
.LBB159_24:
	v_mbcnt_lo_u32_b32 v1, -1, 0
	v_mbcnt_hi_u32_b32 v3, -1, v1
	v_and_b32_e32 v1, 64, v3
	v_add_u32_e32 v4, 64, v1
	v_xor_b32_e32 v1, 32, v3
	v_cmp_lt_i32_e32 vcc, v1, v4
	v_cndmask_b32_e32 v1, v3, v1, vcc
	v_lshlrev_b32_e32 v1, 2, v1
	s_waitcnt lgkmcnt(0)
	v_add_f32_e32 v5, v30, v2
	ds_bpermute_b32 v6, v1, v5
	v_xor_b32_e32 v2, 16, v3
	v_cmp_lt_i32_e32 vcc, v2, v4
	v_cndmask_b32_e32 v2, v3, v2, vcc
	v_lshlrev_b32_e32 v2, 2, v2
	s_waitcnt lgkmcnt(0)
	v_add_f32_e32 v6, v5, v6
	ds_bpermute_b32 v7, v2, v6
	v_xor_b32_e32 v5, 8, v3
	v_cmp_lt_i32_e32 vcc, v5, v4
	v_cndmask_b32_e32 v5, v3, v5, vcc
	v_lshlrev_b32_e32 v5, 2, v5
	s_waitcnt lgkmcnt(0)
	v_add_f32_e32 v7, v6, v7
	ds_bpermute_b32 v8, v5, v7
	v_xor_b32_e32 v6, 4, v3
	v_cmp_lt_i32_e32 vcc, v6, v4
	v_cndmask_b32_e32 v6, v3, v6, vcc
	v_lshlrev_b32_e32 v6, 2, v6
	s_waitcnt lgkmcnt(0)
	v_add_f32_e32 v8, v7, v8
	ds_bpermute_b32 v9, v6, v8
	v_xor_b32_e32 v7, 2, v3
	v_cmp_lt_i32_e32 vcc, v7, v4
	v_cndmask_b32_e32 v7, v3, v7, vcc
	v_lshlrev_b32_e32 v7, 2, v7
	s_waitcnt lgkmcnt(0)
	v_add_f32_e32 v9, v8, v9
	ds_bpermute_b32 v10, v7, v9
	v_xor_b32_e32 v8, 1, v3
	v_cmp_lt_i32_e32 vcc, v8, v4
	v_cndmask_b32_e32 v3, v3, v8, vcc
	v_lshlrev_b32_e32 v8, 2, v3
	s_waitcnt lgkmcnt(0)
	v_add_f32_e32 v3, v9, v10
	ds_bpermute_b32 v4, v8, v3
	s_and_b64 vcc, exec, s[12:13]
	s_cbranch_vccnz .LBB159_26
; %bb.25:
	ds_bpermute_b32 v1, v1, v29
	s_waitcnt lgkmcnt(0)
	v_add_f32_e32 v1, v29, v1
	ds_bpermute_b32 v2, v2, v1
	s_waitcnt lgkmcnt(0)
	v_add_f32_e32 v1, v1, v2
	ds_bpermute_b32 v2, v5, v1
	s_waitcnt lgkmcnt(0)
	v_add_f32_e32 v1, v1, v2
	ds_bpermute_b32 v2, v6, v1
	s_waitcnt lgkmcnt(0)
	v_add_f32_e32 v1, v1, v2
	ds_bpermute_b32 v2, v7, v1
	s_waitcnt lgkmcnt(0)
	v_add_f32_e32 v1, v1, v2
	ds_bpermute_b32 v2, v8, v1
	s_waitcnt lgkmcnt(0)
	v_add_f32_e32 v29, v1, v2
.LBB159_26:
	v_cmp_eq_u32_e32 vcc, 0, v0
	s_and_b64 exec, exec, vcc
	s_cbranch_execz .LBB159_50
; %bb.27:
	s_waitcnt lgkmcnt(0)
	v_add_f32_e32 v0, v3, v4
	v_add_f32_e32 v1, v28, v0
	s_and_b64 vcc, exec, s[12:13]
	v_cndmask_b32_e64 v0, v0, v1, s[0:1]
	s_cbranch_vccnz .LBB159_49
; %bb.28:
	v_add_f32_e32 v1, v27, v29
	v_cndmask_b32_e64 v1, v29, v1, s[2:3]
	s_cmp_lt_i32 s7, 2
	s_mov_b64 s[0:1], 0
	s_cbranch_scc1 .LBB159_32
; %bb.29:
	s_cmp_gt_i32 s7, 2
	s_cbranch_scc0 .LBB159_33
; %bb.30:
	s_cmp_eq_u32 s7, 3
	s_cbranch_scc0 .LBB159_34
; %bb.31:
	v_max_f32_e32 v2, v1, v1
	v_min_f32_e32 v2, 0x40e00000, v2
	v_mul_f32_e32 v3, 0xbfd9db23, v2
	s_mov_b32 s2, 0x3fb8aa3b
	v_mul_f32_e32 v4, 0x3fb8aa3b, v3
	v_fma_f32 v5, v3, s2, -v4
	v_rndne_f32_e32 v6, v4
	v_fmac_f32_e32 v5, 0x32a5705f, v3
	v_sub_f32_e32 v4, v4, v6
	v_add_f32_e32 v4, v4, v5
	v_exp_f32_e32 v4, v4
	v_cvt_i32_f32_e32 v5, v6
	s_mov_b32 s2, 0xc2ce8ed0
	v_cmp_ngt_f32_e32 vcc, s2, v3
	s_mov_b32 s2, 0x42b17218
	v_ldexp_f32 v4, v4, v5
	v_cndmask_b32_e32 v4, 0, v4, vcc
	v_mov_b32_e32 v5, 0x7f800000
	v_cmp_nlt_f32_e32 vcc, s2, v3
	v_cndmask_b32_e32 v3, v5, v4, vcc
	v_add_f32_e32 v3, 1.0, v3
	v_div_scale_f32 v4, s[2:3], v3, v3, v2
	v_div_scale_f32 v5, vcc, v2, v3, v2
	s_mov_b64 s[2:3], 0
	v_rcp_f32_e32 v6, v4
	v_fma_f32 v7, -v4, v6, 1.0
	v_fmac_f32_e32 v6, v7, v6
	v_mul_f32_e32 v7, v5, v6
	v_fma_f32 v8, -v4, v7, v5
	v_fmac_f32_e32 v7, v8, v6
	v_fma_f32 v4, -v4, v7, v5
	v_div_fmas_f32 v4, v4, v6, v7
	v_max_f32_e32 v5, v0, v0
	v_min_f32_e32 v5, 0x40e00000, v5
	v_max_f32_e32 v5, 0xc0e00000, v5
	v_add_f32_e32 v5, 1.0, v5
	v_div_fixup_f32 v2, v4, v3, v2
	v_mul_f32_e32 v2, v5, v2
	s_branch .LBB159_35
.LBB159_32:
                                        ; implicit-def: $vgpr2
	s_mov_b64 s[2:3], 0
	s_cbranch_execnz .LBB159_39
	s_branch .LBB159_40
.LBB159_33:
	s_mov_b64 s[10:11], -1
	s_mov_b64 s[2:3], 0
                                        ; implicit-def: $vgpr2
	s_branch .LBB159_36
.LBB159_34:
	s_mov_b64 s[2:3], -1
                                        ; implicit-def: $vgpr2
.LBB159_35:
	s_mov_b64 s[10:11], 0
.LBB159_36:
	s_and_b64 vcc, exec, s[10:11]
	s_cbranch_vccz .LBB159_38
; %bb.37:
	v_mul_f32_e32 v2, 0xbfb8aa3b, v1
	s_mov_b32 s9, 0xbfb8aa3b
	v_rndne_f32_e32 v3, v2
	v_sub_f32_e32 v4, v2, v3
	v_fma_f32 v2, v1, s9, -v2
	v_fmac_f32_e32 v2, 0xb2a5705f, v1
	v_add_f32_e32 v2, v4, v2
	v_exp_f32_e32 v2, v2
	v_cvt_i32_f32_e32 v3, v3
	s_mov_b32 s9, 0x42ce8ed0
	v_cmp_nlt_f32_e32 vcc, s9, v1
	s_mov_b32 s9, 0xc2b17218
	v_ldexp_f32 v2, v2, v3
	v_cndmask_b32_e32 v2, 0, v2, vcc
	v_mov_b32_e32 v3, 0x7f800000
	v_cmp_ngt_f32_e32 vcc, s9, v1
	v_cndmask_b32_e32 v2, v3, v2, vcc
	v_add_f32_e32 v2, 1.0, v2
	v_div_scale_f32 v3, s[10:11], v2, v2, v1
	v_div_scale_f32 v4, vcc, v1, v2, v1
	v_rcp_f32_e32 v5, v3
	v_fma_f32 v6, -v3, v5, 1.0
	v_fmac_f32_e32 v5, v6, v5
	v_mul_f32_e32 v6, v4, v5
	v_fma_f32 v7, -v3, v6, v4
	v_fmac_f32_e32 v6, v7, v5
	v_fma_f32 v3, -v3, v6, v4
	v_div_fmas_f32 v3, v3, v5, v6
	v_div_fixup_f32 v2, v3, v2, v1
	v_mul_f32_e32 v2, v0, v2
.LBB159_38:
	s_branch .LBB159_40
.LBB159_39:
	s_cmp_lg_u32 s7, 1
	s_mov_b64 s[0:1], -1
	s_cselect_b64 s[2:3], -1, 0
.LBB159_40:
	s_andn2_b64 vcc, exec, s[2:3]
	s_cbranch_vccz .LBB159_42
; %bb.41:
	s_andn2_b64 vcc, exec, s[0:1]
	s_cbranch_vccz .LBB159_43
	s_branch .LBB159_48
.LBB159_42:
	v_mul_f32_e32 v2, v1, v0
	s_cbranch_execnz .LBB159_48
.LBB159_43:
	v_mul_f32_e32 v3, 0x3d372713, v1
	v_mul_f32_e32 v2, 0x3f4c422a, v1
	v_fma_f32 v3, v1, v3, 1.0
	v_mul_f32_e32 v2, v2, v3
	s_mov_b32 s0, 0x3f200000
	v_cmp_nlt_f32_e64 s[0:1], |v2|, s0
                                        ; implicit-def: $vgpr3
	s_and_saveexec_b64 s[2:3], s[0:1]
	s_xor_b64 s[0:1], exec, s[2:3]
	s_cbranch_execz .LBB159_45
; %bb.44:
	v_add_f32_e64 v3, |v2|, |v2|
	v_mul_f32_e32 v4, 0x3fb8aa3b, v3
	s_mov_b32 s2, 0x3fb8aa3b
	v_rndne_f32_e32 v5, v4
	v_sub_f32_e32 v6, v4, v5
	v_fma_f32 v4, v3, s2, -v4
	v_fmac_f32_e32 v4, 0x32a5705f, v3
	v_add_f32_e32 v4, v6, v4
	v_exp_f32_e32 v4, v4
	v_cvt_i32_f32_e32 v5, v5
	s_mov_b32 s2, 0xc2ce8ed0
	v_cmp_ngt_f32_e32 vcc, s2, v3
	s_mov_b32 s2, 0x42b17218
	v_ldexp_f32 v4, v4, v5
	v_cndmask_b32_e32 v4, 0, v4, vcc
	v_mov_b32_e32 v5, 0x7f800000
	v_cmp_nlt_f32_e32 vcc, s2, v3
	v_cndmask_b32_e32 v3, v5, v4, vcc
	v_add_f32_e32 v3, 1.0, v3
	v_rcp_f32_e32 v3, v3
	v_fma_f32 v3, v3, -2.0, 1.0
.LBB159_45:
	s_andn2_saveexec_b64 s[0:1], s[0:1]
	s_cbranch_execz .LBB159_47
; %bb.46:
	v_mul_f32_e32 v3, v2, v2
	v_mov_b32_e32 v4, 0x3ca908c9
	v_fmac_f32_e32 v4, 0xbbbac73d, v3
	v_mov_b32_e32 v5, 0xbd5c1c4e
	v_fmac_f32_e32 v5, v3, v4
	;; [unrolled: 2-line block ×4, first 2 shown]
	v_mul_f32_e64 v4, |v2|, v5
	v_fma_f32 v3, v3, v4, |v2|
.LBB159_47:
	s_or_b64 exec, exec, s[0:1]
	s_brev_b32 s0, -2
	v_bfi_b32 v2, s0, v3, v2
	v_mul_f32_e32 v1, 0.5, v1
	v_add_f32_e32 v2, 1.0, v2
	v_mul_f32_e32 v1, v1, v2
	v_mul_f32_e32 v2, v0, v1
.LBB159_48:
	v_mov_b32_e32 v0, v2
.LBB159_49:
	s_load_dwordx2 s[0:1], s[4:5], 0x38
	s_mul_i32 s3, s26, s34
	s_mul_i32 s2, s30, s8
	s_add_i32 s3, s3, s6
	s_add_i32 s2, s3, s2
	s_mov_b32 s3, 0
	s_lshl_b64 s[2:3], s[2:3], 2
	s_waitcnt lgkmcnt(0)
	s_add_u32 s0, s0, s2
	s_addc_u32 s1, s1, s3
	global_store_dword v26, v0, s[0:1]
.LBB159_50:
	s_endpgm
	.section	.rodata,"a",@progbits
	.p2align	6, 0x0
	.amdhsa_kernel _ZL13mul_mat_vec_qIL9ggml_type16ELi1ELb1ELb0EEvPKvS2_PKi31ggml_cuda_mm_fusion_args_devicePfj15HIP_vector_typeIjLj3EEjjjS8_jjjS8_jjjj
		.amdhsa_group_segment_fixed_size 512
		.amdhsa_private_segment_fixed_size 0
		.amdhsa_kernarg_size 144
		.amdhsa_user_sgpr_count 6
		.amdhsa_user_sgpr_private_segment_buffer 1
		.amdhsa_user_sgpr_dispatch_ptr 0
		.amdhsa_user_sgpr_queue_ptr 0
		.amdhsa_user_sgpr_kernarg_segment_ptr 1
		.amdhsa_user_sgpr_dispatch_id 0
		.amdhsa_user_sgpr_flat_scratch_init 0
		.amdhsa_user_sgpr_private_segment_size 0
		.amdhsa_uses_dynamic_stack 0
		.amdhsa_system_sgpr_private_segment_wavefront_offset 0
		.amdhsa_system_sgpr_workgroup_id_x 1
		.amdhsa_system_sgpr_workgroup_id_y 1
		.amdhsa_system_sgpr_workgroup_id_z 1
		.amdhsa_system_sgpr_workgroup_info 0
		.amdhsa_system_vgpr_workitem_id 1
		.amdhsa_next_free_vgpr 49
		.amdhsa_next_free_sgpr 44
		.amdhsa_reserve_vcc 1
		.amdhsa_reserve_flat_scratch 0
		.amdhsa_float_round_mode_32 0
		.amdhsa_float_round_mode_16_64 0
		.amdhsa_float_denorm_mode_32 3
		.amdhsa_float_denorm_mode_16_64 3
		.amdhsa_dx10_clamp 1
		.amdhsa_ieee_mode 1
		.amdhsa_fp16_overflow 0
		.amdhsa_exception_fp_ieee_invalid_op 0
		.amdhsa_exception_fp_denorm_src 0
		.amdhsa_exception_fp_ieee_div_zero 0
		.amdhsa_exception_fp_ieee_overflow 0
		.amdhsa_exception_fp_ieee_underflow 0
		.amdhsa_exception_fp_ieee_inexact 0
		.amdhsa_exception_int_div_zero 0
	.end_amdhsa_kernel
	.section	.text._ZL13mul_mat_vec_qIL9ggml_type16ELi1ELb1ELb0EEvPKvS2_PKi31ggml_cuda_mm_fusion_args_devicePfj15HIP_vector_typeIjLj3EEjjjS8_jjjS8_jjjj,"axG",@progbits,_ZL13mul_mat_vec_qIL9ggml_type16ELi1ELb1ELb0EEvPKvS2_PKi31ggml_cuda_mm_fusion_args_devicePfj15HIP_vector_typeIjLj3EEjjjS8_jjjS8_jjjj,comdat
.Lfunc_end159:
	.size	_ZL13mul_mat_vec_qIL9ggml_type16ELi1ELb1ELb0EEvPKvS2_PKi31ggml_cuda_mm_fusion_args_devicePfj15HIP_vector_typeIjLj3EEjjjS8_jjjS8_jjjj, .Lfunc_end159-_ZL13mul_mat_vec_qIL9ggml_type16ELi1ELb1ELb0EEvPKvS2_PKi31ggml_cuda_mm_fusion_args_devicePfj15HIP_vector_typeIjLj3EEjjjS8_jjjS8_jjjj
                                        ; -- End function
	.set _ZL13mul_mat_vec_qIL9ggml_type16ELi1ELb1ELb0EEvPKvS2_PKi31ggml_cuda_mm_fusion_args_devicePfj15HIP_vector_typeIjLj3EEjjjS8_jjjS8_jjjj.num_vgpr, 49
	.set _ZL13mul_mat_vec_qIL9ggml_type16ELi1ELb1ELb0EEvPKvS2_PKi31ggml_cuda_mm_fusion_args_devicePfj15HIP_vector_typeIjLj3EEjjjS8_jjjS8_jjjj.num_agpr, 0
	.set _ZL13mul_mat_vec_qIL9ggml_type16ELi1ELb1ELb0EEvPKvS2_PKi31ggml_cuda_mm_fusion_args_devicePfj15HIP_vector_typeIjLj3EEjjjS8_jjjS8_jjjj.numbered_sgpr, 44
	.set _ZL13mul_mat_vec_qIL9ggml_type16ELi1ELb1ELb0EEvPKvS2_PKi31ggml_cuda_mm_fusion_args_devicePfj15HIP_vector_typeIjLj3EEjjjS8_jjjS8_jjjj.num_named_barrier, 0
	.set _ZL13mul_mat_vec_qIL9ggml_type16ELi1ELb1ELb0EEvPKvS2_PKi31ggml_cuda_mm_fusion_args_devicePfj15HIP_vector_typeIjLj3EEjjjS8_jjjS8_jjjj.private_seg_size, 0
	.set _ZL13mul_mat_vec_qIL9ggml_type16ELi1ELb1ELb0EEvPKvS2_PKi31ggml_cuda_mm_fusion_args_devicePfj15HIP_vector_typeIjLj3EEjjjS8_jjjS8_jjjj.uses_vcc, 1
	.set _ZL13mul_mat_vec_qIL9ggml_type16ELi1ELb1ELb0EEvPKvS2_PKi31ggml_cuda_mm_fusion_args_devicePfj15HIP_vector_typeIjLj3EEjjjS8_jjjS8_jjjj.uses_flat_scratch, 0
	.set _ZL13mul_mat_vec_qIL9ggml_type16ELi1ELb1ELb0EEvPKvS2_PKi31ggml_cuda_mm_fusion_args_devicePfj15HIP_vector_typeIjLj3EEjjjS8_jjjS8_jjjj.has_dyn_sized_stack, 0
	.set _ZL13mul_mat_vec_qIL9ggml_type16ELi1ELb1ELb0EEvPKvS2_PKi31ggml_cuda_mm_fusion_args_devicePfj15HIP_vector_typeIjLj3EEjjjS8_jjjS8_jjjj.has_recursion, 0
	.set _ZL13mul_mat_vec_qIL9ggml_type16ELi1ELb1ELb0EEvPKvS2_PKi31ggml_cuda_mm_fusion_args_devicePfj15HIP_vector_typeIjLj3EEjjjS8_jjjS8_jjjj.has_indirect_call, 0
	.section	.AMDGPU.csdata,"",@progbits
; Kernel info:
; codeLenInByte = 5948
; TotalNumSgprs: 48
; NumVgprs: 49
; ScratchSize: 0
; MemoryBound: 0
; FloatMode: 240
; IeeeMode: 1
; LDSByteSize: 512 bytes/workgroup (compile time only)
; SGPRBlocks: 5
; VGPRBlocks: 12
; NumSGPRsForWavesPerEU: 48
; NumVGPRsForWavesPerEU: 49
; Occupancy: 4
; WaveLimiterHint : 0
; COMPUTE_PGM_RSRC2:SCRATCH_EN: 0
; COMPUTE_PGM_RSRC2:USER_SGPR: 6
; COMPUTE_PGM_RSRC2:TRAP_HANDLER: 0
; COMPUTE_PGM_RSRC2:TGID_X_EN: 1
; COMPUTE_PGM_RSRC2:TGID_Y_EN: 1
; COMPUTE_PGM_RSRC2:TGID_Z_EN: 1
; COMPUTE_PGM_RSRC2:TIDIG_COMP_CNT: 1
	.section	.text._ZL13mul_mat_vec_qIL9ggml_type16ELi1ELb0ELb0EEvPKvS2_PKi31ggml_cuda_mm_fusion_args_devicePfj15HIP_vector_typeIjLj3EEjjjS8_jjjS8_jjjj,"axG",@progbits,_ZL13mul_mat_vec_qIL9ggml_type16ELi1ELb0ELb0EEvPKvS2_PKi31ggml_cuda_mm_fusion_args_devicePfj15HIP_vector_typeIjLj3EEjjjS8_jjjS8_jjjj,comdat
	.globl	_ZL13mul_mat_vec_qIL9ggml_type16ELi1ELb0ELb0EEvPKvS2_PKi31ggml_cuda_mm_fusion_args_devicePfj15HIP_vector_typeIjLj3EEjjjS8_jjjS8_jjjj ; -- Begin function _ZL13mul_mat_vec_qIL9ggml_type16ELi1ELb0ELb0EEvPKvS2_PKi31ggml_cuda_mm_fusion_args_devicePfj15HIP_vector_typeIjLj3EEjjjS8_jjjS8_jjjj
	.p2align	8
	.type	_ZL13mul_mat_vec_qIL9ggml_type16ELi1ELb0ELb0EEvPKvS2_PKi31ggml_cuda_mm_fusion_args_devicePfj15HIP_vector_typeIjLj3EEjjjS8_jjjS8_jjjj,@function
_ZL13mul_mat_vec_qIL9ggml_type16ELi1ELb0ELb0EEvPKvS2_PKi31ggml_cuda_mm_fusion_args_devicePfj15HIP_vector_typeIjLj3EEjjjS8_jjjS8_jjjj: ; @_ZL13mul_mat_vec_qIL9ggml_type16ELi1ELb0ELb0EEvPKvS2_PKi31ggml_cuda_mm_fusion_args_devicePfj15HIP_vector_typeIjLj3EEjjjS8_jjjS8_jjjj
; %bb.0:
	s_load_dwordx2 s[0:1], s[4:5], 0x10
	s_load_dwordx4 s[16:19], s[4:5], 0x40
	s_mov_b32 s10, s7
	s_mov_b64 s[14:15], 0
	s_waitcnt lgkmcnt(0)
	s_cmp_lg_u64 s[0:1], 0
	s_cselect_b64 s[12:13], -1, 0
	s_cmp_eq_u64 s[0:1], 0
	s_cbranch_scc1 .LBB160_5
; %bb.1:
	s_mov_b32 s11, 0
	s_lshl_b64 s[2:3], s[10:11], 2
	s_add_u32 s0, s0, s2
	s_addc_u32 s1, s1, s3
	s_load_dword s9, s[0:1], 0x0
	s_nop 0
	s_load_dwordx4 s[0:3], s[4:5], 0x68
	s_load_dword s11, s[4:5], 0x50
	s_andn2_b64 vcc, exec, s[14:15]
	s_cbranch_vccnz .LBB160_3
.LBB160_2:
	s_load_dwordx2 s[14:15], s[4:5], 0x5c
	s_waitcnt lgkmcnt(0)
	s_mul_hi_u32 s7, s14, s10
	s_add_i32 s7, s10, s7
	s_lshr_b32 s9, s7, s15
.LBB160_3:
	s_load_dword s20, s[4:5], 0x78
	s_andn2_b64 vcc, exec, s[12:13]
	s_cbranch_vccnz .LBB160_6
; %bb.4:
	s_mul_hi_u32 s7, s17, s10
	s_add_i32 s7, s10, s7
	s_lshr_b32 s7, s7, s18
	s_mul_i32 s7, s7, s19
	s_sub_i32 s18, s10, s7
	s_branch .LBB160_7
.LBB160_5:
                                        ; implicit-def: $sgpr9
	s_load_dwordx4 s[0:3], s[4:5], 0x68
	s_load_dword s11, s[4:5], 0x50
	s_branch .LBB160_2
.LBB160_6:
	s_mov_b32 s18, s10
.LBB160_7:
	s_load_dwordx4 s[12:15], s[4:5], 0x80
	v_lshl_add_u32 v2, v1, 6, v0
	s_lshr_b32 s7, s16, 8
	v_lshrrev_b32_e32 v13, 3, v2
	v_cmp_gt_u32_e32 vcc, s7, v13
	v_mov_b32_e32 v12, 0
	s_and_saveexec_b64 s[16:17], vcc
	s_cbranch_execz .LBB160_11
; %bb.8:
	s_waitcnt lgkmcnt(0)
	s_mul_i32 s9, s9, s0
	s_mul_hi_u32 s0, s3, s8
	s_add_i32 s0, s8, s0
	s_lshr_b32 s0, s0, s20
	s_mul_i32 s3, s0, s12
	s_mul_i32 s0, s18, s1
	v_lshlrev_b32_e32 v3, 1, v0
	s_mul_hi_u32 s1, s0, 36
	s_mul_i32 s0, s0, 36
	v_and_b32_e32 v4, 14, v3
	v_lshrrev_b32_e32 v5, 3, v2
	v_mov_b32_e32 v2, s0
	v_mov_b32_e32 v3, s1
	s_movk_i32 s0, 0x120
	v_mad_u64_u32 v[2:3], s[0:1], v5, s0, v[2:3]
	s_mul_i32 s12, s13, s8
	s_load_dwordx4 s[24:27], s[4:5], 0x0
	v_mad_u64_u32 v[2:3], s[0:1], s12, 36, v[2:3]
	v_and_b32_e32 v5, 7, v0
	s_mul_i32 s11, s11, s6
	v_mad_u64_u32 v[2:3], s[0:1], v5, 36, v[2:3]
	s_waitcnt lgkmcnt(0)
	v_mov_b32_e32 v5, s27
	s_add_i32 s3, s3, s11
	v_add_co_u32_e32 v2, vcc, s26, v2
	v_addc_co_u32_e32 v3, vcc, v5, v3, vcc
	v_lshlrev_b32_e32 v4, 1, v4
	v_add_co_u32_e32 v6, vcc, 32, v2
	v_mov_b32_e32 v8, s24
	s_add_i32 s3, s9, s3
	v_mov_b32_e32 v14, 0
	v_addc_co_u32_e32 v7, vcc, 0, v3, vcc
	s_mov_b64 s[0:1], 0
	s_movk_i32 s9, 0x42
	v_mov_b32_e32 v9, s25
	v_lshlrev_b32_e32 v15, 1, v4
	s_mov_b32 s11, 0x1010101
	s_movk_i32 s15, 0xff00
	s_mov_b32 s18, 0xc0c0105
	v_mov_b32_e32 v16, 3
	v_mov_b32_e32 v17, 8
	;; [unrolled: 1-line block ×3, first 2 shown]
.LBB160_9:                              ; =>This Inner Loop Header: Depth=1
	v_add_u32_e32 v2, s3, v13
	v_mad_i64_i32 v[10:11], s[12:13], v2, s9, v[8:9]
	s_getpc_b64 s[12:13]
	s_add_u32 s12, s12, _ZL11iq2xxs_grid@rel32@lo+4
	s_addc_u32 s13, s13, _ZL11iq2xxs_grid@rel32@hi+12
	v_add_u32_e32 v13, 16, v13
	v_add_co_u32_e32 v2, vcc, v10, v15
	v_addc_co_u32_e32 v3, vcc, 0, v11, vcc
	global_load_dwordx2 v[22:23], v[2:3], off offset:2
	s_waitcnt vmcnt(0)
	v_lshlrev_b32_sdwa v2, v16, v22 dst_sel:DWORD dst_unused:UNUSED_PAD src0_sel:DWORD src1_sel:BYTE_0
	global_load_dwordx2 v[24:25], v2, s[12:13]
	v_and_b32_e32 v2, 0xff, v23
	v_bcnt_u32_b32 v3, v2, 0
	v_and_b32_e32 v3, 1, v3
	v_lshlrev_b32_e32 v3, 7, v3
	v_xor_b32_e32 v2, v3, v2
	v_mul_lo_u32 v26, v2, s11
	v_and_b32_e32 v2, 0x8040201, v26
	v_cmp_ne_u16_sdwa s[20:21], v2, v14 src0_sel:BYTE_3 src1_sel:DWORD
	v_cmp_ne_u16_sdwa s[22:23], v2, v14 src0_sel:BYTE_1 src1_sel:DWORD
	v_lshrrev_b32_e32 v3, 18, v26
	v_cndmask_b32_e64 v4, 0, -1, s[22:23]
	v_cndmask_b32_e64 v18, 0, -1, s[20:21]
	v_bfe_i32 v2, v26, 0, 1
	v_lshlrev_b16_e32 v4, 8, v4
	v_bfe_i32 v3, v3, 0, 1
	v_lshlrev_b16_e32 v18, 8, v18
	v_or_b32_sdwa v5, v2, v4 dst_sel:DWORD dst_unused:UNUSED_PAD src0_sel:BYTE_0 src1_sel:DWORD
	v_or_b32_sdwa v19, v3, v18 dst_sel:WORD_1 dst_unused:UNUSED_PAD src0_sel:BYTE_0 src1_sel:DWORD
	v_or_b32_sdwa v5, v5, v19 dst_sel:DWORD dst_unused:UNUSED_PAD src0_sel:WORD_0 src1_sel:DWORD
	v_lshlrev_b16_e32 v2, 8, v2
	v_lshlrev_b16_e32 v3, 8, v3
	s_waitcnt vmcnt(0)
	v_xor_b32_e32 v5, v24, v5
	v_and_b32_e32 v19, 0xffffff00, v5
	v_sub_i16 v4, v19, v4 clamp
	v_lshlrev_b16_e32 v19, 8, v5
	v_sub_i16 v2, v19, v2 clamp
	v_perm_b32 v2, v2, v4, s18
	v_and_b32_sdwa v4, v5, s15 dst_sel:DWORD dst_unused:UNUSED_PAD src0_sel:WORD_1 src1_sel:DWORD
	v_lshlrev_b16_sdwa v5, v17, v5 dst_sel:DWORD dst_unused:UNUSED_PAD src0_sel:DWORD src1_sel:WORD_1
	v_sub_i16 v4, v4, v18 clamp
	v_sub_i16 v3, v5, v3 clamp
	v_perm_b32 v3, v3, v4, s18
	v_lshl_or_b32 v24, v3, 16, v2
	global_load_dwordx4 v[2:5], v[6:7], off offset:-32
	global_load_dword v27, v[6:7], off
	global_load_dwordx4 v[18:21], v[6:7], off offset:-16
	v_add_co_u32_e32 v6, vcc, 0x1200, v6
	v_addc_co_u32_e32 v7, vcc, 0, v7, vcc
	v_cmp_le_u32_e32 vcc, s7, v13
	s_or_b64 s[0:1], vcc, s[0:1]
	s_waitcnt vmcnt(2)
	v_dot4_i32_i8 v3, v24, v3, 0
	v_and_b32_e32 v24, 0x80402010, v26
	v_cmp_ne_u16_sdwa s[20:21], v24, v14 src0_sel:BYTE_3 src1_sel:DWORD
	v_cmp_ne_u16_sdwa s[22:23], v24, v14 src0_sel:BYTE_1 src1_sel:DWORD
	v_lshrrev_b32_e32 v26, 22, v26
	v_lshrrev_b16_e32 v24, 4, v24
	v_cndmask_b32_e64 v28, 0, -1, s[22:23]
	v_cndmask_b32_e64 v30, 0, -1, s[20:21]
	v_bfe_i32 v24, v24, 0, 1
	v_lshlrev_b16_e32 v28, 8, v28
	v_bfe_i32 v26, v26, 0, 1
	v_lshlrev_b16_e32 v30, 8, v30
	v_or_b32_sdwa v29, v24, v28 dst_sel:DWORD dst_unused:UNUSED_PAD src0_sel:BYTE_0 src1_sel:DWORD
	v_or_b32_sdwa v31, v26, v30 dst_sel:WORD_1 dst_unused:UNUSED_PAD src0_sel:BYTE_0 src1_sel:DWORD
	v_or_b32_sdwa v29, v29, v31 dst_sel:DWORD dst_unused:UNUSED_PAD src0_sel:WORD_0 src1_sel:DWORD
	v_xor_b32_e32 v25, v25, v29
	v_and_b32_e32 v29, 0xffffff00, v25
	v_sub_i16 v28, v29, v28 clamp
	v_lshlrev_b16_e32 v29, 8, v25
	v_lshlrev_b16_e32 v24, 8, v24
	v_sub_i16 v24, v29, v24 clamp
	v_perm_b32 v24, v24, v28, s18
	v_and_b32_sdwa v28, v25, s15 dst_sel:DWORD dst_unused:UNUSED_PAD src0_sel:WORD_1 src1_sel:DWORD
	v_lshlrev_b16_sdwa v25, v17, v25 dst_sel:DWORD dst_unused:UNUSED_PAD src0_sel:DWORD src1_sel:WORD_1
	v_lshlrev_b16_e32 v26, 8, v26
	v_sub_i16 v28, v28, v30 clamp
	v_sub_i16 v25, v25, v26 clamp
	v_perm_b32 v25, v25, v28, s18
	v_lshl_or_b32 v24, v25, 16, v24
	v_dot4_i32_i8 v24, v24, v4, v3
	v_lshlrev_b32_sdwa v3, v16, v22 dst_sel:DWORD dst_unused:UNUSED_PAD src0_sel:DWORD src1_sel:BYTE_1
	global_load_dwordx2 v[3:4], v3, s[12:13]
	v_bfe_u32 v25, v23, 7, 8
	v_bcnt_u32_b32 v26, v25, 0
	v_and_b32_e32 v26, 1, v26
	v_lshlrev_b32_e32 v26, 7, v26
	v_xor_b32_e32 v25, v26, v25
	v_mul_lo_u32 v25, v25, s11
	v_cvt_f32_f16_e32 v2, v2
	v_and_b32_e32 v26, 0x8040201, v25
	v_cmp_ne_u16_sdwa s[20:21], v26, v14 src0_sel:BYTE_3 src1_sel:DWORD
	v_cmp_ne_u16_sdwa s[22:23], v26, v14 src0_sel:BYTE_1 src1_sel:DWORD
	v_lshrrev_b32_e32 v28, 18, v25
	v_cndmask_b32_e64 v29, 0, -1, s[22:23]
	v_cndmask_b32_e64 v31, 0, -1, s[20:21]
	v_bfe_i32 v26, v25, 0, 1
	v_lshlrev_b16_e32 v29, 8, v29
	v_bfe_i32 v28, v28, 0, 1
	v_lshlrev_b16_e32 v31, 8, v31
	v_or_b32_sdwa v30, v26, v29 dst_sel:DWORD dst_unused:UNUSED_PAD src0_sel:BYTE_0 src1_sel:DWORD
	v_or_b32_sdwa v32, v28, v31 dst_sel:WORD_1 dst_unused:UNUSED_PAD src0_sel:BYTE_0 src1_sel:DWORD
	v_or_b32_sdwa v30, v30, v32 dst_sel:DWORD dst_unused:UNUSED_PAD src0_sel:WORD_0 src1_sel:DWORD
	v_lshlrev_b16_e32 v26, 8, v26
	v_lshlrev_b16_e32 v28, 8, v28
	s_waitcnt vmcnt(0)
	v_xor_b32_e32 v3, v3, v30
	v_and_b32_e32 v30, 0xffffff00, v3
	v_sub_i16 v29, v30, v29 clamp
	v_lshlrev_b16_e32 v30, 8, v3
	v_sub_i16 v26, v30, v26 clamp
	v_perm_b32 v26, v26, v29, s18
	v_and_b32_sdwa v29, v3, s15 dst_sel:DWORD dst_unused:UNUSED_PAD src0_sel:WORD_1 src1_sel:DWORD
	v_lshlrev_b16_sdwa v3, v17, v3 dst_sel:DWORD dst_unused:UNUSED_PAD src0_sel:DWORD src1_sel:WORD_1
	v_sub_i16 v29, v29, v31 clamp
	v_sub_i16 v3, v3, v28 clamp
	v_perm_b32 v3, v3, v29, s18
	v_lshl_or_b32 v3, v3, 16, v26
	v_dot4_i32_i8 v3, v3, v5, v24
	v_and_b32_e32 v5, 0x80402010, v25
	v_cmp_ne_u16_sdwa s[20:21], v5, v14 src0_sel:BYTE_3 src1_sel:DWORD
	v_cmp_ne_u16_sdwa s[22:23], v5, v14 src0_sel:BYTE_1 src1_sel:DWORD
	v_lshrrev_b32_e32 v24, 22, v25
	v_lshrrev_b16_e32 v5, 4, v5
	v_cndmask_b32_e64 v25, 0, -1, s[22:23]
	v_cndmask_b32_e64 v28, 0, -1, s[20:21]
	v_bfe_i32 v5, v5, 0, 1
	v_lshlrev_b16_e32 v25, 8, v25
	v_bfe_i32 v24, v24, 0, 1
	v_lshlrev_b16_e32 v28, 8, v28
	v_or_b32_sdwa v26, v5, v25 dst_sel:DWORD dst_unused:UNUSED_PAD src0_sel:BYTE_0 src1_sel:DWORD
	v_or_b32_sdwa v29, v24, v28 dst_sel:WORD_1 dst_unused:UNUSED_PAD src0_sel:BYTE_0 src1_sel:DWORD
	v_or_b32_sdwa v26, v26, v29 dst_sel:DWORD dst_unused:UNUSED_PAD src0_sel:WORD_0 src1_sel:DWORD
	v_xor_b32_e32 v4, v4, v26
	v_and_b32_e32 v26, 0xffffff00, v4
	v_sub_i16 v25, v26, v25 clamp
	v_lshlrev_b16_e32 v26, 8, v4
	v_lshlrev_b16_e32 v5, 8, v5
	v_sub_i16 v5, v26, v5 clamp
	v_perm_b32 v5, v5, v25, s18
	v_and_b32_sdwa v25, v4, s15 dst_sel:DWORD dst_unused:UNUSED_PAD src0_sel:WORD_1 src1_sel:DWORD
	v_lshlrev_b16_sdwa v4, v17, v4 dst_sel:DWORD dst_unused:UNUSED_PAD src0_sel:DWORD src1_sel:WORD_1
	v_lshlrev_b16_e32 v24, 8, v24
	v_sub_i16 v25, v25, v28 clamp
	v_sub_i16 v4, v4, v24 clamp
	v_perm_b32 v4, v4, v25, s18
	v_lshl_or_b32 v4, v4, 16, v5
	v_dot4_i32_i8 v5, v4, v18, v3
	v_lshlrev_b32_sdwa v3, v16, v22 dst_sel:DWORD dst_unused:UNUSED_PAD src0_sel:DWORD src1_sel:BYTE_2
	global_load_dwordx2 v[3:4], v3, s[12:13]
	v_bfe_u32 v18, v23, 14, 8
	v_bcnt_u32_b32 v24, v18, 0
	v_and_b32_e32 v24, 1, v24
	v_lshlrev_b32_e32 v24, 7, v24
	v_xor_b32_e32 v18, v24, v18
	v_mul_lo_u32 v18, v18, s11
	v_and_b32_e32 v24, 0x8040201, v18
	v_cmp_ne_u16_sdwa s[20:21], v24, v14 src0_sel:BYTE_3 src1_sel:DWORD
	v_cmp_ne_u16_sdwa s[22:23], v24, v14 src0_sel:BYTE_1 src1_sel:DWORD
	v_lshrrev_b32_e32 v25, 18, v18
	v_cndmask_b32_e64 v26, 0, -1, s[22:23]
	v_cndmask_b32_e64 v29, 0, -1, s[20:21]
	v_bfe_i32 v24, v18, 0, 1
	v_lshlrev_b16_e32 v26, 8, v26
	v_bfe_i32 v25, v25, 0, 1
	v_lshlrev_b16_e32 v29, 8, v29
	v_or_b32_sdwa v28, v24, v26 dst_sel:DWORD dst_unused:UNUSED_PAD src0_sel:BYTE_0 src1_sel:DWORD
	v_or_b32_sdwa v30, v25, v29 dst_sel:WORD_1 dst_unused:UNUSED_PAD src0_sel:BYTE_0 src1_sel:DWORD
	v_or_b32_sdwa v28, v28, v30 dst_sel:DWORD dst_unused:UNUSED_PAD src0_sel:WORD_0 src1_sel:DWORD
	v_lshlrev_b16_e32 v24, 8, v24
	v_lshlrev_b16_e32 v25, 8, v25
	s_waitcnt vmcnt(0)
	v_xor_b32_e32 v3, v3, v28
	v_and_b32_e32 v28, 0xffffff00, v3
	v_sub_i16 v26, v28, v26 clamp
	v_lshlrev_b16_e32 v28, 8, v3
	v_sub_i16 v24, v28, v24 clamp
	v_perm_b32 v24, v24, v26, s18
	v_and_b32_sdwa v26, v3, s15 dst_sel:DWORD dst_unused:UNUSED_PAD src0_sel:WORD_1 src1_sel:DWORD
	v_lshlrev_b16_sdwa v3, v17, v3 dst_sel:DWORD dst_unused:UNUSED_PAD src0_sel:DWORD src1_sel:WORD_1
	v_sub_i16 v26, v26, v29 clamp
	v_sub_i16 v3, v3, v25 clamp
	v_perm_b32 v3, v3, v26, s18
	v_lshl_or_b32 v3, v3, 16, v24
	v_dot4_i32_i8 v3, v3, v19, v5
	v_and_b32_e32 v5, 0x80402010, v18
	v_cmp_ne_u16_sdwa s[20:21], v5, v14 src0_sel:BYTE_3 src1_sel:DWORD
	v_cmp_ne_u16_sdwa s[22:23], v5, v14 src0_sel:BYTE_1 src1_sel:DWORD
	v_lshrrev_b32_e32 v18, 22, v18
	v_lshrrev_b16_e32 v5, 4, v5
	v_cndmask_b32_e64 v19, 0, -1, s[22:23]
	v_cndmask_b32_e64 v25, 0, -1, s[20:21]
	v_bfe_i32 v5, v5, 0, 1
	v_lshlrev_b16_e32 v19, 8, v19
	v_bfe_i32 v18, v18, 0, 1
	v_lshlrev_b16_e32 v25, 8, v25
	v_or_b32_sdwa v24, v5, v19 dst_sel:DWORD dst_unused:UNUSED_PAD src0_sel:BYTE_0 src1_sel:DWORD
	v_or_b32_sdwa v26, v18, v25 dst_sel:WORD_1 dst_unused:UNUSED_PAD src0_sel:BYTE_0 src1_sel:DWORD
	v_or_b32_sdwa v24, v24, v26 dst_sel:DWORD dst_unused:UNUSED_PAD src0_sel:WORD_0 src1_sel:DWORD
	v_xor_b32_e32 v4, v4, v24
	v_and_b32_e32 v24, 0xffffff00, v4
	v_sub_i16 v19, v24, v19 clamp
	v_lshlrev_b16_e32 v24, 8, v4
	v_lshlrev_b16_e32 v5, 8, v5
	v_sub_i16 v5, v24, v5 clamp
	v_perm_b32 v5, v5, v19, s18
	v_and_b32_sdwa v19, v4, s15 dst_sel:DWORD dst_unused:UNUSED_PAD src0_sel:WORD_1 src1_sel:DWORD
	v_lshlrev_b16_sdwa v4, v17, v4 dst_sel:DWORD dst_unused:UNUSED_PAD src0_sel:DWORD src1_sel:WORD_1
	v_lshlrev_b16_e32 v18, 8, v18
	v_sub_i16 v19, v19, v25 clamp
	v_sub_i16 v4, v4, v18 clamp
	v_perm_b32 v4, v4, v19, s18
	v_lshl_or_b32 v4, v4, 16, v5
	v_dot4_i32_i8 v5, v4, v20, v3
	v_lshlrev_b32_sdwa v3, v16, v22 dst_sel:DWORD dst_unused:UNUSED_PAD src0_sel:DWORD src1_sel:BYTE_3
	global_load_dwordx2 v[3:4], v3, s[12:13]
	v_bfe_u32 v18, v23, 21, 8
	v_bcnt_u32_b32 v19, v18, 0
	v_and_b32_e32 v19, 1, v19
	v_lshlrev_b32_e32 v19, 7, v19
	v_xor_b32_e32 v18, v19, v18
	v_mul_lo_u32 v18, v18, s11
	v_and_b32_e32 v19, 0x8040201, v18
	v_cmp_ne_u16_sdwa s[12:13], v19, v14 src0_sel:BYTE_3 src1_sel:DWORD
	v_cmp_ne_u16_sdwa s[20:21], v19, v14 src0_sel:BYTE_1 src1_sel:DWORD
	v_lshrrev_b32_e32 v20, 18, v18
	v_cndmask_b32_e64 v22, 0, -1, s[20:21]
	v_cndmask_b32_e64 v25, 0, -1, s[12:13]
	v_bfe_i32 v19, v18, 0, 1
	v_lshlrev_b16_e32 v22, 8, v22
	v_bfe_i32 v20, v20, 0, 1
	v_lshlrev_b16_e32 v25, 8, v25
	v_or_b32_sdwa v24, v19, v22 dst_sel:DWORD dst_unused:UNUSED_PAD src0_sel:BYTE_0 src1_sel:DWORD
	v_or_b32_sdwa v26, v20, v25 dst_sel:WORD_1 dst_unused:UNUSED_PAD src0_sel:BYTE_0 src1_sel:DWORD
	v_or_b32_sdwa v24, v24, v26 dst_sel:DWORD dst_unused:UNUSED_PAD src0_sel:WORD_0 src1_sel:DWORD
	v_lshlrev_b16_e32 v19, 8, v19
	v_lshlrev_b16_e32 v20, 8, v20
	s_waitcnt vmcnt(0)
	v_xor_b32_e32 v3, v3, v24
	v_and_b32_e32 v24, 0xffffff00, v3
	v_sub_i16 v22, v24, v22 clamp
	v_lshlrev_b16_e32 v24, 8, v3
	v_sub_i16 v19, v24, v19 clamp
	v_perm_b32 v19, v19, v22, s18
	v_and_b32_sdwa v22, v3, s15 dst_sel:DWORD dst_unused:UNUSED_PAD src0_sel:WORD_1 src1_sel:DWORD
	v_lshlrev_b16_sdwa v3, v17, v3 dst_sel:DWORD dst_unused:UNUSED_PAD src0_sel:DWORD src1_sel:WORD_1
	v_sub_i16 v22, v22, v25 clamp
	v_sub_i16 v3, v3, v20 clamp
	v_perm_b32 v3, v3, v22, s18
	v_lshl_or_b32 v3, v3, 16, v19
	v_dot4_i32_i8 v3, v3, v21, v5
	v_and_b32_e32 v5, 0x80402010, v18
	v_cmp_ne_u16_sdwa s[12:13], v5, v14 src0_sel:BYTE_3 src1_sel:DWORD
	v_cmp_ne_u16_sdwa s[20:21], v5, v14 src0_sel:BYTE_1 src1_sel:DWORD
	v_lshrrev_b32_e32 v18, 22, v18
	v_lshrrev_b16_e32 v5, 4, v5
	v_cndmask_b32_e64 v19, 0, -1, s[20:21]
	v_cndmask_b32_e64 v21, 0, -1, s[12:13]
	v_bfe_i32 v5, v5, 0, 1
	v_lshlrev_b16_e32 v19, 8, v19
	v_bfe_i32 v18, v18, 0, 1
	v_lshlrev_b16_e32 v21, 8, v21
	v_or_b32_sdwa v20, v5, v19 dst_sel:DWORD dst_unused:UNUSED_PAD src0_sel:BYTE_0 src1_sel:DWORD
	v_or_b32_sdwa v22, v18, v21 dst_sel:WORD_1 dst_unused:UNUSED_PAD src0_sel:BYTE_0 src1_sel:DWORD
	v_or_b32_sdwa v20, v20, v22 dst_sel:DWORD dst_unused:UNUSED_PAD src0_sel:WORD_0 src1_sel:DWORD
	v_xor_b32_e32 v4, v4, v20
	v_and_b32_e32 v20, 0xffffff00, v4
	v_sub_i16 v19, v20, v19 clamp
	v_lshlrev_b16_e32 v20, 8, v4
	v_lshlrev_b16_e32 v5, 8, v5
	v_sub_i16 v5, v20, v5 clamp
	v_perm_b32 v5, v5, v19, s18
	v_and_b32_sdwa v19, v4, s15 dst_sel:DWORD dst_unused:UNUSED_PAD src0_sel:WORD_1 src1_sel:DWORD
	v_lshlrev_b16_sdwa v4, v17, v4 dst_sel:DWORD dst_unused:UNUSED_PAD src0_sel:DWORD src1_sel:WORD_1
	v_lshlrev_b16_e32 v18, 8, v18
	v_sub_i16 v19, v19, v21 clamp
	v_sub_i16 v4, v4, v18 clamp
	v_perm_b32 v4, v4, v19, s18
	v_lshl_or_b32 v4, v4, 16, v5
	v_dot4_i32_i8 v3, v4, v27, v3
	v_lshrrev_b32_e32 v4, 27, v23
	v_or_b32_e32 v4, 1, v4
	v_mul_lo_u32 v3, v3, v4
	v_ashrrev_i32_e32 v4, 31, v3
	v_lshrrev_b32_e32 v4, 29, v4
	v_add_u32_e32 v3, v3, v4
	global_load_ushort v4, v[10:11], off
	v_ashrrev_i32_e32 v3, 3, v3
	v_cvt_f32_i32_e32 v3, v3
	s_waitcnt vmcnt(0)
	v_cvt_f32_f16_e32 v4, v4
	v_mul_f32_e32 v2, v4, v2
	v_fmac_f32_e32 v12, v2, v3
	s_andn2_b64 exec, exec, s[0:1]
	s_cbranch_execnz .LBB160_9
; %bb.10:
	s_or_b64 exec, exec, s[0:1]
.LBB160_11:
	s_or_b64 exec, exec, s[16:17]
	v_cmp_eq_u32_e32 vcc, 0, v1
	s_waitcnt lgkmcnt(0)
	v_cmp_ne_u32_e64 s[0:1], 0, v1
	v_lshlrev_b32_e32 v2, 2, v0
	s_and_saveexec_b64 s[12:13], s[0:1]
; %bb.12:
	v_lshlrev_b32_e32 v1, 8, v1
	s_movk_i32 s0, 0xff00
	v_add3_u32 v1, v1, v2, s0
	ds_write_b32 v1, v12
; %bb.13:
	s_or_b64 exec, exec, s[12:13]
	s_waitcnt lgkmcnt(0)
	s_barrier
	s_and_saveexec_b64 s[0:1], vcc
	s_cbranch_execz .LBB160_16
; %bb.14:
	ds_read_b32 v1, v2
	v_mbcnt_lo_u32_b32 v2, -1, 0
	v_mbcnt_hi_u32_b32 v2, -1, v2
	v_and_b32_e32 v3, 64, v2
	v_add_u32_e32 v3, 64, v3
	v_xor_b32_e32 v4, 32, v2
	v_cmp_lt_i32_e32 vcc, v4, v3
	v_cndmask_b32_e32 v4, v2, v4, vcc
	v_lshlrev_b32_e32 v4, 2, v4
	s_waitcnt lgkmcnt(0)
	v_add_f32_e32 v1, v12, v1
	ds_bpermute_b32 v4, v4, v1
	v_xor_b32_e32 v5, 16, v2
	v_cmp_lt_i32_e32 vcc, v5, v3
	v_cndmask_b32_e32 v5, v2, v5, vcc
	v_lshlrev_b32_e32 v5, 2, v5
	s_waitcnt lgkmcnt(0)
	v_add_f32_e32 v1, v1, v4
	ds_bpermute_b32 v4, v5, v1
	;; [unrolled: 7-line block ×6, first 2 shown]
	s_mov_b32 s1, 0
	v_cmp_eq_u32_e32 vcc, 0, v0
	s_and_b64 exec, exec, vcc
	s_cbranch_execz .LBB160_16
; %bb.15:
	s_load_dwordx2 s[4:5], s[4:5], 0x38
	s_mul_i32 s0, s2, s10
	s_add_i32 s0, s0, s6
	s_mul_i32 s2, s14, s8
	s_add_i32 s0, s0, s2
	s_lshl_b64 s[0:1], s[0:1], 2
	s_waitcnt lgkmcnt(0)
	s_add_u32 s0, s4, s0
	v_add_f32_e32 v0, v1, v2
	s_addc_u32 s1, s5, s1
	v_mov_b32_e32 v1, 0
	global_store_dword v1, v0, s[0:1]
.LBB160_16:
	s_endpgm
	.section	.rodata,"a",@progbits
	.p2align	6, 0x0
	.amdhsa_kernel _ZL13mul_mat_vec_qIL9ggml_type16ELi1ELb0ELb0EEvPKvS2_PKi31ggml_cuda_mm_fusion_args_devicePfj15HIP_vector_typeIjLj3EEjjjS8_jjjS8_jjjj
		.amdhsa_group_segment_fixed_size 256
		.amdhsa_private_segment_fixed_size 0
		.amdhsa_kernarg_size 144
		.amdhsa_user_sgpr_count 6
		.amdhsa_user_sgpr_private_segment_buffer 1
		.amdhsa_user_sgpr_dispatch_ptr 0
		.amdhsa_user_sgpr_queue_ptr 0
		.amdhsa_user_sgpr_kernarg_segment_ptr 1
		.amdhsa_user_sgpr_dispatch_id 0
		.amdhsa_user_sgpr_flat_scratch_init 0
		.amdhsa_user_sgpr_private_segment_size 0
		.amdhsa_uses_dynamic_stack 0
		.amdhsa_system_sgpr_private_segment_wavefront_offset 0
		.amdhsa_system_sgpr_workgroup_id_x 1
		.amdhsa_system_sgpr_workgroup_id_y 1
		.amdhsa_system_sgpr_workgroup_id_z 1
		.amdhsa_system_sgpr_workgroup_info 0
		.amdhsa_system_vgpr_workitem_id 1
		.amdhsa_next_free_vgpr 33
		.amdhsa_next_free_sgpr 28
		.amdhsa_reserve_vcc 1
		.amdhsa_reserve_flat_scratch 0
		.amdhsa_float_round_mode_32 0
		.amdhsa_float_round_mode_16_64 0
		.amdhsa_float_denorm_mode_32 3
		.amdhsa_float_denorm_mode_16_64 3
		.amdhsa_dx10_clamp 1
		.amdhsa_ieee_mode 1
		.amdhsa_fp16_overflow 0
		.amdhsa_exception_fp_ieee_invalid_op 0
		.amdhsa_exception_fp_denorm_src 0
		.amdhsa_exception_fp_ieee_div_zero 0
		.amdhsa_exception_fp_ieee_overflow 0
		.amdhsa_exception_fp_ieee_underflow 0
		.amdhsa_exception_fp_ieee_inexact 0
		.amdhsa_exception_int_div_zero 0
	.end_amdhsa_kernel
	.section	.text._ZL13mul_mat_vec_qIL9ggml_type16ELi1ELb0ELb0EEvPKvS2_PKi31ggml_cuda_mm_fusion_args_devicePfj15HIP_vector_typeIjLj3EEjjjS8_jjjS8_jjjj,"axG",@progbits,_ZL13mul_mat_vec_qIL9ggml_type16ELi1ELb0ELb0EEvPKvS2_PKi31ggml_cuda_mm_fusion_args_devicePfj15HIP_vector_typeIjLj3EEjjjS8_jjjS8_jjjj,comdat
.Lfunc_end160:
	.size	_ZL13mul_mat_vec_qIL9ggml_type16ELi1ELb0ELb0EEvPKvS2_PKi31ggml_cuda_mm_fusion_args_devicePfj15HIP_vector_typeIjLj3EEjjjS8_jjjS8_jjjj, .Lfunc_end160-_ZL13mul_mat_vec_qIL9ggml_type16ELi1ELb0ELb0EEvPKvS2_PKi31ggml_cuda_mm_fusion_args_devicePfj15HIP_vector_typeIjLj3EEjjjS8_jjjS8_jjjj
                                        ; -- End function
	.set _ZL13mul_mat_vec_qIL9ggml_type16ELi1ELb0ELb0EEvPKvS2_PKi31ggml_cuda_mm_fusion_args_devicePfj15HIP_vector_typeIjLj3EEjjjS8_jjjS8_jjjj.num_vgpr, 33
	.set _ZL13mul_mat_vec_qIL9ggml_type16ELi1ELb0ELb0EEvPKvS2_PKi31ggml_cuda_mm_fusion_args_devicePfj15HIP_vector_typeIjLj3EEjjjS8_jjjS8_jjjj.num_agpr, 0
	.set _ZL13mul_mat_vec_qIL9ggml_type16ELi1ELb0ELb0EEvPKvS2_PKi31ggml_cuda_mm_fusion_args_devicePfj15HIP_vector_typeIjLj3EEjjjS8_jjjS8_jjjj.numbered_sgpr, 28
	.set _ZL13mul_mat_vec_qIL9ggml_type16ELi1ELb0ELb0EEvPKvS2_PKi31ggml_cuda_mm_fusion_args_devicePfj15HIP_vector_typeIjLj3EEjjjS8_jjjS8_jjjj.num_named_barrier, 0
	.set _ZL13mul_mat_vec_qIL9ggml_type16ELi1ELb0ELb0EEvPKvS2_PKi31ggml_cuda_mm_fusion_args_devicePfj15HIP_vector_typeIjLj3EEjjjS8_jjjS8_jjjj.private_seg_size, 0
	.set _ZL13mul_mat_vec_qIL9ggml_type16ELi1ELb0ELb0EEvPKvS2_PKi31ggml_cuda_mm_fusion_args_devicePfj15HIP_vector_typeIjLj3EEjjjS8_jjjS8_jjjj.uses_vcc, 1
	.set _ZL13mul_mat_vec_qIL9ggml_type16ELi1ELb0ELb0EEvPKvS2_PKi31ggml_cuda_mm_fusion_args_devicePfj15HIP_vector_typeIjLj3EEjjjS8_jjjS8_jjjj.uses_flat_scratch, 0
	.set _ZL13mul_mat_vec_qIL9ggml_type16ELi1ELb0ELb0EEvPKvS2_PKi31ggml_cuda_mm_fusion_args_devicePfj15HIP_vector_typeIjLj3EEjjjS8_jjjS8_jjjj.has_dyn_sized_stack, 0
	.set _ZL13mul_mat_vec_qIL9ggml_type16ELi1ELb0ELb0EEvPKvS2_PKi31ggml_cuda_mm_fusion_args_devicePfj15HIP_vector_typeIjLj3EEjjjS8_jjjS8_jjjj.has_recursion, 0
	.set _ZL13mul_mat_vec_qIL9ggml_type16ELi1ELb0ELb0EEvPKvS2_PKi31ggml_cuda_mm_fusion_args_devicePfj15HIP_vector_typeIjLj3EEjjjS8_jjjS8_jjjj.has_indirect_call, 0
	.section	.AMDGPU.csdata,"",@progbits
; Kernel info:
; codeLenInByte = 2780
; TotalNumSgprs: 32
; NumVgprs: 33
; ScratchSize: 0
; MemoryBound: 0
; FloatMode: 240
; IeeeMode: 1
; LDSByteSize: 256 bytes/workgroup (compile time only)
; SGPRBlocks: 3
; VGPRBlocks: 8
; NumSGPRsForWavesPerEU: 32
; NumVGPRsForWavesPerEU: 33
; Occupancy: 7
; WaveLimiterHint : 0
; COMPUTE_PGM_RSRC2:SCRATCH_EN: 0
; COMPUTE_PGM_RSRC2:USER_SGPR: 6
; COMPUTE_PGM_RSRC2:TRAP_HANDLER: 0
; COMPUTE_PGM_RSRC2:TGID_X_EN: 1
; COMPUTE_PGM_RSRC2:TGID_Y_EN: 1
; COMPUTE_PGM_RSRC2:TGID_Z_EN: 1
; COMPUTE_PGM_RSRC2:TIDIG_COMP_CNT: 1
	.section	.text._ZL13mul_mat_vec_qIL9ggml_type16ELi2ELb0ELb0EEvPKvS2_PKi31ggml_cuda_mm_fusion_args_devicePfj15HIP_vector_typeIjLj3EEjjjS8_jjjS8_jjjj,"axG",@progbits,_ZL13mul_mat_vec_qIL9ggml_type16ELi2ELb0ELb0EEvPKvS2_PKi31ggml_cuda_mm_fusion_args_devicePfj15HIP_vector_typeIjLj3EEjjjS8_jjjS8_jjjj,comdat
	.globl	_ZL13mul_mat_vec_qIL9ggml_type16ELi2ELb0ELb0EEvPKvS2_PKi31ggml_cuda_mm_fusion_args_devicePfj15HIP_vector_typeIjLj3EEjjjS8_jjjS8_jjjj ; -- Begin function _ZL13mul_mat_vec_qIL9ggml_type16ELi2ELb0ELb0EEvPKvS2_PKi31ggml_cuda_mm_fusion_args_devicePfj15HIP_vector_typeIjLj3EEjjjS8_jjjS8_jjjj
	.p2align	8
	.type	_ZL13mul_mat_vec_qIL9ggml_type16ELi2ELb0ELb0EEvPKvS2_PKi31ggml_cuda_mm_fusion_args_devicePfj15HIP_vector_typeIjLj3EEjjjS8_jjjS8_jjjj,@function
_ZL13mul_mat_vec_qIL9ggml_type16ELi2ELb0ELb0EEvPKvS2_PKi31ggml_cuda_mm_fusion_args_devicePfj15HIP_vector_typeIjLj3EEjjjS8_jjjS8_jjjj: ; @_ZL13mul_mat_vec_qIL9ggml_type16ELi2ELb0ELb0EEvPKvS2_PKi31ggml_cuda_mm_fusion_args_devicePfj15HIP_vector_typeIjLj3EEjjjS8_jjjS8_jjjj
; %bb.0:
	s_load_dword s9, s[4:5], 0x40
	s_load_dwordx4 s[0:3], s[4:5], 0x50
	s_load_dword s25, s[4:5], 0x60
	s_load_dwordx4 s[12:15], s[4:5], 0x68
	;; [unrolled: 2-line block ×3, first 2 shown]
	v_lshl_add_u32 v2, v1, 6, v0
	s_waitcnt lgkmcnt(0)
	s_lshr_b32 s9, s9, 8
	v_lshrrev_b32_e32 v22, 3, v2
	s_lshl_b32 s6, s6, 1
	v_cmp_gt_u32_e32 vcc, s9, v22
	v_mov_b32_e32 v19, 0
	v_mov_b32_e32 v20, 0
	;; [unrolled: 1-line block ×4, first 2 shown]
	s_and_saveexec_b64 s[10:11], vcc
	s_cbranch_execz .LBB161_4
; %bb.1:
	s_mul_hi_u32 s3, s3, s7
	s_add_i32 s3, s7, s3
	s_load_dwordx4 s[20:23], s[4:5], 0x0
	s_lshr_b32 s3, s3, s25
	s_mul_i32 s3, s3, s12
	s_mul_hi_u32 s12, s15, s8
	s_add_i32 s12, s8, s12
	s_lshr_b32 s12, s12, s24
	s_mul_i32 s19, s17, s8
	s_mul_i32 s15, s12, s16
	;; [unrolled: 1-line block ×3, first 2 shown]
	s_mul_hi_u32 s12, s19, 36
	s_waitcnt lgkmcnt(0)
	s_add_u32 s16, s22, s16
	s_addc_u32 s17, s23, s12
	s_mul_i32 s12, s13, s7
	s_mul_hi_u32 s13, s12, 36
	s_mul_i32 s12, s12, 36
	s_add_u32 s16, s16, s12
	v_lshlrev_b32_e32 v2, 1, v0
	s_addc_u32 s17, s17, s13
	v_and_b32_e32 v2, 14, v2
	v_and_b32_e32 v5, 7, v0
	v_lshlrev_b32_e32 v4, 1, v2
	v_mad_u64_u32 v[10:11], s[16:17], v5, 36, s[16:17]
	v_mov_b32_e32 v2, s12
	s_movk_i32 s16, 0x120
	v_mov_b32_e32 v3, s13
	v_mad_u64_u32 v[2:3], s[12:13], v22, s16, v[2:3]
	s_add_i32 s16, s6, 1
	s_add_i32 s15, s15, s3
	v_mad_u64_u32 v[2:3], s[12:13], s19, 36, v[2:3]
	s_mul_i32 s3, s6, s0
	s_mul_i32 s0, s0, s16
	v_mad_u64_u32 v[2:3], s[12:13], v5, 36, v[2:3]
	v_mov_b32_e32 v5, s23
	v_mov_b32_e32 v14, s20
	v_add_co_u32_e32 v2, vcc, s22, v2
	v_addc_co_u32_e32 v3, vcc, v5, v3, vcc
	v_add_co_u32_e32 v12, vcc, 32, v2
	v_mov_b32_e32 v23, 0
	s_add_i32 s3, s15, s3
	s_add_i32 s15, s15, s0
	v_lshl_add_u32 v24, v22, 3, s1
	v_addc_co_u32_e32 v13, vcc, 0, v3, vcc
	s_mov_b64 s[0:1], 0
	s_movk_i32 s16, 0x42
	v_mov_b32_e32 v15, s21
	v_lshlrev_b32_e32 v25, 1, v4
	s_mov_b32 s17, 0x1010101
	s_movk_i32 s19, 0xff00
	s_mov_b32 s20, 0xc0c0105
	v_mov_b32_e32 v26, 3
	v_mov_b32_e32 v27, 8
	;; [unrolled: 1-line block ×6, first 2 shown]
.LBB161_2:                              ; =>This Inner Loop Header: Depth=1
	v_add_u32_e32 v16, s3, v22
	v_mad_i64_i32 v[16:17], s[12:13], v16, s16, v[14:15]
	global_load_dword v39, v[12:13], off
	global_load_dwordx4 v[2:5], v[12:13], off offset:-16
	global_load_dwordx4 v[6:9], v[12:13], off offset:-32
	s_getpc_b64 s[12:13]
	s_add_u32 s12, s12, _ZL11iq2xxs_grid@rel32@lo+4
	s_addc_u32 s13, s13, _ZL11iq2xxs_grid@rel32@hi+12
	v_add_co_u32_e32 v28, vcc, v16, v25
	v_addc_co_u32_e32 v29, vcc, 0, v17, vcc
	global_load_dwordx2 v[33:34], v[28:29], off offset:2
	s_waitcnt vmcnt(1)
	v_cvt_f32_f16_e32 v37, v6
	global_load_ushort v16, v[16:17], off
	s_waitcnt vmcnt(1)
	v_lshlrev_b32_sdwa v6, v26, v33 dst_sel:DWORD dst_unused:UNUSED_PAD src0_sel:DWORD src1_sel:BYTE_0
	global_load_dwordx2 v[28:29], v6, s[12:13]
	v_and_b32_e32 v6, 0xff, v34
	v_bcnt_u32_b32 v30, v6, 0
	v_and_b32_e32 v30, 1, v30
	v_lshlrev_b32_e32 v30, 7, v30
	v_xor_b32_e32 v6, v30, v6
	v_mul_lo_u32 v30, v6, s17
	v_and_b32_e32 v6, 0x8040201, v30
	v_cmp_ne_u16_sdwa s[22:23], v6, v23 src0_sel:BYTE_3 src1_sel:DWORD
	v_cmp_ne_u16_sdwa s[24:25], v6, v23 src0_sel:BYTE_1 src1_sel:DWORD
	v_lshrrev_b32_e32 v31, 18, v30
	v_cndmask_b32_e64 v32, 0, -1, s[24:25]
	v_cndmask_b32_e64 v36, 0, -1, s[22:23]
	v_bfe_i32 v6, v30, 0, 1
	v_lshlrev_b16_e32 v32, 8, v32
	v_bfe_i32 v31, v31, 0, 1
	v_lshlrev_b16_e32 v36, 8, v36
	v_or_b32_sdwa v35, v6, v32 dst_sel:DWORD dst_unused:UNUSED_PAD src0_sel:BYTE_0 src1_sel:DWORD
	v_or_b32_sdwa v38, v31, v36 dst_sel:WORD_1 dst_unused:UNUSED_PAD src0_sel:BYTE_0 src1_sel:DWORD
	v_or_b32_sdwa v35, v35, v38 dst_sel:DWORD dst_unused:UNUSED_PAD src0_sel:WORD_0 src1_sel:DWORD
	v_lshlrev_b16_e32 v6, 8, v6
	v_lshlrev_b16_e32 v31, 8, v31
	s_waitcnt vmcnt(0)
	v_xor_b32_e32 v28, v28, v35
	v_and_b32_e32 v35, 0xffffff00, v28
	v_sub_i16 v32, v35, v32 clamp
	v_lshlrev_b16_e32 v35, 8, v28
	v_sub_i16 v6, v35, v6 clamp
	v_perm_b32 v6, v6, v32, s20
	v_and_b32_sdwa v32, v28, s19 dst_sel:DWORD dst_unused:UNUSED_PAD src0_sel:WORD_1 src1_sel:DWORD
	v_lshlrev_b16_sdwa v28, v27, v28 dst_sel:DWORD dst_unused:UNUSED_PAD src0_sel:DWORD src1_sel:WORD_1
	v_sub_i16 v32, v32, v36 clamp
	v_sub_i16 v28, v28, v31 clamp
	v_perm_b32 v28, v28, v32, s20
	v_lshl_or_b32 v6, v28, 16, v6
	v_and_b32_e32 v28, 0x80402010, v30
	v_cmp_ne_u16_sdwa s[22:23], v28, v23 src0_sel:BYTE_3 src1_sel:DWORD
	v_cmp_ne_u16_sdwa s[24:25], v28, v23 src0_sel:BYTE_1 src1_sel:DWORD
	v_lshrrev_b32_e32 v30, 22, v30
	v_lshrrev_b16_e32 v28, 4, v28
	v_cndmask_b32_e64 v32, 0, -1, s[24:25]
	v_cndmask_b32_e64 v36, 0, -1, s[22:23]
	v_bfe_i32 v28, v28, 0, 1
	v_lshlrev_b16_e32 v32, 8, v32
	v_bfe_i32 v30, v30, 0, 1
	v_lshlrev_b16_e32 v36, 8, v36
	v_or_b32_sdwa v35, v28, v32 dst_sel:DWORD dst_unused:UNUSED_PAD src0_sel:BYTE_0 src1_sel:DWORD
	v_or_b32_sdwa v38, v30, v36 dst_sel:WORD_1 dst_unused:UNUSED_PAD src0_sel:BYTE_0 src1_sel:DWORD
	v_or_b32_sdwa v35, v35, v38 dst_sel:DWORD dst_unused:UNUSED_PAD src0_sel:WORD_0 src1_sel:DWORD
	v_xor_b32_e32 v29, v29, v35
	v_and_b32_e32 v35, 0xffffff00, v29
	v_sub_i16 v32, v35, v32 clamp
	v_lshlrev_b16_e32 v35, 8, v29
	v_lshlrev_b16_e32 v28, 8, v28
	v_sub_i16 v28, v35, v28 clamp
	v_perm_b32 v28, v28, v32, s20
	v_and_b32_sdwa v32, v29, s19 dst_sel:DWORD dst_unused:UNUSED_PAD src0_sel:WORD_1 src1_sel:DWORD
	v_lshlrev_b16_sdwa v29, v27, v29 dst_sel:DWORD dst_unused:UNUSED_PAD src0_sel:DWORD src1_sel:WORD_1
	v_lshlrev_b16_e32 v30, 8, v30
	v_sub_i16 v32, v32, v36 clamp
	v_sub_i16 v29, v29, v30 clamp
	v_perm_b32 v29, v29, v32, s20
	v_lshl_or_b32 v28, v29, 16, v28
	v_lshlrev_b32_sdwa v29, v26, v33 dst_sel:DWORD dst_unused:UNUSED_PAD src0_sel:DWORD src1_sel:BYTE_1
	global_load_dwordx2 v[29:30], v29, s[12:13]
	v_bfe_u32 v32, v34, 7, 8
	v_bcnt_u32_b32 v35, v32, 0
	v_and_b32_e32 v35, 1, v35
	v_lshlrev_b32_e32 v35, 7, v35
	v_xor_b32_e32 v32, v35, v32
	v_mul_lo_u32 v32, v32, s17
	v_dot4_i32_i8 v31, v6, v7, 0
	v_dot4_i32_i8 v31, v28, v8, v31
	v_and_b32_e32 v35, 0x8040201, v32
	v_cmp_ne_u16_sdwa s[22:23], v35, v23 src0_sel:BYTE_3 src1_sel:DWORD
	v_cmp_ne_u16_sdwa s[24:25], v35, v23 src0_sel:BYTE_1 src1_sel:DWORD
	v_lshrrev_b32_e32 v36, 18, v32
	v_cndmask_b32_e64 v38, 0, -1, s[24:25]
	v_cndmask_b32_e64 v41, 0, -1, s[22:23]
	v_bfe_i32 v35, v32, 0, 1
	v_lshlrev_b16_e32 v38, 8, v38
	v_bfe_i32 v36, v36, 0, 1
	v_lshlrev_b16_e32 v41, 8, v41
	v_or_b32_sdwa v40, v35, v38 dst_sel:DWORD dst_unused:UNUSED_PAD src0_sel:BYTE_0 src1_sel:DWORD
	v_or_b32_sdwa v42, v36, v41 dst_sel:WORD_1 dst_unused:UNUSED_PAD src0_sel:BYTE_0 src1_sel:DWORD
	v_or_b32_sdwa v40, v40, v42 dst_sel:DWORD dst_unused:UNUSED_PAD src0_sel:WORD_0 src1_sel:DWORD
	v_lshlrev_b16_e32 v35, 8, v35
	v_lshlrev_b16_e32 v36, 8, v36
	s_waitcnt vmcnt(0)
	v_xor_b32_e32 v29, v29, v40
	v_and_b32_e32 v40, 0xffffff00, v29
	v_sub_i16 v38, v40, v38 clamp
	v_lshlrev_b16_e32 v40, 8, v29
	v_sub_i16 v35, v40, v35 clamp
	v_perm_b32 v35, v35, v38, s20
	v_and_b32_sdwa v38, v29, s19 dst_sel:DWORD dst_unused:UNUSED_PAD src0_sel:WORD_1 src1_sel:DWORD
	v_lshlrev_b16_sdwa v29, v27, v29 dst_sel:DWORD dst_unused:UNUSED_PAD src0_sel:DWORD src1_sel:WORD_1
	v_sub_i16 v38, v38, v41 clamp
	v_sub_i16 v29, v29, v36 clamp
	v_perm_b32 v29, v29, v38, s20
	v_lshl_or_b32 v29, v29, 16, v35
	v_and_b32_e32 v35, 0x80402010, v32
	v_cmp_ne_u16_sdwa s[22:23], v35, v23 src0_sel:BYTE_3 src1_sel:DWORD
	v_cmp_ne_u16_sdwa s[24:25], v35, v23 src0_sel:BYTE_1 src1_sel:DWORD
	v_lshrrev_b32_e32 v32, 22, v32
	v_lshrrev_b16_e32 v35, 4, v35
	v_cndmask_b32_e64 v36, 0, -1, s[24:25]
	v_cndmask_b32_e64 v40, 0, -1, s[22:23]
	v_bfe_i32 v35, v35, 0, 1
	v_lshlrev_b16_e32 v36, 8, v36
	v_bfe_i32 v32, v32, 0, 1
	v_lshlrev_b16_e32 v40, 8, v40
	v_or_b32_sdwa v38, v35, v36 dst_sel:DWORD dst_unused:UNUSED_PAD src0_sel:BYTE_0 src1_sel:DWORD
	v_or_b32_sdwa v41, v32, v40 dst_sel:WORD_1 dst_unused:UNUSED_PAD src0_sel:BYTE_0 src1_sel:DWORD
	v_or_b32_sdwa v38, v38, v41 dst_sel:DWORD dst_unused:UNUSED_PAD src0_sel:WORD_0 src1_sel:DWORD
	v_xor_b32_e32 v30, v30, v38
	v_and_b32_e32 v38, 0xffffff00, v30
	v_sub_i16 v36, v38, v36 clamp
	v_lshlrev_b16_e32 v38, 8, v30
	v_lshlrev_b16_e32 v35, 8, v35
	v_sub_i16 v35, v38, v35 clamp
	v_perm_b32 v35, v35, v36, s20
	v_and_b32_sdwa v36, v30, s19 dst_sel:DWORD dst_unused:UNUSED_PAD src0_sel:WORD_1 src1_sel:DWORD
	v_lshlrev_b16_sdwa v30, v27, v30 dst_sel:DWORD dst_unused:UNUSED_PAD src0_sel:DWORD src1_sel:WORD_1
	v_lshlrev_b16_e32 v32, 8, v32
	v_sub_i16 v36, v36, v40 clamp
	v_sub_i16 v30, v30, v32 clamp
	v_perm_b32 v30, v30, v36, s20
	v_dot4_i32_i8 v31, v29, v9, v31
	v_lshl_or_b32 v30, v30, 16, v35
	v_dot4_i32_i8 v35, v30, v2, v31
	v_lshlrev_b32_sdwa v31, v26, v33 dst_sel:DWORD dst_unused:UNUSED_PAD src0_sel:DWORD src1_sel:BYTE_2
	global_load_dwordx2 v[31:32], v31, s[12:13]
	v_bfe_u32 v36, v34, 14, 8
	v_bcnt_u32_b32 v38, v36, 0
	v_and_b32_e32 v38, 1, v38
	v_lshlrev_b32_e32 v38, 7, v38
	v_xor_b32_e32 v36, v38, v36
	v_mul_lo_u32 v36, v36, s17
	v_lshlrev_b32_sdwa v33, v26, v33 dst_sel:DWORD dst_unused:UNUSED_PAD src0_sel:DWORD src1_sel:BYTE_3
	v_and_b32_e32 v38, 0x8040201, v36
	v_cmp_ne_u16_sdwa s[22:23], v38, v23 src0_sel:BYTE_3 src1_sel:DWORD
	v_cmp_ne_u16_sdwa s[24:25], v38, v23 src0_sel:BYTE_1 src1_sel:DWORD
	v_lshrrev_b32_e32 v40, 18, v36
	v_cndmask_b32_e64 v41, 0, -1, s[24:25]
	v_cndmask_b32_e64 v43, 0, -1, s[22:23]
	v_bfe_i32 v38, v36, 0, 1
	v_lshlrev_b16_e32 v41, 8, v41
	v_bfe_i32 v40, v40, 0, 1
	v_lshlrev_b16_e32 v43, 8, v43
	v_or_b32_sdwa v42, v38, v41 dst_sel:DWORD dst_unused:UNUSED_PAD src0_sel:BYTE_0 src1_sel:DWORD
	v_or_b32_sdwa v44, v40, v43 dst_sel:WORD_1 dst_unused:UNUSED_PAD src0_sel:BYTE_0 src1_sel:DWORD
	v_or_b32_sdwa v42, v42, v44 dst_sel:DWORD dst_unused:UNUSED_PAD src0_sel:WORD_0 src1_sel:DWORD
	v_lshlrev_b16_e32 v38, 8, v38
	v_lshlrev_b16_e32 v40, 8, v40
	s_waitcnt vmcnt(0)
	v_xor_b32_e32 v31, v31, v42
	v_and_b32_e32 v42, 0xffffff00, v31
	v_sub_i16 v41, v42, v41 clamp
	v_lshlrev_b16_e32 v42, 8, v31
	v_sub_i16 v38, v42, v38 clamp
	v_perm_b32 v38, v38, v41, s20
	v_and_b32_sdwa v41, v31, s19 dst_sel:DWORD dst_unused:UNUSED_PAD src0_sel:WORD_1 src1_sel:DWORD
	v_lshlrev_b16_sdwa v31, v27, v31 dst_sel:DWORD dst_unused:UNUSED_PAD src0_sel:DWORD src1_sel:WORD_1
	v_sub_i16 v41, v41, v43 clamp
	v_sub_i16 v31, v31, v40 clamp
	v_perm_b32 v31, v31, v41, s20
	v_lshl_or_b32 v31, v31, 16, v38
	v_and_b32_e32 v38, 0x80402010, v36
	v_cmp_ne_u16_sdwa s[22:23], v38, v23 src0_sel:BYTE_3 src1_sel:DWORD
	v_cmp_ne_u16_sdwa s[24:25], v38, v23 src0_sel:BYTE_1 src1_sel:DWORD
	v_lshrrev_b32_e32 v36, 22, v36
	v_lshrrev_b16_e32 v38, 4, v38
	v_cndmask_b32_e64 v40, 0, -1, s[24:25]
	v_cndmask_b32_e64 v42, 0, -1, s[22:23]
	v_bfe_i32 v38, v38, 0, 1
	v_lshlrev_b16_e32 v40, 8, v40
	v_bfe_i32 v36, v36, 0, 1
	v_lshlrev_b16_e32 v42, 8, v42
	v_or_b32_sdwa v41, v38, v40 dst_sel:DWORD dst_unused:UNUSED_PAD src0_sel:BYTE_0 src1_sel:DWORD
	v_or_b32_sdwa v43, v36, v42 dst_sel:WORD_1 dst_unused:UNUSED_PAD src0_sel:BYTE_0 src1_sel:DWORD
	v_or_b32_sdwa v41, v41, v43 dst_sel:DWORD dst_unused:UNUSED_PAD src0_sel:WORD_0 src1_sel:DWORD
	v_xor_b32_e32 v32, v32, v41
	v_and_b32_e32 v41, 0xffffff00, v32
	v_sub_i16 v40, v41, v40 clamp
	v_lshlrev_b16_e32 v41, 8, v32
	v_lshlrev_b16_e32 v38, 8, v38
	v_sub_i16 v38, v41, v38 clamp
	v_perm_b32 v38, v38, v40, s20
	v_and_b32_sdwa v40, v32, s19 dst_sel:DWORD dst_unused:UNUSED_PAD src0_sel:WORD_1 src1_sel:DWORD
	v_lshlrev_b16_sdwa v32, v27, v32 dst_sel:DWORD dst_unused:UNUSED_PAD src0_sel:DWORD src1_sel:WORD_1
	v_lshlrev_b16_e32 v36, 8, v36
	v_sub_i16 v40, v40, v42 clamp
	v_sub_i16 v32, v32, v36 clamp
	v_perm_b32 v32, v32, v40, s20
	v_dot4_i32_i8 v35, v31, v3, v35
	v_lshl_or_b32 v32, v32, 16, v38
	v_dot4_i32_i8 v38, v32, v4, v35
	global_load_dwordx2 v[35:36], v33, s[12:13]
	v_bfe_u32 v33, v34, 21, 8
	v_bcnt_u32_b32 v40, v33, 0
	v_and_b32_e32 v40, 1, v40
	v_lshlrev_b32_e32 v40, 7, v40
	v_xor_b32_e32 v33, v40, v33
	v_mul_lo_u32 v40, v33, s17
	v_lshrrev_b32_e32 v34, 27, v34
	v_and_b32_e32 v33, 0x8040201, v40
	v_cmp_ne_u16_sdwa s[22:23], v33, v23 src0_sel:BYTE_3 src1_sel:DWORD
	v_cmp_ne_u16_sdwa s[24:25], v33, v23 src0_sel:BYTE_1 src1_sel:DWORD
	v_lshrrev_b32_e32 v41, 18, v40
	v_cndmask_b32_e64 v42, 0, -1, s[24:25]
	v_cndmask_b32_e64 v44, 0, -1, s[22:23]
	v_bfe_i32 v33, v40, 0, 1
	v_lshlrev_b16_e32 v42, 8, v42
	v_bfe_i32 v41, v41, 0, 1
	v_lshlrev_b16_e32 v44, 8, v44
	v_or_b32_sdwa v43, v33, v42 dst_sel:DWORD dst_unused:UNUSED_PAD src0_sel:BYTE_0 src1_sel:DWORD
	v_or_b32_sdwa v45, v41, v44 dst_sel:WORD_1 dst_unused:UNUSED_PAD src0_sel:BYTE_0 src1_sel:DWORD
	v_or_b32_sdwa v43, v43, v45 dst_sel:DWORD dst_unused:UNUSED_PAD src0_sel:WORD_0 src1_sel:DWORD
	v_lshlrev_b16_e32 v33, 8, v33
	v_lshlrev_b16_e32 v41, 8, v41
	s_waitcnt vmcnt(0)
	v_xor_b32_e32 v35, v35, v43
	v_and_b32_e32 v43, 0xffffff00, v35
	v_sub_i16 v42, v43, v42 clamp
	v_lshlrev_b16_e32 v43, 8, v35
	v_sub_i16 v33, v43, v33 clamp
	v_perm_b32 v33, v33, v42, s20
	v_and_b32_sdwa v42, v35, s19 dst_sel:DWORD dst_unused:UNUSED_PAD src0_sel:WORD_1 src1_sel:DWORD
	v_lshlrev_b16_sdwa v35, v27, v35 dst_sel:DWORD dst_unused:UNUSED_PAD src0_sel:DWORD src1_sel:WORD_1
	v_sub_i16 v42, v42, v44 clamp
	v_sub_i16 v35, v35, v41 clamp
	v_perm_b32 v35, v35, v42, s20
	v_lshl_or_b32 v33, v35, 16, v33
	v_and_b32_e32 v35, 0x80402010, v40
	v_cmp_ne_u16_sdwa s[22:23], v35, v23 src0_sel:BYTE_3 src1_sel:DWORD
	v_cmp_ne_u16_sdwa s[24:25], v35, v23 src0_sel:BYTE_1 src1_sel:DWORD
	v_lshrrev_b32_e32 v40, 22, v40
	v_lshrrev_b16_e32 v35, 4, v35
	v_cndmask_b32_e64 v41, 0, -1, s[24:25]
	v_cndmask_b32_e64 v43, 0, -1, s[22:23]
	v_bfe_i32 v35, v35, 0, 1
	v_lshlrev_b16_e32 v41, 8, v41
	v_bfe_i32 v40, v40, 0, 1
	v_lshlrev_b16_e32 v43, 8, v43
	v_or_b32_sdwa v42, v35, v41 dst_sel:DWORD dst_unused:UNUSED_PAD src0_sel:BYTE_0 src1_sel:DWORD
	v_or_b32_sdwa v44, v40, v43 dst_sel:WORD_1 dst_unused:UNUSED_PAD src0_sel:BYTE_0 src1_sel:DWORD
	v_or_b32_sdwa v42, v42, v44 dst_sel:DWORD dst_unused:UNUSED_PAD src0_sel:WORD_0 src1_sel:DWORD
	v_xor_b32_e32 v36, v36, v42
	v_and_b32_e32 v42, 0xffffff00, v36
	v_sub_i16 v41, v42, v41 clamp
	v_lshlrev_b16_e32 v42, 8, v36
	v_lshlrev_b16_e32 v35, 8, v35
	v_sub_i16 v35, v42, v35 clamp
	v_perm_b32 v35, v35, v41, s20
	v_and_b32_sdwa v41, v36, s19 dst_sel:DWORD dst_unused:UNUSED_PAD src0_sel:WORD_1 src1_sel:DWORD
	v_lshlrev_b16_sdwa v36, v27, v36 dst_sel:DWORD dst_unused:UNUSED_PAD src0_sel:DWORD src1_sel:WORD_1
	v_lshlrev_b16_e32 v40, 8, v40
	v_sub_i16 v41, v41, v43 clamp
	v_sub_i16 v36, v36, v40 clamp
	v_perm_b32 v36, v36, v41, s20
	v_dot4_i32_i8 v38, v33, v5, v38
	v_lshl_or_b32 v35, v36, 16, v35
	v_dot4_i32_i8 v38, v35, v39, v38
	v_or_b32_e32 v36, 1, v34
	v_mul_lo_u32 v34, v38, v36
	v_ashrrev_i32_e32 v38, 31, v34
	v_lshrrev_b32_e32 v38, 29, v38
	v_add_u32_e32 v34, v34, v38
	v_ashrrev_i32_e32 v38, 3, v34
	v_cvt_f32_f16_e32 v34, v16
	v_cvt_f32_i32_e32 v17, v38
	v_mul_f32_e32 v16, v34, v37
	v_fmac_f32_e32 v21, v16, v17
	v_add_u32_e32 v16, s15, v22
	v_mad_i64_i32 v[16:17], s[22:23], v16, s16, v[14:15]
	v_add_u32_e32 v22, 16, v22
	v_add_co_u32_e32 v40, vcc, v16, v25
	v_addc_co_u32_e32 v41, vcc, 0, v17, vcc
	global_load_dwordx2 v[40:41], v[40:41], off offset:2
	v_add_co_u32_e32 v12, vcc, 0x1200, v12
	global_load_ushort v16, v[16:17], off
	v_addc_co_u32_e32 v13, vcc, 0, v13, vcc
	v_cmp_le_u32_e32 vcc, s9, v22
	s_or_b64 s[0:1], vcc, s[0:1]
	s_waitcnt vmcnt(1)
	v_lshlrev_b32_sdwa v38, v26, v40 dst_sel:DWORD dst_unused:UNUSED_PAD src0_sel:DWORD src1_sel:BYTE_0
	global_load_dwordx2 v[42:43], v38, s[12:13]
	v_and_b32_e32 v38, 0xff, v41
	v_bcnt_u32_b32 v44, v38, 0
	v_and_b32_e32 v44, 1, v44
	v_lshlrev_b32_e32 v44, 7, v44
	v_xor_b32_e32 v38, v44, v38
	v_mul_lo_u32 v44, v38, s17
	s_waitcnt vmcnt(1)
	v_cvt_f32_f16_e32 v16, v16
	v_and_b32_e32 v38, 0x8040201, v44
	v_cmp_ne_u16_sdwa s[22:23], v38, v23 src0_sel:BYTE_3 src1_sel:DWORD
	v_cmp_ne_u16_sdwa s[24:25], v38, v23 src0_sel:BYTE_1 src1_sel:DWORD
	v_lshrrev_b32_e32 v45, 18, v44
	v_cndmask_b32_e64 v46, 0, -1, s[24:25]
	v_cndmask_b32_e64 v48, 0, -1, s[22:23]
	v_bfe_i32 v38, v44, 0, 1
	v_lshlrev_b16_e32 v46, 8, v46
	v_bfe_i32 v45, v45, 0, 1
	v_lshlrev_b16_e32 v48, 8, v48
	v_or_b32_sdwa v47, v38, v46 dst_sel:DWORD dst_unused:UNUSED_PAD src0_sel:BYTE_0 src1_sel:DWORD
	v_or_b32_sdwa v49, v45, v48 dst_sel:WORD_1 dst_unused:UNUSED_PAD src0_sel:BYTE_0 src1_sel:DWORD
	v_or_b32_sdwa v47, v47, v49 dst_sel:DWORD dst_unused:UNUSED_PAD src0_sel:WORD_0 src1_sel:DWORD
	v_lshlrev_b16_e32 v38, 8, v38
	v_lshlrev_b16_e32 v45, 8, v45
	v_mul_f32_e32 v17, v16, v37
	s_waitcnt vmcnt(0)
	v_xor_b32_e32 v42, v42, v47
	v_and_b32_e32 v47, 0xffffff00, v42
	v_sub_i16 v46, v47, v46 clamp
	v_lshlrev_b16_e32 v47, 8, v42
	v_sub_i16 v38, v47, v38 clamp
	v_perm_b32 v38, v38, v46, s20
	v_and_b32_sdwa v46, v42, s19 dst_sel:DWORD dst_unused:UNUSED_PAD src0_sel:WORD_1 src1_sel:DWORD
	v_lshlrev_b16_sdwa v42, v27, v42 dst_sel:DWORD dst_unused:UNUSED_PAD src0_sel:DWORD src1_sel:WORD_1
	v_sub_i16 v46, v46, v48 clamp
	v_sub_i16 v42, v42, v45 clamp
	v_perm_b32 v42, v42, v46, s20
	v_lshl_or_b32 v38, v42, 16, v38
	v_dot4_i32_i8 v42, v38, v7, 0
	v_and_b32_e32 v7, 0x80402010, v44
	v_cmp_ne_u16_sdwa s[22:23], v7, v23 src0_sel:BYTE_3 src1_sel:DWORD
	v_cmp_ne_u16_sdwa s[24:25], v7, v23 src0_sel:BYTE_1 src1_sel:DWORD
	v_lshrrev_b32_e32 v44, 22, v44
	v_lshrrev_b16_e32 v7, 4, v7
	v_cndmask_b32_e64 v45, 0, -1, s[24:25]
	v_cndmask_b32_e64 v47, 0, -1, s[22:23]
	v_bfe_i32 v7, v7, 0, 1
	v_lshlrev_b16_e32 v45, 8, v45
	v_bfe_i32 v44, v44, 0, 1
	v_lshlrev_b16_e32 v47, 8, v47
	v_or_b32_sdwa v46, v7, v45 dst_sel:DWORD dst_unused:UNUSED_PAD src0_sel:BYTE_0 src1_sel:DWORD
	v_or_b32_sdwa v48, v44, v47 dst_sel:WORD_1 dst_unused:UNUSED_PAD src0_sel:BYTE_0 src1_sel:DWORD
	v_or_b32_sdwa v46, v46, v48 dst_sel:DWORD dst_unused:UNUSED_PAD src0_sel:WORD_0 src1_sel:DWORD
	v_xor_b32_e32 v43, v43, v46
	v_and_b32_e32 v46, 0xffffff00, v43
	v_sub_i16 v45, v46, v45 clamp
	v_lshlrev_b16_e32 v46, 8, v43
	v_lshlrev_b16_e32 v7, 8, v7
	v_sub_i16 v7, v46, v7 clamp
	v_perm_b32 v7, v7, v45, s20
	v_and_b32_sdwa v45, v43, s19 dst_sel:DWORD dst_unused:UNUSED_PAD src0_sel:WORD_1 src1_sel:DWORD
	v_lshlrev_b16_sdwa v43, v27, v43 dst_sel:DWORD dst_unused:UNUSED_PAD src0_sel:DWORD src1_sel:WORD_1
	v_lshlrev_b16_e32 v44, 8, v44
	v_sub_i16 v45, v45, v47 clamp
	v_sub_i16 v43, v43, v44 clamp
	v_perm_b32 v43, v43, v45, s20
	v_lshl_or_b32 v7, v43, 16, v7
	v_dot4_i32_i8 v44, v7, v8, v42
	v_lshlrev_b32_sdwa v8, v26, v40 dst_sel:DWORD dst_unused:UNUSED_PAD src0_sel:DWORD src1_sel:BYTE_1
	global_load_dwordx2 v[42:43], v8, s[12:13]
	v_bfe_u32 v8, v41, 7, 8
	v_bcnt_u32_b32 v45, v8, 0
	v_and_b32_e32 v45, 1, v45
	v_lshlrev_b32_e32 v45, 7, v45
	v_xor_b32_e32 v8, v45, v8
	v_mul_lo_u32 v45, v8, s17
	v_and_b32_e32 v8, 0x8040201, v45
	v_cmp_ne_u16_sdwa s[22:23], v8, v23 src0_sel:BYTE_3 src1_sel:DWORD
	v_cmp_ne_u16_sdwa s[24:25], v8, v23 src0_sel:BYTE_1 src1_sel:DWORD
	v_lshrrev_b32_e32 v46, 18, v45
	v_cndmask_b32_e64 v47, 0, -1, s[24:25]
	v_cndmask_b32_e64 v49, 0, -1, s[22:23]
	v_bfe_i32 v8, v45, 0, 1
	v_lshlrev_b16_e32 v47, 8, v47
	v_bfe_i32 v46, v46, 0, 1
	v_lshlrev_b16_e32 v49, 8, v49
	v_or_b32_sdwa v48, v8, v47 dst_sel:DWORD dst_unused:UNUSED_PAD src0_sel:BYTE_0 src1_sel:DWORD
	v_or_b32_sdwa v50, v46, v49 dst_sel:WORD_1 dst_unused:UNUSED_PAD src0_sel:BYTE_0 src1_sel:DWORD
	v_or_b32_sdwa v48, v48, v50 dst_sel:DWORD dst_unused:UNUSED_PAD src0_sel:WORD_0 src1_sel:DWORD
	v_lshlrev_b16_e32 v8, 8, v8
	v_lshlrev_b16_e32 v46, 8, v46
	s_waitcnt vmcnt(0)
	v_xor_b32_e32 v42, v42, v48
	v_and_b32_e32 v48, 0xffffff00, v42
	v_sub_i16 v47, v48, v47 clamp
	v_lshlrev_b16_e32 v48, 8, v42
	v_sub_i16 v8, v48, v8 clamp
	v_perm_b32 v8, v8, v47, s20
	v_and_b32_sdwa v47, v42, s19 dst_sel:DWORD dst_unused:UNUSED_PAD src0_sel:WORD_1 src1_sel:DWORD
	v_lshlrev_b16_sdwa v42, v27, v42 dst_sel:DWORD dst_unused:UNUSED_PAD src0_sel:DWORD src1_sel:WORD_1
	v_sub_i16 v47, v47, v49 clamp
	v_sub_i16 v42, v42, v46 clamp
	v_perm_b32 v42, v42, v47, s20
	v_lshl_or_b32 v8, v42, 16, v8
	v_dot4_i32_i8 v42, v8, v9, v44
	v_and_b32_e32 v9, 0x80402010, v45
	v_cmp_ne_u16_sdwa s[22:23], v9, v23 src0_sel:BYTE_3 src1_sel:DWORD
	v_cmp_ne_u16_sdwa s[24:25], v9, v23 src0_sel:BYTE_1 src1_sel:DWORD
	v_lshrrev_b32_e32 v44, 22, v45
	v_lshrrev_b16_e32 v9, 4, v9
	v_cndmask_b32_e64 v45, 0, -1, s[24:25]
	v_cndmask_b32_e64 v47, 0, -1, s[22:23]
	v_bfe_i32 v9, v9, 0, 1
	v_lshlrev_b16_e32 v45, 8, v45
	v_bfe_i32 v44, v44, 0, 1
	v_lshlrev_b16_e32 v47, 8, v47
	v_or_b32_sdwa v46, v9, v45 dst_sel:DWORD dst_unused:UNUSED_PAD src0_sel:BYTE_0 src1_sel:DWORD
	v_or_b32_sdwa v48, v44, v47 dst_sel:WORD_1 dst_unused:UNUSED_PAD src0_sel:BYTE_0 src1_sel:DWORD
	v_or_b32_sdwa v46, v46, v48 dst_sel:DWORD dst_unused:UNUSED_PAD src0_sel:WORD_0 src1_sel:DWORD
	v_xor_b32_e32 v43, v43, v46
	v_and_b32_e32 v46, 0xffffff00, v43
	v_sub_i16 v45, v46, v45 clamp
	v_lshlrev_b16_e32 v46, 8, v43
	v_lshlrev_b16_e32 v9, 8, v9
	v_sub_i16 v9, v46, v9 clamp
	v_perm_b32 v9, v9, v45, s20
	v_and_b32_sdwa v45, v43, s19 dst_sel:DWORD dst_unused:UNUSED_PAD src0_sel:WORD_1 src1_sel:DWORD
	v_lshlrev_b16_sdwa v43, v27, v43 dst_sel:DWORD dst_unused:UNUSED_PAD src0_sel:DWORD src1_sel:WORD_1
	v_lshlrev_b16_e32 v44, 8, v44
	v_sub_i16 v45, v45, v47 clamp
	v_sub_i16 v43, v43, v44 clamp
	v_perm_b32 v43, v43, v45, s20
	v_lshl_or_b32 v9, v43, 16, v9
	v_dot4_i32_i8 v44, v9, v2, v42
	v_lshlrev_b32_sdwa v2, v26, v40 dst_sel:DWORD dst_unused:UNUSED_PAD src0_sel:DWORD src1_sel:BYTE_2
	global_load_dwordx2 v[42:43], v2, s[12:13]
	v_bfe_u32 v2, v41, 14, 8
	v_bcnt_u32_b32 v45, v2, 0
	v_and_b32_e32 v45, 1, v45
	v_lshlrev_b32_e32 v45, 7, v45
	v_xor_b32_e32 v2, v45, v2
	v_mul_lo_u32 v45, v2, s17
	v_and_b32_e32 v2, 0x8040201, v45
	v_cmp_ne_u16_sdwa s[22:23], v2, v23 src0_sel:BYTE_3 src1_sel:DWORD
	v_cmp_ne_u16_sdwa s[24:25], v2, v23 src0_sel:BYTE_1 src1_sel:DWORD
	v_lshrrev_b32_e32 v46, 18, v45
	v_cndmask_b32_e64 v47, 0, -1, s[24:25]
	v_cndmask_b32_e64 v49, 0, -1, s[22:23]
	v_bfe_i32 v2, v45, 0, 1
	v_lshlrev_b16_e32 v47, 8, v47
	v_bfe_i32 v46, v46, 0, 1
	v_lshlrev_b16_e32 v49, 8, v49
	v_or_b32_sdwa v48, v2, v47 dst_sel:DWORD dst_unused:UNUSED_PAD src0_sel:BYTE_0 src1_sel:DWORD
	v_or_b32_sdwa v50, v46, v49 dst_sel:WORD_1 dst_unused:UNUSED_PAD src0_sel:BYTE_0 src1_sel:DWORD
	v_or_b32_sdwa v48, v48, v50 dst_sel:DWORD dst_unused:UNUSED_PAD src0_sel:WORD_0 src1_sel:DWORD
	v_lshlrev_b16_e32 v2, 8, v2
	v_lshlrev_b16_e32 v46, 8, v46
	s_waitcnt vmcnt(0)
	v_xor_b32_e32 v42, v42, v48
	v_and_b32_e32 v48, 0xffffff00, v42
	v_sub_i16 v47, v48, v47 clamp
	v_lshlrev_b16_e32 v48, 8, v42
	v_sub_i16 v2, v48, v2 clamp
	v_perm_b32 v2, v2, v47, s20
	v_and_b32_sdwa v47, v42, s19 dst_sel:DWORD dst_unused:UNUSED_PAD src0_sel:WORD_1 src1_sel:DWORD
	v_lshlrev_b16_sdwa v42, v27, v42 dst_sel:DWORD dst_unused:UNUSED_PAD src0_sel:DWORD src1_sel:WORD_1
	v_sub_i16 v47, v47, v49 clamp
	v_sub_i16 v42, v42, v46 clamp
	v_perm_b32 v42, v42, v47, s20
	v_lshl_or_b32 v2, v42, 16, v2
	v_dot4_i32_i8 v42, v2, v3, v44
	v_and_b32_e32 v3, 0x80402010, v45
	v_cmp_ne_u16_sdwa s[22:23], v3, v23 src0_sel:BYTE_3 src1_sel:DWORD
	v_cmp_ne_u16_sdwa s[24:25], v3, v23 src0_sel:BYTE_1 src1_sel:DWORD
	v_lshrrev_b32_e32 v44, 22, v45
	v_lshrrev_b16_e32 v3, 4, v3
	v_cndmask_b32_e64 v45, 0, -1, s[24:25]
	v_cndmask_b32_e64 v47, 0, -1, s[22:23]
	v_bfe_i32 v3, v3, 0, 1
	v_lshlrev_b16_e32 v45, 8, v45
	v_bfe_i32 v44, v44, 0, 1
	v_lshlrev_b16_e32 v47, 8, v47
	v_or_b32_sdwa v46, v3, v45 dst_sel:DWORD dst_unused:UNUSED_PAD src0_sel:BYTE_0 src1_sel:DWORD
	v_or_b32_sdwa v48, v44, v47 dst_sel:WORD_1 dst_unused:UNUSED_PAD src0_sel:BYTE_0 src1_sel:DWORD
	v_or_b32_sdwa v46, v46, v48 dst_sel:DWORD dst_unused:UNUSED_PAD src0_sel:WORD_0 src1_sel:DWORD
	v_xor_b32_e32 v43, v43, v46
	v_and_b32_e32 v46, 0xffffff00, v43
	v_sub_i16 v45, v46, v45 clamp
	v_lshlrev_b16_e32 v46, 8, v43
	v_lshlrev_b16_e32 v3, 8, v3
	v_sub_i16 v3, v46, v3 clamp
	v_perm_b32 v3, v3, v45, s20
	v_and_b32_sdwa v45, v43, s19 dst_sel:DWORD dst_unused:UNUSED_PAD src0_sel:WORD_1 src1_sel:DWORD
	v_lshlrev_b16_sdwa v43, v27, v43 dst_sel:DWORD dst_unused:UNUSED_PAD src0_sel:DWORD src1_sel:WORD_1
	v_lshlrev_b16_e32 v44, 8, v44
	v_sub_i16 v45, v45, v47 clamp
	v_sub_i16 v43, v43, v44 clamp
	v_perm_b32 v43, v43, v45, s20
	v_lshl_or_b32 v3, v43, 16, v3
	v_dot4_i32_i8 v44, v3, v4, v42
	v_lshlrev_b32_sdwa v4, v26, v40 dst_sel:DWORD dst_unused:UNUSED_PAD src0_sel:DWORD src1_sel:BYTE_3
	global_load_dwordx2 v[42:43], v4, s[12:13]
	v_bfe_u32 v4, v41, 21, 8
	v_bcnt_u32_b32 v40, v4, 0
	v_and_b32_e32 v40, 1, v40
	v_lshlrev_b32_e32 v40, 7, v40
	v_xor_b32_e32 v4, v40, v4
	v_mul_lo_u32 v40, v4, s17
	v_and_b32_e32 v4, 0x8040201, v40
	v_cmp_ne_u16_sdwa s[12:13], v4, v23 src0_sel:BYTE_3 src1_sel:DWORD
	v_cmp_ne_u16_sdwa s[22:23], v4, v23 src0_sel:BYTE_1 src1_sel:DWORD
	v_lshrrev_b32_e32 v45, 18, v40
	v_cndmask_b32_e64 v46, 0, -1, s[22:23]
	v_cndmask_b32_e64 v48, 0, -1, s[12:13]
	v_bfe_i32 v4, v40, 0, 1
	v_lshlrev_b16_e32 v46, 8, v46
	v_bfe_i32 v45, v45, 0, 1
	v_lshlrev_b16_e32 v48, 8, v48
	v_or_b32_sdwa v47, v4, v46 dst_sel:DWORD dst_unused:UNUSED_PAD src0_sel:BYTE_0 src1_sel:DWORD
	v_or_b32_sdwa v49, v45, v48 dst_sel:WORD_1 dst_unused:UNUSED_PAD src0_sel:BYTE_0 src1_sel:DWORD
	v_or_b32_sdwa v47, v47, v49 dst_sel:DWORD dst_unused:UNUSED_PAD src0_sel:WORD_0 src1_sel:DWORD
	v_lshlrev_b16_e32 v4, 8, v4
	v_lshlrev_b16_e32 v45, 8, v45
	s_waitcnt vmcnt(0)
	v_xor_b32_e32 v42, v42, v47
	v_and_b32_e32 v47, 0xffffff00, v42
	v_sub_i16 v46, v47, v46 clamp
	v_lshlrev_b16_e32 v47, 8, v42
	v_sub_i16 v4, v47, v4 clamp
	v_perm_b32 v4, v4, v46, s20
	v_and_b32_sdwa v46, v42, s19 dst_sel:DWORD dst_unused:UNUSED_PAD src0_sel:WORD_1 src1_sel:DWORD
	v_lshlrev_b16_sdwa v42, v27, v42 dst_sel:DWORD dst_unused:UNUSED_PAD src0_sel:DWORD src1_sel:WORD_1
	v_sub_i16 v46, v46, v48 clamp
	v_sub_i16 v42, v42, v45 clamp
	v_perm_b32 v42, v42, v46, s20
	v_lshl_or_b32 v4, v42, 16, v4
	v_dot4_i32_i8 v42, v4, v5, v44
	v_and_b32_e32 v5, 0x80402010, v40
	v_cmp_ne_u16_sdwa s[12:13], v5, v23 src0_sel:BYTE_3 src1_sel:DWORD
	v_cmp_ne_u16_sdwa s[22:23], v5, v23 src0_sel:BYTE_1 src1_sel:DWORD
	v_lshrrev_b32_e32 v40, 22, v40
	v_lshrrev_b16_e32 v5, 4, v5
	v_cndmask_b32_e64 v44, 0, -1, s[22:23]
	v_cndmask_b32_e64 v46, 0, -1, s[12:13]
	v_bfe_i32 v5, v5, 0, 1
	v_lshlrev_b16_e32 v44, 8, v44
	v_bfe_i32 v40, v40, 0, 1
	v_lshlrev_b16_e32 v46, 8, v46
	v_or_b32_sdwa v45, v5, v44 dst_sel:DWORD dst_unused:UNUSED_PAD src0_sel:BYTE_0 src1_sel:DWORD
	v_or_b32_sdwa v47, v40, v46 dst_sel:WORD_1 dst_unused:UNUSED_PAD src0_sel:BYTE_0 src1_sel:DWORD
	v_or_b32_sdwa v45, v45, v47 dst_sel:DWORD dst_unused:UNUSED_PAD src0_sel:WORD_0 src1_sel:DWORD
	v_xor_b32_e32 v43, v43, v45
	v_and_b32_e32 v45, 0xffffff00, v43
	v_sub_i16 v44, v45, v44 clamp
	v_lshlrev_b16_e32 v45, 8, v43
	v_lshlrev_b16_e32 v5, 8, v5
	v_sub_i16 v5, v45, v5 clamp
	v_perm_b32 v5, v5, v44, s20
	v_and_b32_sdwa v44, v43, s19 dst_sel:DWORD dst_unused:UNUSED_PAD src0_sel:WORD_1 src1_sel:DWORD
	v_lshlrev_b16_sdwa v43, v27, v43 dst_sel:DWORD dst_unused:UNUSED_PAD src0_sel:DWORD src1_sel:WORD_1
	v_lshlrev_b16_e32 v40, 8, v40
	v_sub_i16 v44, v44, v46 clamp
	v_sub_i16 v40, v43, v40 clamp
	v_perm_b32 v40, v40, v44, s20
	v_lshl_or_b32 v5, v40, 16, v5
	v_dot4_i32_i8 v40, v5, v39, v42
	v_lshrrev_b32_e32 v39, 27, v41
	v_or_b32_e32 v39, 1, v39
	v_mul_lo_u32 v40, v40, v39
	v_mad_u64_u32 v[48:49], s[12:13], v24, 36, v[10:11]
	v_add_u32_e32 v24, 0x80, v24
	v_ashrrev_i32_e32 v41, 31, v40
	v_lshrrev_b32_e32 v41, 29, v41
	v_add_u32_e32 v40, v40, v41
	v_ashrrev_i32_e32 v40, 3, v40
	v_cvt_f32_i32_e32 v37, v40
	v_fmac_f32_e32 v20, v17, v37
	global_load_dword v17, v[48:49], off offset:32
	global_load_dwordx4 v[40:43], v[48:49], off offset:16
	global_load_dwordx4 v[44:47], v[48:49], off
	s_waitcnt vmcnt(0)
	v_dot4_i32_i8 v6, v6, v45, 0
	v_dot4_i32_i8 v6, v28, v46, v6
	;; [unrolled: 1-line block ×8, first 2 shown]
	v_mul_lo_u32 v6, v6, v36
	v_cvt_f32_f16_e32 v37, v44
	v_ashrrev_i32_e32 v28, 31, v6
	v_lshrrev_b32_e32 v28, 29, v28
	v_add_u32_e32 v6, v6, v28
	v_ashrrev_i32_e32 v6, 3, v6
	v_cvt_f32_i32_e32 v6, v6
	v_mul_f32_e32 v28, v34, v37
	v_fmac_f32_e32 v19, v28, v6
	v_dot4_i32_i8 v6, v38, v45, 0
	v_dot4_i32_i8 v6, v7, v46, v6
	;; [unrolled: 1-line block ×8, first 2 shown]
	v_mul_lo_u32 v2, v2, v39
	v_ashrrev_i32_e32 v3, 31, v2
	v_lshrrev_b32_e32 v3, 29, v3
	v_add_u32_e32 v2, v2, v3
	v_ashrrev_i32_e32 v2, 3, v2
	v_cvt_f32_i32_e32 v2, v2
	v_mul_f32_e32 v3, v16, v37
	v_fmac_f32_e32 v18, v3, v2
	s_andn2_b64 exec, exec, s[0:1]
	s_cbranch_execnz .LBB161_2
; %bb.3:
	s_or_b64 exec, exec, s[0:1]
.LBB161_4:
	s_or_b64 exec, exec, s[10:11]
	v_cmp_eq_u32_e32 vcc, 0, v1
	v_cmp_ne_u32_e64 s[0:1], 0, v1
	v_lshlrev_b32_e32 v2, 2, v0
	s_and_saveexec_b64 s[10:11], s[0:1]
	s_cbranch_execz .LBB161_6
; %bb.5:
	v_lshl_or_b32 v1, v1, 10, v2
	v_add_u32_e32 v1, 0xfffffc00, v1
	ds_write2st64_b32 v1, v21, v20 offset1:1
	ds_write2st64_b32 v1, v19, v18 offset0:2 offset1:3
.LBB161_6:
	s_or_b64 exec, exec, s[10:11]
	s_waitcnt lgkmcnt(0)
	s_barrier
	s_and_saveexec_b64 s[0:1], vcc
	s_cbranch_execz .LBB161_11
; %bb.7:
	v_mbcnt_lo_u32_b32 v1, -1, 0
	v_mbcnt_hi_u32_b32 v7, -1, v1
	ds_read2st64_b32 v[5:6], v2 offset1:1
	v_and_b32_e32 v1, 64, v7
	v_add_u32_e32 v8, 64, v1
	v_xor_b32_e32 v1, 32, v7
	v_cmp_lt_i32_e32 vcc, v1, v8
	v_cndmask_b32_e32 v1, v7, v1, vcc
	v_lshlrev_b32_e32 v1, 2, v1
	s_waitcnt lgkmcnt(0)
	v_add_f32_e32 v10, v5, v21
	v_add_f32_e32 v6, v6, v20
	ds_bpermute_b32 v11, v1, v10
	ds_bpermute_b32 v12, v1, v6
	v_xor_b32_e32 v3, 16, v7
	v_cmp_lt_i32_e32 vcc, v3, v8
	v_cndmask_b32_e32 v3, v7, v3, vcc
	v_lshlrev_b32_e32 v3, 2, v3
	s_waitcnt lgkmcnt(1)
	v_add_f32_e32 v10, v10, v11
	s_waitcnt lgkmcnt(0)
	v_add_f32_e32 v6, v6, v12
	ds_bpermute_b32 v11, v3, v10
	ds_bpermute_b32 v12, v3, v6
	v_xor_b32_e32 v4, 8, v7
	v_cmp_lt_i32_e32 vcc, v4, v8
	v_cndmask_b32_e32 v4, v7, v4, vcc
	v_lshlrev_b32_e32 v4, 2, v4
	s_waitcnt lgkmcnt(1)
	v_add_f32_e32 v10, v10, v11
	s_waitcnt lgkmcnt(0)
	;; [unrolled: 10-line block ×3, first 2 shown]
	v_add_f32_e32 v12, v12, v13
	ds_bpermute_b32 v11, v5, v10
	ds_bpermute_b32 v13, v5, v12
	v_xor_b32_e32 v9, 2, v7
	v_cmp_lt_i32_e32 vcc, v9, v8
	v_cndmask_b32_e32 v9, v7, v9, vcc
	v_lshlrev_b32_e32 v6, 2, v9
	v_xor_b32_e32 v9, 1, v7
	v_cmp_lt_i32_e32 vcc, v9, v8
	s_waitcnt lgkmcnt(1)
	v_add_f32_e32 v8, v10, v11
	s_waitcnt lgkmcnt(0)
	v_add_f32_e32 v11, v12, v13
	ds_bpermute_b32 v10, v6, v8
	ds_bpermute_b32 v12, v6, v11
	s_load_dwordx2 s[0:1], s[4:5], 0x38
	v_cndmask_b32_e32 v7, v7, v9, vcc
	s_mul_i32 s4, s14, s7
	v_lshlrev_b32_e32 v9, 2, v7
	s_waitcnt lgkmcnt(0)
	v_add_f32_e32 v7, v8, v10
	v_add_f32_e32 v10, v11, v12
	s_mul_i32 s3, s18, s8
	s_add_i32 s4, s4, s6
	ds_bpermute_b32 v8, v9, v7
	ds_bpermute_b32 v11, v9, v10
	s_add_i32 s4, s4, s3
	s_mov_b32 s5, 0
	s_lshl_b64 s[4:5], s[4:5], 2
	s_add_u32 s4, s0, s4
	v_add_u32_e32 v12, s6, v0
	s_addc_u32 s5, s1, s5
	v_cmp_gt_u32_e32 vcc, 2, v0
	v_cmp_gt_u32_e64 s[0:1], s2, v12
	s_and_b64 s[0:1], vcc, s[0:1]
	s_waitcnt lgkmcnt(1)
	v_add_f32_e32 v7, v7, v8
	s_waitcnt lgkmcnt(0)
	v_add_f32_e32 v8, v10, v11
	s_and_saveexec_b64 s[6:7], s[0:1]
	s_cbranch_execz .LBB161_9
; %bb.8:
	v_cmp_eq_u32_e32 vcc, 1, v0
	v_cndmask_b32_e32 v10, v7, v8, vcc
	v_cmp_eq_u32_e32 vcc, 2, v0
	v_cndmask_b32_e32 v10, v10, v19, vcc
	;; [unrolled: 2-line block ×3, first 2 shown]
	global_store_dword v2, v10, s[4:5]
.LBB161_9:
	s_or_b64 exec, exec, s[6:7]
	ds_read2st64_b32 v[10:11], v2 offset0:2 offset1:3
	s_waitcnt lgkmcnt(0)
	v_add_f32_e32 v2, v10, v19
	v_add_f32_e32 v10, v11, v18
	ds_bpermute_b32 v11, v1, v2
	ds_bpermute_b32 v1, v1, v10
	s_waitcnt lgkmcnt(1)
	v_add_f32_e32 v2, v2, v11
	s_waitcnt lgkmcnt(0)
	v_add_f32_e32 v1, v10, v1
	ds_bpermute_b32 v10, v3, v2
	ds_bpermute_b32 v3, v3, v1
	s_waitcnt lgkmcnt(1)
	v_add_f32_e32 v2, v2, v10
	s_waitcnt lgkmcnt(0)
	;; [unrolled: 6-line block ×5, first 2 shown]
	v_add_f32_e32 v2, v3, v4
	ds_bpermute_b32 v3, v9, v1
	ds_bpermute_b32 v4, v9, v2
	s_and_b64 exec, exec, s[0:1]
	s_cbranch_execz .LBB161_11
; %bb.10:
	s_waitcnt lgkmcnt(1)
	v_add_f32_e32 v1, v1, v3
	v_add_u32_e32 v3, 2, v0
	v_cmp_eq_u32_e32 vcc, 1, v3
	s_waitcnt lgkmcnt(0)
	v_add_f32_e32 v2, v2, v4
	v_cndmask_b32_e32 v4, v7, v8, vcc
	v_cmp_eq_u32_e32 vcc, 2, v3
	v_cndmask_b32_e32 v1, v4, v1, vcc
	v_cmp_eq_u32_e32 vcc, 3, v3
	v_cndmask_b32_e32 v2, v1, v2, vcc
	v_add_u32_e32 v0, s2, v0
	v_mov_b32_e32 v1, 0
	v_lshlrev_b64 v[0:1], 2, v[0:1]
	v_mov_b32_e32 v3, s5
	v_add_co_u32_e32 v0, vcc, s4, v0
	v_addc_co_u32_e32 v1, vcc, v3, v1, vcc
	global_store_dword v[0:1], v2, off
.LBB161_11:
	s_endpgm
	.section	.rodata,"a",@progbits
	.p2align	6, 0x0
	.amdhsa_kernel _ZL13mul_mat_vec_qIL9ggml_type16ELi2ELb0ELb0EEvPKvS2_PKi31ggml_cuda_mm_fusion_args_devicePfj15HIP_vector_typeIjLj3EEjjjS8_jjjS8_jjjj
		.amdhsa_group_segment_fixed_size 1024
		.amdhsa_private_segment_fixed_size 0
		.amdhsa_kernarg_size 144
		.amdhsa_user_sgpr_count 6
		.amdhsa_user_sgpr_private_segment_buffer 1
		.amdhsa_user_sgpr_dispatch_ptr 0
		.amdhsa_user_sgpr_queue_ptr 0
		.amdhsa_user_sgpr_kernarg_segment_ptr 1
		.amdhsa_user_sgpr_dispatch_id 0
		.amdhsa_user_sgpr_flat_scratch_init 0
		.amdhsa_user_sgpr_private_segment_size 0
		.amdhsa_uses_dynamic_stack 0
		.amdhsa_system_sgpr_private_segment_wavefront_offset 0
		.amdhsa_system_sgpr_workgroup_id_x 1
		.amdhsa_system_sgpr_workgroup_id_y 1
		.amdhsa_system_sgpr_workgroup_id_z 1
		.amdhsa_system_sgpr_workgroup_info 0
		.amdhsa_system_vgpr_workitem_id 1
		.amdhsa_next_free_vgpr 51
		.amdhsa_next_free_sgpr 26
		.amdhsa_reserve_vcc 1
		.amdhsa_reserve_flat_scratch 0
		.amdhsa_float_round_mode_32 0
		.amdhsa_float_round_mode_16_64 0
		.amdhsa_float_denorm_mode_32 3
		.amdhsa_float_denorm_mode_16_64 3
		.amdhsa_dx10_clamp 1
		.amdhsa_ieee_mode 1
		.amdhsa_fp16_overflow 0
		.amdhsa_exception_fp_ieee_invalid_op 0
		.amdhsa_exception_fp_denorm_src 0
		.amdhsa_exception_fp_ieee_div_zero 0
		.amdhsa_exception_fp_ieee_overflow 0
		.amdhsa_exception_fp_ieee_underflow 0
		.amdhsa_exception_fp_ieee_inexact 0
		.amdhsa_exception_int_div_zero 0
	.end_amdhsa_kernel
	.section	.text._ZL13mul_mat_vec_qIL9ggml_type16ELi2ELb0ELb0EEvPKvS2_PKi31ggml_cuda_mm_fusion_args_devicePfj15HIP_vector_typeIjLj3EEjjjS8_jjjS8_jjjj,"axG",@progbits,_ZL13mul_mat_vec_qIL9ggml_type16ELi2ELb0ELb0EEvPKvS2_PKi31ggml_cuda_mm_fusion_args_devicePfj15HIP_vector_typeIjLj3EEjjjS8_jjjS8_jjjj,comdat
.Lfunc_end161:
	.size	_ZL13mul_mat_vec_qIL9ggml_type16ELi2ELb0ELb0EEvPKvS2_PKi31ggml_cuda_mm_fusion_args_devicePfj15HIP_vector_typeIjLj3EEjjjS8_jjjS8_jjjj, .Lfunc_end161-_ZL13mul_mat_vec_qIL9ggml_type16ELi2ELb0ELb0EEvPKvS2_PKi31ggml_cuda_mm_fusion_args_devicePfj15HIP_vector_typeIjLj3EEjjjS8_jjjS8_jjjj
                                        ; -- End function
	.set _ZL13mul_mat_vec_qIL9ggml_type16ELi2ELb0ELb0EEvPKvS2_PKi31ggml_cuda_mm_fusion_args_devicePfj15HIP_vector_typeIjLj3EEjjjS8_jjjS8_jjjj.num_vgpr, 51
	.set _ZL13mul_mat_vec_qIL9ggml_type16ELi2ELb0ELb0EEvPKvS2_PKi31ggml_cuda_mm_fusion_args_devicePfj15HIP_vector_typeIjLj3EEjjjS8_jjjS8_jjjj.num_agpr, 0
	.set _ZL13mul_mat_vec_qIL9ggml_type16ELi2ELb0ELb0EEvPKvS2_PKi31ggml_cuda_mm_fusion_args_devicePfj15HIP_vector_typeIjLj3EEjjjS8_jjjS8_jjjj.numbered_sgpr, 26
	.set _ZL13mul_mat_vec_qIL9ggml_type16ELi2ELb0ELb0EEvPKvS2_PKi31ggml_cuda_mm_fusion_args_devicePfj15HIP_vector_typeIjLj3EEjjjS8_jjjS8_jjjj.num_named_barrier, 0
	.set _ZL13mul_mat_vec_qIL9ggml_type16ELi2ELb0ELb0EEvPKvS2_PKi31ggml_cuda_mm_fusion_args_devicePfj15HIP_vector_typeIjLj3EEjjjS8_jjjS8_jjjj.private_seg_size, 0
	.set _ZL13mul_mat_vec_qIL9ggml_type16ELi2ELb0ELb0EEvPKvS2_PKi31ggml_cuda_mm_fusion_args_devicePfj15HIP_vector_typeIjLj3EEjjjS8_jjjS8_jjjj.uses_vcc, 1
	.set _ZL13mul_mat_vec_qIL9ggml_type16ELi2ELb0ELb0EEvPKvS2_PKi31ggml_cuda_mm_fusion_args_devicePfj15HIP_vector_typeIjLj3EEjjjS8_jjjS8_jjjj.uses_flat_scratch, 0
	.set _ZL13mul_mat_vec_qIL9ggml_type16ELi2ELb0ELb0EEvPKvS2_PKi31ggml_cuda_mm_fusion_args_devicePfj15HIP_vector_typeIjLj3EEjjjS8_jjjS8_jjjj.has_dyn_sized_stack, 0
	.set _ZL13mul_mat_vec_qIL9ggml_type16ELi2ELb0ELb0EEvPKvS2_PKi31ggml_cuda_mm_fusion_args_devicePfj15HIP_vector_typeIjLj3EEjjjS8_jjjS8_jjjj.has_recursion, 0
	.set _ZL13mul_mat_vec_qIL9ggml_type16ELi2ELb0ELb0EEvPKvS2_PKi31ggml_cuda_mm_fusion_args_devicePfj15HIP_vector_typeIjLj3EEjjjS8_jjjS8_jjjj.has_indirect_call, 0
	.section	.AMDGPU.csdata,"",@progbits
; Kernel info:
; codeLenInByte = 5296
; TotalNumSgprs: 30
; NumVgprs: 51
; ScratchSize: 0
; MemoryBound: 0
; FloatMode: 240
; IeeeMode: 1
; LDSByteSize: 1024 bytes/workgroup (compile time only)
; SGPRBlocks: 3
; VGPRBlocks: 12
; NumSGPRsForWavesPerEU: 30
; NumVGPRsForWavesPerEU: 51
; Occupancy: 4
; WaveLimiterHint : 0
; COMPUTE_PGM_RSRC2:SCRATCH_EN: 0
; COMPUTE_PGM_RSRC2:USER_SGPR: 6
; COMPUTE_PGM_RSRC2:TRAP_HANDLER: 0
; COMPUTE_PGM_RSRC2:TGID_X_EN: 1
; COMPUTE_PGM_RSRC2:TGID_Y_EN: 1
; COMPUTE_PGM_RSRC2:TGID_Z_EN: 1
; COMPUTE_PGM_RSRC2:TIDIG_COMP_CNT: 1
	.section	.text._ZL13mul_mat_vec_qIL9ggml_type16ELi3ELb0ELb0EEvPKvS2_PKi31ggml_cuda_mm_fusion_args_devicePfj15HIP_vector_typeIjLj3EEjjjS8_jjjS8_jjjj,"axG",@progbits,_ZL13mul_mat_vec_qIL9ggml_type16ELi3ELb0ELb0EEvPKvS2_PKi31ggml_cuda_mm_fusion_args_devicePfj15HIP_vector_typeIjLj3EEjjjS8_jjjS8_jjjj,comdat
	.globl	_ZL13mul_mat_vec_qIL9ggml_type16ELi3ELb0ELb0EEvPKvS2_PKi31ggml_cuda_mm_fusion_args_devicePfj15HIP_vector_typeIjLj3EEjjjS8_jjjS8_jjjj ; -- Begin function _ZL13mul_mat_vec_qIL9ggml_type16ELi3ELb0ELb0EEvPKvS2_PKi31ggml_cuda_mm_fusion_args_devicePfj15HIP_vector_typeIjLj3EEjjjS8_jjjS8_jjjj
	.p2align	8
	.type	_ZL13mul_mat_vec_qIL9ggml_type16ELi3ELb0ELb0EEvPKvS2_PKi31ggml_cuda_mm_fusion_args_devicePfj15HIP_vector_typeIjLj3EEjjjS8_jjjS8_jjjj,@function
_ZL13mul_mat_vec_qIL9ggml_type16ELi3ELb0ELb0EEvPKvS2_PKi31ggml_cuda_mm_fusion_args_devicePfj15HIP_vector_typeIjLj3EEjjjS8_jjjS8_jjjj: ; @_ZL13mul_mat_vec_qIL9ggml_type16ELi3ELb0ELb0EEvPKvS2_PKi31ggml_cuda_mm_fusion_args_devicePfj15HIP_vector_typeIjLj3EEjjjS8_jjjS8_jjjj
; %bb.0:
	s_load_dword s9, s[4:5], 0x40
	s_load_dwordx4 s[0:3], s[4:5], 0x50
	s_load_dword s25, s[4:5], 0x60
	s_load_dwordx4 s[12:15], s[4:5], 0x68
	;; [unrolled: 2-line block ×3, first 2 shown]
	v_lshl_add_u32 v2, v1, 6, v0
	s_waitcnt lgkmcnt(0)
	s_lshr_b32 s9, s9, 8
	v_lshrrev_b32_e32 v24, 3, v2
	v_mov_b32_e32 v19, 0
	s_lshl_b32 s6, s6, 1
	v_cmp_gt_u32_e32 vcc, s9, v24
	v_mov_b32_e32 v20, v19
	v_mov_b32_e32 v21, v19
	;; [unrolled: 1-line block ×5, first 2 shown]
	s_and_saveexec_b64 s[10:11], vcc
	s_cbranch_execz .LBB162_4
; %bb.1:
	s_mul_hi_u32 s3, s3, s7
	s_add_i32 s3, s7, s3
	s_load_dwordx4 s[20:23], s[4:5], 0x0
	s_lshr_b32 s3, s3, s25
	s_mul_i32 s3, s3, s12
	s_mul_hi_u32 s12, s15, s8
	s_add_i32 s12, s8, s12
	s_lshr_b32 s12, s12, s24
	s_mul_i32 s19, s17, s8
	s_mul_i32 s15, s12, s16
	;; [unrolled: 1-line block ×3, first 2 shown]
	s_mul_hi_u32 s12, s19, 36
	s_waitcnt lgkmcnt(0)
	s_add_u32 s16, s22, s16
	s_addc_u32 s17, s23, s12
	s_mul_i32 s12, s13, s7
	s_mul_hi_u32 s13, s12, 36
	s_mul_i32 s12, s12, 36
	s_add_u32 s16, s16, s12
	v_lshlrev_b32_e32 v2, 1, v0
	s_addc_u32 s17, s17, s13
	v_and_b32_e32 v2, 14, v2
	v_and_b32_e32 v5, 7, v0
	v_lshlrev_b32_e32 v4, 1, v2
	v_mad_u64_u32 v[10:11], s[16:17], v5, 36, s[16:17]
	v_mov_b32_e32 v2, s12
	s_movk_i32 s17, 0x120
	v_mov_b32_e32 v3, s13
	v_mad_u64_u32 v[2:3], s[12:13], v24, s17, v[2:3]
	s_add_i32 s16, s6, 1
	s_add_i32 s15, s15, s3
	v_mad_u64_u32 v[2:3], s[12:13], s19, 36, v[2:3]
	s_mul_i32 s3, s6, s0
	s_mul_i32 s0, s0, s16
	v_mad_u64_u32 v[2:3], s[12:13], v5, 36, v[2:3]
	v_mov_b32_e32 v5, s23
	v_lshlrev_b32_e32 v6, 3, v24
	v_add_co_u32_e32 v2, vcc, s22, v2
	v_addc_co_u32_e32 v3, vcc, v5, v3, vcc
	v_add_co_u32_e32 v12, vcc, 32, v2
	v_mov_b32_e32 v14, s20
	v_mov_b32_e32 v25, 0
	s_add_i32 s3, s15, s3
	s_add_i32 s15, s15, s0
	v_add_u32_e32 v26, s1, v6
	v_lshl_add_u32 v27, s1, 1, v6
	v_addc_co_u32_e32 v13, vcc, 0, v3, vcc
	s_mov_b64 s[0:1], 0
	s_movk_i32 s16, 0x42
	v_mov_b32_e32 v15, s21
	v_lshlrev_b32_e32 v28, 1, v4
	s_mov_b32 s17, 0x1010101
	s_movk_i32 s19, 0xff00
	s_mov_b32 s20, 0xc0c0105
	v_mov_b32_e32 v29, 3
	v_mov_b32_e32 v30, 8
	;; [unrolled: 1-line block ×8, first 2 shown]
.LBB162_2:                              ; =>This Inner Loop Header: Depth=1
	v_add_u32_e32 v16, s3, v24
	v_mad_i64_i32 v[16:17], s[12:13], v16, s16, v[14:15]
	global_load_dword v42, v[12:13], off
	global_load_dwordx4 v[2:5], v[12:13], off offset:-16
	global_load_dwordx4 v[6:9], v[12:13], off offset:-32
	s_getpc_b64 s[12:13]
	s_add_u32 s12, s12, _ZL11iq2xxs_grid@rel32@lo+4
	s_addc_u32 s13, s13, _ZL11iq2xxs_grid@rel32@hi+12
	v_add_co_u32_e32 v31, vcc, v16, v28
	v_addc_co_u32_e32 v32, vcc, 0, v17, vcc
	global_load_dwordx2 v[37:38], v[31:32], off offset:2
	s_waitcnt vmcnt(1)
	v_cvt_f32_f16_e32 v41, v6
	global_load_ushort v16, v[16:17], off
	s_waitcnt vmcnt(1)
	v_lshlrev_b32_sdwa v6, v29, v37 dst_sel:DWORD dst_unused:UNUSED_PAD src0_sel:DWORD src1_sel:BYTE_0
	global_load_dwordx2 v[31:32], v6, s[12:13]
	v_and_b32_e32 v6, 0xff, v38
	v_bcnt_u32_b32 v33, v6, 0
	v_and_b32_e32 v33, 1, v33
	v_lshlrev_b32_e32 v33, 7, v33
	v_xor_b32_e32 v6, v33, v6
	v_mul_lo_u32 v33, v6, s17
	v_and_b32_e32 v6, 0x8040201, v33
	v_cmp_ne_u16_sdwa s[22:23], v6, v25 src0_sel:BYTE_3 src1_sel:DWORD
	v_cmp_ne_u16_sdwa s[24:25], v6, v25 src0_sel:BYTE_1 src1_sel:DWORD
	v_lshrrev_b32_e32 v34, 18, v33
	v_cndmask_b32_e64 v35, 0, -1, s[24:25]
	v_cndmask_b32_e64 v39, 0, -1, s[22:23]
	v_bfe_i32 v6, v33, 0, 1
	v_lshlrev_b16_e32 v35, 8, v35
	v_bfe_i32 v34, v34, 0, 1
	v_lshlrev_b16_e32 v39, 8, v39
	v_or_b32_sdwa v36, v6, v35 dst_sel:DWORD dst_unused:UNUSED_PAD src0_sel:BYTE_0 src1_sel:DWORD
	v_or_b32_sdwa v40, v34, v39 dst_sel:WORD_1 dst_unused:UNUSED_PAD src0_sel:BYTE_0 src1_sel:DWORD
	v_or_b32_sdwa v36, v36, v40 dst_sel:DWORD dst_unused:UNUSED_PAD src0_sel:WORD_0 src1_sel:DWORD
	v_lshlrev_b16_e32 v6, 8, v6
	v_lshlrev_b16_e32 v34, 8, v34
	s_waitcnt vmcnt(0)
	v_xor_b32_e32 v31, v31, v36
	v_and_b32_e32 v36, 0xffffff00, v31
	v_sub_i16 v35, v36, v35 clamp
	v_lshlrev_b16_e32 v36, 8, v31
	v_sub_i16 v6, v36, v6 clamp
	v_perm_b32 v6, v6, v35, s20
	v_and_b32_sdwa v35, v31, s19 dst_sel:DWORD dst_unused:UNUSED_PAD src0_sel:WORD_1 src1_sel:DWORD
	v_lshlrev_b16_sdwa v31, v30, v31 dst_sel:DWORD dst_unused:UNUSED_PAD src0_sel:DWORD src1_sel:WORD_1
	v_sub_i16 v35, v35, v39 clamp
	v_sub_i16 v31, v31, v34 clamp
	v_perm_b32 v31, v31, v35, s20
	v_lshl_or_b32 v6, v31, 16, v6
	v_and_b32_e32 v31, 0x80402010, v33
	v_cmp_ne_u16_sdwa s[22:23], v31, v25 src0_sel:BYTE_3 src1_sel:DWORD
	v_cmp_ne_u16_sdwa s[24:25], v31, v25 src0_sel:BYTE_1 src1_sel:DWORD
	v_lshrrev_b32_e32 v33, 22, v33
	v_lshrrev_b16_e32 v31, 4, v31
	v_cndmask_b32_e64 v35, 0, -1, s[24:25]
	v_cndmask_b32_e64 v39, 0, -1, s[22:23]
	v_bfe_i32 v31, v31, 0, 1
	v_lshlrev_b16_e32 v35, 8, v35
	v_bfe_i32 v33, v33, 0, 1
	v_lshlrev_b16_e32 v39, 8, v39
	v_or_b32_sdwa v36, v31, v35 dst_sel:DWORD dst_unused:UNUSED_PAD src0_sel:BYTE_0 src1_sel:DWORD
	v_or_b32_sdwa v40, v33, v39 dst_sel:WORD_1 dst_unused:UNUSED_PAD src0_sel:BYTE_0 src1_sel:DWORD
	v_or_b32_sdwa v36, v36, v40 dst_sel:DWORD dst_unused:UNUSED_PAD src0_sel:WORD_0 src1_sel:DWORD
	v_xor_b32_e32 v32, v32, v36
	v_and_b32_e32 v36, 0xffffff00, v32
	v_sub_i16 v35, v36, v35 clamp
	v_lshlrev_b16_e32 v36, 8, v32
	v_lshlrev_b16_e32 v31, 8, v31
	v_sub_i16 v31, v36, v31 clamp
	v_perm_b32 v31, v31, v35, s20
	v_and_b32_sdwa v35, v32, s19 dst_sel:DWORD dst_unused:UNUSED_PAD src0_sel:WORD_1 src1_sel:DWORD
	v_lshlrev_b16_sdwa v32, v30, v32 dst_sel:DWORD dst_unused:UNUSED_PAD src0_sel:DWORD src1_sel:WORD_1
	v_lshlrev_b16_e32 v33, 8, v33
	v_sub_i16 v35, v35, v39 clamp
	v_sub_i16 v32, v32, v33 clamp
	v_perm_b32 v32, v32, v35, s20
	v_lshl_or_b32 v31, v32, 16, v31
	v_lshlrev_b32_sdwa v32, v29, v37 dst_sel:DWORD dst_unused:UNUSED_PAD src0_sel:DWORD src1_sel:BYTE_1
	global_load_dwordx2 v[32:33], v32, s[12:13]
	v_bfe_u32 v35, v38, 7, 8
	v_bcnt_u32_b32 v36, v35, 0
	v_and_b32_e32 v36, 1, v36
	v_lshlrev_b32_e32 v36, 7, v36
	v_xor_b32_e32 v35, v36, v35
	v_mul_lo_u32 v35, v35, s17
	v_dot4_i32_i8 v34, v6, v7, 0
	v_dot4_i32_i8 v34, v31, v8, v34
	v_and_b32_e32 v36, 0x8040201, v35
	v_cmp_ne_u16_sdwa s[22:23], v36, v25 src0_sel:BYTE_3 src1_sel:DWORD
	v_cmp_ne_u16_sdwa s[24:25], v36, v25 src0_sel:BYTE_1 src1_sel:DWORD
	v_lshrrev_b32_e32 v39, 18, v35
	v_cndmask_b32_e64 v40, 0, -1, s[24:25]
	v_cndmask_b32_e64 v44, 0, -1, s[22:23]
	v_bfe_i32 v36, v35, 0, 1
	v_lshlrev_b16_e32 v40, 8, v40
	v_bfe_i32 v39, v39, 0, 1
	v_lshlrev_b16_e32 v44, 8, v44
	v_or_b32_sdwa v43, v36, v40 dst_sel:DWORD dst_unused:UNUSED_PAD src0_sel:BYTE_0 src1_sel:DWORD
	v_or_b32_sdwa v45, v39, v44 dst_sel:WORD_1 dst_unused:UNUSED_PAD src0_sel:BYTE_0 src1_sel:DWORD
	v_or_b32_sdwa v43, v43, v45 dst_sel:DWORD dst_unused:UNUSED_PAD src0_sel:WORD_0 src1_sel:DWORD
	v_lshlrev_b16_e32 v36, 8, v36
	v_lshlrev_b16_e32 v39, 8, v39
	s_waitcnt vmcnt(0)
	v_xor_b32_e32 v32, v32, v43
	v_and_b32_e32 v43, 0xffffff00, v32
	v_sub_i16 v40, v43, v40 clamp
	v_lshlrev_b16_e32 v43, 8, v32
	v_sub_i16 v36, v43, v36 clamp
	v_perm_b32 v36, v36, v40, s20
	v_and_b32_sdwa v40, v32, s19 dst_sel:DWORD dst_unused:UNUSED_PAD src0_sel:WORD_1 src1_sel:DWORD
	v_lshlrev_b16_sdwa v32, v30, v32 dst_sel:DWORD dst_unused:UNUSED_PAD src0_sel:DWORD src1_sel:WORD_1
	v_sub_i16 v40, v40, v44 clamp
	v_sub_i16 v32, v32, v39 clamp
	v_perm_b32 v32, v32, v40, s20
	v_lshl_or_b32 v32, v32, 16, v36
	v_and_b32_e32 v36, 0x80402010, v35
	v_cmp_ne_u16_sdwa s[22:23], v36, v25 src0_sel:BYTE_3 src1_sel:DWORD
	v_cmp_ne_u16_sdwa s[24:25], v36, v25 src0_sel:BYTE_1 src1_sel:DWORD
	v_lshrrev_b32_e32 v35, 22, v35
	v_lshrrev_b16_e32 v36, 4, v36
	v_cndmask_b32_e64 v39, 0, -1, s[24:25]
	v_cndmask_b32_e64 v43, 0, -1, s[22:23]
	v_bfe_i32 v36, v36, 0, 1
	v_lshlrev_b16_e32 v39, 8, v39
	v_bfe_i32 v35, v35, 0, 1
	v_lshlrev_b16_e32 v43, 8, v43
	v_or_b32_sdwa v40, v36, v39 dst_sel:DWORD dst_unused:UNUSED_PAD src0_sel:BYTE_0 src1_sel:DWORD
	v_or_b32_sdwa v44, v35, v43 dst_sel:WORD_1 dst_unused:UNUSED_PAD src0_sel:BYTE_0 src1_sel:DWORD
	v_or_b32_sdwa v40, v40, v44 dst_sel:DWORD dst_unused:UNUSED_PAD src0_sel:WORD_0 src1_sel:DWORD
	v_xor_b32_e32 v33, v33, v40
	v_and_b32_e32 v40, 0xffffff00, v33
	v_sub_i16 v39, v40, v39 clamp
	v_lshlrev_b16_e32 v40, 8, v33
	v_lshlrev_b16_e32 v36, 8, v36
	v_sub_i16 v36, v40, v36 clamp
	v_perm_b32 v36, v36, v39, s20
	v_and_b32_sdwa v39, v33, s19 dst_sel:DWORD dst_unused:UNUSED_PAD src0_sel:WORD_1 src1_sel:DWORD
	v_lshlrev_b16_sdwa v33, v30, v33 dst_sel:DWORD dst_unused:UNUSED_PAD src0_sel:DWORD src1_sel:WORD_1
	v_lshlrev_b16_e32 v35, 8, v35
	v_sub_i16 v39, v39, v43 clamp
	v_sub_i16 v33, v33, v35 clamp
	v_perm_b32 v33, v33, v39, s20
	v_dot4_i32_i8 v34, v32, v9, v34
	v_lshl_or_b32 v33, v33, 16, v36
	v_dot4_i32_i8 v36, v33, v2, v34
	v_lshlrev_b32_sdwa v34, v29, v37 dst_sel:DWORD dst_unused:UNUSED_PAD src0_sel:DWORD src1_sel:BYTE_2
	global_load_dwordx2 v[34:35], v34, s[12:13]
	v_bfe_u32 v39, v38, 14, 8
	v_bcnt_u32_b32 v40, v39, 0
	v_and_b32_e32 v40, 1, v40
	v_lshlrev_b32_e32 v40, 7, v40
	v_xor_b32_e32 v39, v40, v39
	v_mul_lo_u32 v39, v39, s17
	v_and_b32_e32 v40, 0x8040201, v39
	v_cmp_ne_u16_sdwa s[22:23], v40, v25 src0_sel:BYTE_3 src1_sel:DWORD
	v_cmp_ne_u16_sdwa s[24:25], v40, v25 src0_sel:BYTE_1 src1_sel:DWORD
	v_lshrrev_b32_e32 v43, 18, v39
	v_cndmask_b32_e64 v44, 0, -1, s[24:25]
	v_cndmask_b32_e64 v46, 0, -1, s[22:23]
	v_bfe_i32 v40, v39, 0, 1
	v_lshlrev_b16_e32 v44, 8, v44
	v_bfe_i32 v43, v43, 0, 1
	v_lshlrev_b16_e32 v46, 8, v46
	v_or_b32_sdwa v45, v40, v44 dst_sel:DWORD dst_unused:UNUSED_PAD src0_sel:BYTE_0 src1_sel:DWORD
	v_or_b32_sdwa v47, v43, v46 dst_sel:WORD_1 dst_unused:UNUSED_PAD src0_sel:BYTE_0 src1_sel:DWORD
	v_or_b32_sdwa v45, v45, v47 dst_sel:DWORD dst_unused:UNUSED_PAD src0_sel:WORD_0 src1_sel:DWORD
	v_lshlrev_b16_e32 v40, 8, v40
	v_lshlrev_b16_e32 v43, 8, v43
	s_waitcnt vmcnt(0)
	v_xor_b32_e32 v34, v34, v45
	v_and_b32_e32 v45, 0xffffff00, v34
	v_sub_i16 v44, v45, v44 clamp
	v_lshlrev_b16_e32 v45, 8, v34
	v_sub_i16 v40, v45, v40 clamp
	v_perm_b32 v40, v40, v44, s20
	v_and_b32_sdwa v44, v34, s19 dst_sel:DWORD dst_unused:UNUSED_PAD src0_sel:WORD_1 src1_sel:DWORD
	v_lshlrev_b16_sdwa v34, v30, v34 dst_sel:DWORD dst_unused:UNUSED_PAD src0_sel:DWORD src1_sel:WORD_1
	v_sub_i16 v44, v44, v46 clamp
	v_sub_i16 v34, v34, v43 clamp
	v_perm_b32 v34, v34, v44, s20
	v_lshl_or_b32 v34, v34, 16, v40
	v_and_b32_e32 v40, 0x80402010, v39
	v_cmp_ne_u16_sdwa s[22:23], v40, v25 src0_sel:BYTE_3 src1_sel:DWORD
	v_cmp_ne_u16_sdwa s[24:25], v40, v25 src0_sel:BYTE_1 src1_sel:DWORD
	v_lshrrev_b32_e32 v39, 22, v39
	v_lshrrev_b16_e32 v40, 4, v40
	v_cndmask_b32_e64 v43, 0, -1, s[24:25]
	v_cndmask_b32_e64 v45, 0, -1, s[22:23]
	v_bfe_i32 v40, v40, 0, 1
	v_lshlrev_b16_e32 v43, 8, v43
	v_bfe_i32 v39, v39, 0, 1
	v_lshlrev_b16_e32 v45, 8, v45
	v_or_b32_sdwa v44, v40, v43 dst_sel:DWORD dst_unused:UNUSED_PAD src0_sel:BYTE_0 src1_sel:DWORD
	v_or_b32_sdwa v46, v39, v45 dst_sel:WORD_1 dst_unused:UNUSED_PAD src0_sel:BYTE_0 src1_sel:DWORD
	v_or_b32_sdwa v44, v44, v46 dst_sel:DWORD dst_unused:UNUSED_PAD src0_sel:WORD_0 src1_sel:DWORD
	v_xor_b32_e32 v35, v35, v44
	v_and_b32_e32 v44, 0xffffff00, v35
	v_sub_i16 v43, v44, v43 clamp
	v_lshlrev_b16_e32 v44, 8, v35
	v_lshlrev_b16_e32 v40, 8, v40
	v_sub_i16 v40, v44, v40 clamp
	v_perm_b32 v40, v40, v43, s20
	v_and_b32_sdwa v43, v35, s19 dst_sel:DWORD dst_unused:UNUSED_PAD src0_sel:WORD_1 src1_sel:DWORD
	v_lshlrev_b16_sdwa v35, v30, v35 dst_sel:DWORD dst_unused:UNUSED_PAD src0_sel:DWORD src1_sel:WORD_1
	v_lshlrev_b16_e32 v39, 8, v39
	v_sub_i16 v43, v43, v45 clamp
	v_sub_i16 v35, v35, v39 clamp
	v_perm_b32 v35, v35, v43, s20
	v_dot4_i32_i8 v36, v34, v3, v36
	v_lshl_or_b32 v35, v35, 16, v40
	v_dot4_i32_i8 v39, v35, v4, v36
	v_lshlrev_b32_sdwa v36, v29, v37 dst_sel:DWORD dst_unused:UNUSED_PAD src0_sel:DWORD src1_sel:BYTE_3
	global_load_dwordx2 v[36:37], v36, s[12:13]
	v_bfe_u32 v40, v38, 21, 8
	v_bcnt_u32_b32 v43, v40, 0
	v_and_b32_e32 v43, 1, v43
	v_lshlrev_b32_e32 v43, 7, v43
	v_xor_b32_e32 v40, v43, v40
	v_mul_lo_u32 v40, v40, s17
	v_lshrrev_b32_e32 v38, 27, v38
	v_or_b32_e32 v38, 1, v38
	v_and_b32_e32 v43, 0x8040201, v40
	v_cmp_ne_u16_sdwa s[22:23], v43, v25 src0_sel:BYTE_3 src1_sel:DWORD
	v_cmp_ne_u16_sdwa s[24:25], v43, v25 src0_sel:BYTE_1 src1_sel:DWORD
	v_lshrrev_b32_e32 v44, 18, v40
	v_cndmask_b32_e64 v45, 0, -1, s[24:25]
	v_cndmask_b32_e64 v47, 0, -1, s[22:23]
	v_bfe_i32 v43, v40, 0, 1
	v_lshlrev_b16_e32 v45, 8, v45
	v_bfe_i32 v44, v44, 0, 1
	v_lshlrev_b16_e32 v47, 8, v47
	v_or_b32_sdwa v46, v43, v45 dst_sel:DWORD dst_unused:UNUSED_PAD src0_sel:BYTE_0 src1_sel:DWORD
	v_or_b32_sdwa v48, v44, v47 dst_sel:WORD_1 dst_unused:UNUSED_PAD src0_sel:BYTE_0 src1_sel:DWORD
	v_or_b32_sdwa v46, v46, v48 dst_sel:DWORD dst_unused:UNUSED_PAD src0_sel:WORD_0 src1_sel:DWORD
	v_lshlrev_b16_e32 v43, 8, v43
	v_lshlrev_b16_e32 v44, 8, v44
	s_waitcnt vmcnt(0)
	v_xor_b32_e32 v36, v36, v46
	v_and_b32_e32 v46, 0xffffff00, v36
	v_sub_i16 v45, v46, v45 clamp
	v_lshlrev_b16_e32 v46, 8, v36
	v_sub_i16 v43, v46, v43 clamp
	v_perm_b32 v43, v43, v45, s20
	v_and_b32_sdwa v45, v36, s19 dst_sel:DWORD dst_unused:UNUSED_PAD src0_sel:WORD_1 src1_sel:DWORD
	v_lshlrev_b16_sdwa v36, v30, v36 dst_sel:DWORD dst_unused:UNUSED_PAD src0_sel:DWORD src1_sel:WORD_1
	v_sub_i16 v45, v45, v47 clamp
	v_sub_i16 v36, v36, v44 clamp
	v_perm_b32 v36, v36, v45, s20
	v_lshl_or_b32 v36, v36, 16, v43
	v_and_b32_e32 v43, 0x80402010, v40
	v_cmp_ne_u16_sdwa s[22:23], v43, v25 src0_sel:BYTE_3 src1_sel:DWORD
	v_cmp_ne_u16_sdwa s[24:25], v43, v25 src0_sel:BYTE_1 src1_sel:DWORD
	v_lshrrev_b32_e32 v40, 22, v40
	v_lshrrev_b16_e32 v43, 4, v43
	v_cndmask_b32_e64 v44, 0, -1, s[24:25]
	v_cndmask_b32_e64 v46, 0, -1, s[22:23]
	v_bfe_i32 v43, v43, 0, 1
	v_lshlrev_b16_e32 v44, 8, v44
	v_bfe_i32 v40, v40, 0, 1
	v_lshlrev_b16_e32 v46, 8, v46
	v_or_b32_sdwa v45, v43, v44 dst_sel:DWORD dst_unused:UNUSED_PAD src0_sel:BYTE_0 src1_sel:DWORD
	v_or_b32_sdwa v47, v40, v46 dst_sel:WORD_1 dst_unused:UNUSED_PAD src0_sel:BYTE_0 src1_sel:DWORD
	v_or_b32_sdwa v45, v45, v47 dst_sel:DWORD dst_unused:UNUSED_PAD src0_sel:WORD_0 src1_sel:DWORD
	v_xor_b32_e32 v37, v37, v45
	v_and_b32_e32 v45, 0xffffff00, v37
	v_sub_i16 v44, v45, v44 clamp
	v_lshlrev_b16_e32 v45, 8, v37
	v_lshlrev_b16_e32 v43, 8, v43
	v_sub_i16 v43, v45, v43 clamp
	v_perm_b32 v43, v43, v44, s20
	v_and_b32_sdwa v44, v37, s19 dst_sel:DWORD dst_unused:UNUSED_PAD src0_sel:WORD_1 src1_sel:DWORD
	v_lshlrev_b16_sdwa v37, v30, v37 dst_sel:DWORD dst_unused:UNUSED_PAD src0_sel:DWORD src1_sel:WORD_1
	v_lshlrev_b16_e32 v40, 8, v40
	v_sub_i16 v44, v44, v46 clamp
	v_sub_i16 v37, v37, v40 clamp
	v_perm_b32 v37, v37, v44, s20
	v_dot4_i32_i8 v39, v36, v5, v39
	v_lshl_or_b32 v37, v37, 16, v43
	v_dot4_i32_i8 v39, v37, v42, v39
	v_mul_lo_u32 v39, v39, v38
	v_ashrrev_i32_e32 v40, 31, v39
	v_lshrrev_b32_e32 v40, 29, v40
	v_add_u32_e32 v39, v39, v40
	v_ashrrev_i32_e32 v40, 3, v39
	v_cvt_f32_f16_e32 v39, v16
	v_cvt_f32_i32_e32 v17, v40
	v_mul_f32_e32 v16, v39, v41
	v_fmac_f32_e32 v23, v16, v17
	v_add_u32_e32 v16, s15, v24
	v_mad_i64_i32 v[16:17], s[22:23], v16, s16, v[14:15]
	v_add_u32_e32 v24, 16, v24
	v_add_co_u32_e32 v43, vcc, v16, v28
	v_addc_co_u32_e32 v44, vcc, 0, v17, vcc
	global_load_dwordx2 v[43:44], v[43:44], off offset:2
	v_add_co_u32_e32 v12, vcc, 0x1200, v12
	global_load_ushort v16, v[16:17], off
	v_addc_co_u32_e32 v13, vcc, 0, v13, vcc
	v_cmp_le_u32_e32 vcc, s9, v24
	s_or_b64 s[0:1], vcc, s[0:1]
	s_waitcnt vmcnt(1)
	v_lshlrev_b32_sdwa v40, v29, v43 dst_sel:DWORD dst_unused:UNUSED_PAD src0_sel:DWORD src1_sel:BYTE_0
	global_load_dwordx2 v[45:46], v40, s[12:13]
	v_and_b32_e32 v40, 0xff, v44
	v_bcnt_u32_b32 v47, v40, 0
	v_and_b32_e32 v47, 1, v47
	v_lshlrev_b32_e32 v47, 7, v47
	v_xor_b32_e32 v40, v47, v40
	v_mul_lo_u32 v47, v40, s17
	s_waitcnt vmcnt(1)
	v_cvt_f32_f16_e32 v16, v16
	v_and_b32_e32 v40, 0x8040201, v47
	v_cmp_ne_u16_sdwa s[22:23], v40, v25 src0_sel:BYTE_3 src1_sel:DWORD
	v_cmp_ne_u16_sdwa s[24:25], v40, v25 src0_sel:BYTE_1 src1_sel:DWORD
	v_lshrrev_b32_e32 v48, 18, v47
	v_cndmask_b32_e64 v49, 0, -1, s[24:25]
	v_cndmask_b32_e64 v51, 0, -1, s[22:23]
	v_bfe_i32 v40, v47, 0, 1
	v_lshlrev_b16_e32 v49, 8, v49
	v_bfe_i32 v48, v48, 0, 1
	v_lshlrev_b16_e32 v51, 8, v51
	v_or_b32_sdwa v50, v40, v49 dst_sel:DWORD dst_unused:UNUSED_PAD src0_sel:BYTE_0 src1_sel:DWORD
	v_or_b32_sdwa v52, v48, v51 dst_sel:WORD_1 dst_unused:UNUSED_PAD src0_sel:BYTE_0 src1_sel:DWORD
	v_or_b32_sdwa v50, v50, v52 dst_sel:DWORD dst_unused:UNUSED_PAD src0_sel:WORD_0 src1_sel:DWORD
	v_lshlrev_b16_e32 v40, 8, v40
	v_lshlrev_b16_e32 v48, 8, v48
	v_mul_f32_e32 v17, v16, v41
	s_waitcnt vmcnt(0)
	v_xor_b32_e32 v45, v45, v50
	v_and_b32_e32 v50, 0xffffff00, v45
	v_sub_i16 v49, v50, v49 clamp
	v_lshlrev_b16_e32 v50, 8, v45
	v_sub_i16 v40, v50, v40 clamp
	v_perm_b32 v40, v40, v49, s20
	v_and_b32_sdwa v49, v45, s19 dst_sel:DWORD dst_unused:UNUSED_PAD src0_sel:WORD_1 src1_sel:DWORD
	v_lshlrev_b16_sdwa v45, v30, v45 dst_sel:DWORD dst_unused:UNUSED_PAD src0_sel:DWORD src1_sel:WORD_1
	v_sub_i16 v49, v49, v51 clamp
	v_sub_i16 v45, v45, v48 clamp
	v_perm_b32 v45, v45, v49, s20
	v_lshl_or_b32 v40, v45, 16, v40
	v_dot4_i32_i8 v45, v40, v7, 0
	v_and_b32_e32 v7, 0x80402010, v47
	v_cmp_ne_u16_sdwa s[22:23], v7, v25 src0_sel:BYTE_3 src1_sel:DWORD
	v_cmp_ne_u16_sdwa s[24:25], v7, v25 src0_sel:BYTE_1 src1_sel:DWORD
	v_lshrrev_b32_e32 v47, 22, v47
	v_lshrrev_b16_e32 v7, 4, v7
	v_cndmask_b32_e64 v48, 0, -1, s[24:25]
	v_cndmask_b32_e64 v50, 0, -1, s[22:23]
	v_bfe_i32 v7, v7, 0, 1
	v_lshlrev_b16_e32 v48, 8, v48
	v_bfe_i32 v47, v47, 0, 1
	v_lshlrev_b16_e32 v50, 8, v50
	v_or_b32_sdwa v49, v7, v48 dst_sel:DWORD dst_unused:UNUSED_PAD src0_sel:BYTE_0 src1_sel:DWORD
	v_or_b32_sdwa v51, v47, v50 dst_sel:WORD_1 dst_unused:UNUSED_PAD src0_sel:BYTE_0 src1_sel:DWORD
	v_or_b32_sdwa v49, v49, v51 dst_sel:DWORD dst_unused:UNUSED_PAD src0_sel:WORD_0 src1_sel:DWORD
	v_xor_b32_e32 v46, v46, v49
	v_and_b32_e32 v49, 0xffffff00, v46
	v_sub_i16 v48, v49, v48 clamp
	v_lshlrev_b16_e32 v49, 8, v46
	v_lshlrev_b16_e32 v7, 8, v7
	v_sub_i16 v7, v49, v7 clamp
	v_perm_b32 v7, v7, v48, s20
	v_and_b32_sdwa v48, v46, s19 dst_sel:DWORD dst_unused:UNUSED_PAD src0_sel:WORD_1 src1_sel:DWORD
	v_lshlrev_b16_sdwa v46, v30, v46 dst_sel:DWORD dst_unused:UNUSED_PAD src0_sel:DWORD src1_sel:WORD_1
	v_lshlrev_b16_e32 v47, 8, v47
	v_sub_i16 v48, v48, v50 clamp
	v_sub_i16 v46, v46, v47 clamp
	v_perm_b32 v46, v46, v48, s20
	v_lshl_or_b32 v7, v46, 16, v7
	v_dot4_i32_i8 v47, v7, v8, v45
	v_lshlrev_b32_sdwa v8, v29, v43 dst_sel:DWORD dst_unused:UNUSED_PAD src0_sel:DWORD src1_sel:BYTE_1
	global_load_dwordx2 v[45:46], v8, s[12:13]
	v_bfe_u32 v8, v44, 7, 8
	v_bcnt_u32_b32 v48, v8, 0
	v_and_b32_e32 v48, 1, v48
	v_lshlrev_b32_e32 v48, 7, v48
	v_xor_b32_e32 v8, v48, v8
	v_mul_lo_u32 v48, v8, s17
	v_and_b32_e32 v8, 0x8040201, v48
	v_cmp_ne_u16_sdwa s[22:23], v8, v25 src0_sel:BYTE_3 src1_sel:DWORD
	v_cmp_ne_u16_sdwa s[24:25], v8, v25 src0_sel:BYTE_1 src1_sel:DWORD
	v_lshrrev_b32_e32 v49, 18, v48
	v_cndmask_b32_e64 v50, 0, -1, s[24:25]
	v_cndmask_b32_e64 v52, 0, -1, s[22:23]
	v_bfe_i32 v8, v48, 0, 1
	v_lshlrev_b16_e32 v50, 8, v50
	v_bfe_i32 v49, v49, 0, 1
	v_lshlrev_b16_e32 v52, 8, v52
	v_or_b32_sdwa v51, v8, v50 dst_sel:DWORD dst_unused:UNUSED_PAD src0_sel:BYTE_0 src1_sel:DWORD
	v_or_b32_sdwa v53, v49, v52 dst_sel:WORD_1 dst_unused:UNUSED_PAD src0_sel:BYTE_0 src1_sel:DWORD
	v_or_b32_sdwa v51, v51, v53 dst_sel:DWORD dst_unused:UNUSED_PAD src0_sel:WORD_0 src1_sel:DWORD
	v_lshlrev_b16_e32 v8, 8, v8
	v_lshlrev_b16_e32 v49, 8, v49
	s_waitcnt vmcnt(0)
	v_xor_b32_e32 v45, v45, v51
	v_and_b32_e32 v51, 0xffffff00, v45
	v_sub_i16 v50, v51, v50 clamp
	v_lshlrev_b16_e32 v51, 8, v45
	v_sub_i16 v8, v51, v8 clamp
	v_perm_b32 v8, v8, v50, s20
	v_and_b32_sdwa v50, v45, s19 dst_sel:DWORD dst_unused:UNUSED_PAD src0_sel:WORD_1 src1_sel:DWORD
	v_lshlrev_b16_sdwa v45, v30, v45 dst_sel:DWORD dst_unused:UNUSED_PAD src0_sel:DWORD src1_sel:WORD_1
	v_sub_i16 v50, v50, v52 clamp
	v_sub_i16 v45, v45, v49 clamp
	v_perm_b32 v45, v45, v50, s20
	v_lshl_or_b32 v8, v45, 16, v8
	v_dot4_i32_i8 v45, v8, v9, v47
	v_and_b32_e32 v9, 0x80402010, v48
	v_cmp_ne_u16_sdwa s[22:23], v9, v25 src0_sel:BYTE_3 src1_sel:DWORD
	v_cmp_ne_u16_sdwa s[24:25], v9, v25 src0_sel:BYTE_1 src1_sel:DWORD
	v_lshrrev_b32_e32 v47, 22, v48
	v_lshrrev_b16_e32 v9, 4, v9
	v_cndmask_b32_e64 v48, 0, -1, s[24:25]
	v_cndmask_b32_e64 v50, 0, -1, s[22:23]
	v_bfe_i32 v9, v9, 0, 1
	v_lshlrev_b16_e32 v48, 8, v48
	v_bfe_i32 v47, v47, 0, 1
	v_lshlrev_b16_e32 v50, 8, v50
	v_or_b32_sdwa v49, v9, v48 dst_sel:DWORD dst_unused:UNUSED_PAD src0_sel:BYTE_0 src1_sel:DWORD
	v_or_b32_sdwa v51, v47, v50 dst_sel:WORD_1 dst_unused:UNUSED_PAD src0_sel:BYTE_0 src1_sel:DWORD
	v_or_b32_sdwa v49, v49, v51 dst_sel:DWORD dst_unused:UNUSED_PAD src0_sel:WORD_0 src1_sel:DWORD
	v_xor_b32_e32 v46, v46, v49
	v_and_b32_e32 v49, 0xffffff00, v46
	v_sub_i16 v48, v49, v48 clamp
	v_lshlrev_b16_e32 v49, 8, v46
	v_lshlrev_b16_e32 v9, 8, v9
	v_sub_i16 v9, v49, v9 clamp
	v_perm_b32 v9, v9, v48, s20
	v_and_b32_sdwa v48, v46, s19 dst_sel:DWORD dst_unused:UNUSED_PAD src0_sel:WORD_1 src1_sel:DWORD
	v_lshlrev_b16_sdwa v46, v30, v46 dst_sel:DWORD dst_unused:UNUSED_PAD src0_sel:DWORD src1_sel:WORD_1
	v_lshlrev_b16_e32 v47, 8, v47
	v_sub_i16 v48, v48, v50 clamp
	v_sub_i16 v46, v46, v47 clamp
	v_perm_b32 v46, v46, v48, s20
	v_lshl_or_b32 v9, v46, 16, v9
	v_dot4_i32_i8 v47, v9, v2, v45
	v_lshlrev_b32_sdwa v2, v29, v43 dst_sel:DWORD dst_unused:UNUSED_PAD src0_sel:DWORD src1_sel:BYTE_2
	global_load_dwordx2 v[45:46], v2, s[12:13]
	v_bfe_u32 v2, v44, 14, 8
	v_bcnt_u32_b32 v48, v2, 0
	v_and_b32_e32 v48, 1, v48
	v_lshlrev_b32_e32 v48, 7, v48
	v_xor_b32_e32 v2, v48, v2
	v_mul_lo_u32 v48, v2, s17
	v_and_b32_e32 v2, 0x8040201, v48
	v_cmp_ne_u16_sdwa s[22:23], v2, v25 src0_sel:BYTE_3 src1_sel:DWORD
	v_cmp_ne_u16_sdwa s[24:25], v2, v25 src0_sel:BYTE_1 src1_sel:DWORD
	v_lshrrev_b32_e32 v49, 18, v48
	v_cndmask_b32_e64 v50, 0, -1, s[24:25]
	v_cndmask_b32_e64 v52, 0, -1, s[22:23]
	v_bfe_i32 v2, v48, 0, 1
	v_lshlrev_b16_e32 v50, 8, v50
	v_bfe_i32 v49, v49, 0, 1
	v_lshlrev_b16_e32 v52, 8, v52
	v_or_b32_sdwa v51, v2, v50 dst_sel:DWORD dst_unused:UNUSED_PAD src0_sel:BYTE_0 src1_sel:DWORD
	v_or_b32_sdwa v53, v49, v52 dst_sel:WORD_1 dst_unused:UNUSED_PAD src0_sel:BYTE_0 src1_sel:DWORD
	v_or_b32_sdwa v51, v51, v53 dst_sel:DWORD dst_unused:UNUSED_PAD src0_sel:WORD_0 src1_sel:DWORD
	v_lshlrev_b16_e32 v2, 8, v2
	v_lshlrev_b16_e32 v49, 8, v49
	s_waitcnt vmcnt(0)
	v_xor_b32_e32 v45, v45, v51
	v_and_b32_e32 v51, 0xffffff00, v45
	v_sub_i16 v50, v51, v50 clamp
	v_lshlrev_b16_e32 v51, 8, v45
	v_sub_i16 v2, v51, v2 clamp
	v_perm_b32 v2, v2, v50, s20
	v_and_b32_sdwa v50, v45, s19 dst_sel:DWORD dst_unused:UNUSED_PAD src0_sel:WORD_1 src1_sel:DWORD
	v_lshlrev_b16_sdwa v45, v30, v45 dst_sel:DWORD dst_unused:UNUSED_PAD src0_sel:DWORD src1_sel:WORD_1
	v_sub_i16 v50, v50, v52 clamp
	v_sub_i16 v45, v45, v49 clamp
	v_perm_b32 v45, v45, v50, s20
	v_lshl_or_b32 v2, v45, 16, v2
	v_dot4_i32_i8 v45, v2, v3, v47
	v_and_b32_e32 v3, 0x80402010, v48
	v_cmp_ne_u16_sdwa s[22:23], v3, v25 src0_sel:BYTE_3 src1_sel:DWORD
	v_cmp_ne_u16_sdwa s[24:25], v3, v25 src0_sel:BYTE_1 src1_sel:DWORD
	v_lshrrev_b32_e32 v47, 22, v48
	v_lshrrev_b16_e32 v3, 4, v3
	v_cndmask_b32_e64 v48, 0, -1, s[24:25]
	v_cndmask_b32_e64 v50, 0, -1, s[22:23]
	v_bfe_i32 v3, v3, 0, 1
	v_lshlrev_b16_e32 v48, 8, v48
	v_bfe_i32 v47, v47, 0, 1
	v_lshlrev_b16_e32 v50, 8, v50
	v_or_b32_sdwa v49, v3, v48 dst_sel:DWORD dst_unused:UNUSED_PAD src0_sel:BYTE_0 src1_sel:DWORD
	v_or_b32_sdwa v51, v47, v50 dst_sel:WORD_1 dst_unused:UNUSED_PAD src0_sel:BYTE_0 src1_sel:DWORD
	v_or_b32_sdwa v49, v49, v51 dst_sel:DWORD dst_unused:UNUSED_PAD src0_sel:WORD_0 src1_sel:DWORD
	v_xor_b32_e32 v46, v46, v49
	v_and_b32_e32 v49, 0xffffff00, v46
	v_sub_i16 v48, v49, v48 clamp
	v_lshlrev_b16_e32 v49, 8, v46
	v_lshlrev_b16_e32 v3, 8, v3
	v_sub_i16 v3, v49, v3 clamp
	v_perm_b32 v3, v3, v48, s20
	v_and_b32_sdwa v48, v46, s19 dst_sel:DWORD dst_unused:UNUSED_PAD src0_sel:WORD_1 src1_sel:DWORD
	v_lshlrev_b16_sdwa v46, v30, v46 dst_sel:DWORD dst_unused:UNUSED_PAD src0_sel:DWORD src1_sel:WORD_1
	v_lshlrev_b16_e32 v47, 8, v47
	v_sub_i16 v48, v48, v50 clamp
	v_sub_i16 v46, v46, v47 clamp
	v_perm_b32 v46, v46, v48, s20
	v_lshl_or_b32 v3, v46, 16, v3
	v_dot4_i32_i8 v47, v3, v4, v45
	v_lshlrev_b32_sdwa v4, v29, v43 dst_sel:DWORD dst_unused:UNUSED_PAD src0_sel:DWORD src1_sel:BYTE_3
	global_load_dwordx2 v[45:46], v4, s[12:13]
	v_bfe_u32 v4, v44, 21, 8
	v_bcnt_u32_b32 v43, v4, 0
	v_and_b32_e32 v43, 1, v43
	v_lshlrev_b32_e32 v43, 7, v43
	v_xor_b32_e32 v4, v43, v4
	v_mul_lo_u32 v43, v4, s17
	v_and_b32_e32 v4, 0x8040201, v43
	v_cmp_ne_u16_sdwa s[12:13], v4, v25 src0_sel:BYTE_3 src1_sel:DWORD
	v_cmp_ne_u16_sdwa s[22:23], v4, v25 src0_sel:BYTE_1 src1_sel:DWORD
	v_lshrrev_b32_e32 v48, 18, v43
	v_cndmask_b32_e64 v49, 0, -1, s[22:23]
	v_cndmask_b32_e64 v51, 0, -1, s[12:13]
	v_bfe_i32 v4, v43, 0, 1
	v_lshlrev_b16_e32 v49, 8, v49
	v_bfe_i32 v48, v48, 0, 1
	v_lshlrev_b16_e32 v51, 8, v51
	v_or_b32_sdwa v50, v4, v49 dst_sel:DWORD dst_unused:UNUSED_PAD src0_sel:BYTE_0 src1_sel:DWORD
	v_or_b32_sdwa v52, v48, v51 dst_sel:WORD_1 dst_unused:UNUSED_PAD src0_sel:BYTE_0 src1_sel:DWORD
	v_or_b32_sdwa v50, v50, v52 dst_sel:DWORD dst_unused:UNUSED_PAD src0_sel:WORD_0 src1_sel:DWORD
	v_lshlrev_b16_e32 v4, 8, v4
	v_lshlrev_b16_e32 v48, 8, v48
	s_waitcnt vmcnt(0)
	v_xor_b32_e32 v45, v45, v50
	v_and_b32_e32 v50, 0xffffff00, v45
	v_sub_i16 v49, v50, v49 clamp
	v_lshlrev_b16_e32 v50, 8, v45
	v_sub_i16 v4, v50, v4 clamp
	v_perm_b32 v4, v4, v49, s20
	v_and_b32_sdwa v49, v45, s19 dst_sel:DWORD dst_unused:UNUSED_PAD src0_sel:WORD_1 src1_sel:DWORD
	v_lshlrev_b16_sdwa v45, v30, v45 dst_sel:DWORD dst_unused:UNUSED_PAD src0_sel:DWORD src1_sel:WORD_1
	v_sub_i16 v49, v49, v51 clamp
	v_sub_i16 v45, v45, v48 clamp
	v_perm_b32 v45, v45, v49, s20
	v_lshl_or_b32 v4, v45, 16, v4
	v_dot4_i32_i8 v45, v4, v5, v47
	v_and_b32_e32 v5, 0x80402010, v43
	v_cmp_ne_u16_sdwa s[12:13], v5, v25 src0_sel:BYTE_3 src1_sel:DWORD
	v_cmp_ne_u16_sdwa s[22:23], v5, v25 src0_sel:BYTE_1 src1_sel:DWORD
	v_lshrrev_b32_e32 v43, 22, v43
	v_lshrrev_b16_e32 v5, 4, v5
	v_cndmask_b32_e64 v47, 0, -1, s[22:23]
	v_cndmask_b32_e64 v49, 0, -1, s[12:13]
	v_bfe_i32 v5, v5, 0, 1
	v_lshlrev_b16_e32 v47, 8, v47
	v_bfe_i32 v43, v43, 0, 1
	v_lshlrev_b16_e32 v49, 8, v49
	v_or_b32_sdwa v48, v5, v47 dst_sel:DWORD dst_unused:UNUSED_PAD src0_sel:BYTE_0 src1_sel:DWORD
	v_or_b32_sdwa v50, v43, v49 dst_sel:WORD_1 dst_unused:UNUSED_PAD src0_sel:BYTE_0 src1_sel:DWORD
	v_or_b32_sdwa v48, v48, v50 dst_sel:DWORD dst_unused:UNUSED_PAD src0_sel:WORD_0 src1_sel:DWORD
	v_xor_b32_e32 v46, v46, v48
	v_and_b32_e32 v48, 0xffffff00, v46
	v_sub_i16 v47, v48, v47 clamp
	v_lshlrev_b16_e32 v48, 8, v46
	v_lshlrev_b16_e32 v5, 8, v5
	v_sub_i16 v5, v48, v5 clamp
	v_perm_b32 v5, v5, v47, s20
	v_and_b32_sdwa v47, v46, s19 dst_sel:DWORD dst_unused:UNUSED_PAD src0_sel:WORD_1 src1_sel:DWORD
	v_lshlrev_b16_sdwa v46, v30, v46 dst_sel:DWORD dst_unused:UNUSED_PAD src0_sel:DWORD src1_sel:WORD_1
	v_lshlrev_b16_e32 v43, 8, v43
	v_sub_i16 v47, v47, v49 clamp
	v_sub_i16 v43, v46, v43 clamp
	v_perm_b32 v43, v43, v47, s20
	v_lshl_or_b32 v5, v43, 16, v5
	v_dot4_i32_i8 v43, v5, v42, v45
	v_lshrrev_b32_e32 v42, 27, v44
	v_or_b32_e32 v42, 1, v42
	v_mul_lo_u32 v43, v43, v42
	v_mad_u64_u32 v[51:52], s[12:13], v26, 36, v[10:11]
	v_add_u32_e32 v26, 0x80, v26
	v_ashrrev_i32_e32 v44, 31, v43
	v_lshrrev_b32_e32 v44, 29, v44
	v_add_u32_e32 v43, v43, v44
	v_ashrrev_i32_e32 v43, 3, v43
	v_cvt_f32_i32_e32 v41, v43
	v_fmac_f32_e32 v22, v17, v41
	global_load_dword v17, v[51:52], off offset:32
	global_load_dwordx4 v[43:46], v[51:52], off offset:16
	global_load_dwordx4 v[47:50], v[51:52], off
	s_waitcnt vmcnt(0)
	v_cvt_f32_f16_e32 v41, v47
	v_dot4_i32_i8 v47, v6, v48, 0
	v_dot4_i32_i8 v47, v31, v49, v47
	;; [unrolled: 1-line block ×8, first 2 shown]
	v_mul_lo_u32 v47, v47, v38
	v_ashrrev_i32_e32 v51, 31, v47
	v_lshrrev_b32_e32 v51, 29, v51
	v_add_u32_e32 v47, v47, v51
	v_ashrrev_i32_e32 v47, 3, v47
	v_cvt_f32_i32_e32 v47, v47
	v_mul_f32_e32 v51, v39, v41
	v_mul_f32_e32 v41, v16, v41
	v_fmac_f32_e32 v21, v51, v47
	v_dot4_i32_i8 v47, v40, v48, 0
	v_dot4_i32_i8 v47, v7, v49, v47
	;; [unrolled: 1-line block ×8, first 2 shown]
	v_mul_lo_u32 v17, v17, v42
	v_mad_u64_u32 v[51:52], s[12:13], v27, 36, v[10:11]
	v_add_u32_e32 v27, 0x80, v27
	v_ashrrev_i32_e32 v43, 31, v17
	v_lshrrev_b32_e32 v43, 29, v43
	v_add_u32_e32 v17, v17, v43
	v_ashrrev_i32_e32 v17, 3, v17
	v_cvt_f32_i32_e32 v17, v17
	v_fmac_f32_e32 v20, v41, v17
	global_load_dword v17, v[51:52], off offset:32
	global_load_dwordx4 v[43:46], v[51:52], off offset:16
	global_load_dwordx4 v[47:50], v[51:52], off
	s_waitcnt vmcnt(0)
	v_dot4_i32_i8 v6, v6, v48, 0
	v_dot4_i32_i8 v6, v31, v49, v6
	;; [unrolled: 1-line block ×8, first 2 shown]
	v_mul_lo_u32 v6, v6, v38
	v_cvt_f32_f16_e32 v41, v47
	v_ashrrev_i32_e32 v31, 31, v6
	v_lshrrev_b32_e32 v31, 29, v31
	v_add_u32_e32 v6, v6, v31
	v_ashrrev_i32_e32 v6, 3, v6
	v_cvt_f32_i32_e32 v6, v6
	v_mul_f32_e32 v31, v39, v41
	v_fmac_f32_e32 v19, v31, v6
	v_dot4_i32_i8 v6, v40, v48, 0
	v_dot4_i32_i8 v6, v7, v49, v6
	v_dot4_i32_i8 v6, v8, v50, v6
	v_dot4_i32_i8 v6, v9, v43, v6
	v_dot4_i32_i8 v2, v2, v44, v6
	v_dot4_i32_i8 v2, v3, v45, v2
	v_dot4_i32_i8 v2, v4, v46, v2
	v_dot4_i32_i8 v2, v5, v17, v2
	v_mul_lo_u32 v2, v2, v42
	v_ashrrev_i32_e32 v3, 31, v2
	v_lshrrev_b32_e32 v3, 29, v3
	v_add_u32_e32 v2, v2, v3
	v_ashrrev_i32_e32 v2, 3, v2
	v_cvt_f32_i32_e32 v2, v2
	v_mul_f32_e32 v3, v16, v41
	v_fmac_f32_e32 v18, v3, v2
	s_andn2_b64 exec, exec, s[0:1]
	s_cbranch_execnz .LBB162_2
; %bb.3:
	s_or_b64 exec, exec, s[0:1]
.LBB162_4:
	s_or_b64 exec, exec, s[10:11]
	v_cmp_eq_u32_e32 vcc, 0, v1
	v_cmp_ne_u32_e64 s[0:1], 0, v1
	s_and_saveexec_b64 s[10:11], s[0:1]
	s_cbranch_execz .LBB162_6
; %bb.5:
	v_mul_u32_u24_e32 v1, 0x600, v1
	v_lshl_or_b32 v1, v0, 2, v1
	v_add_u32_e32 v1, 0xfffffa00, v1
	ds_write2st64_b32 v1, v23, v22 offset1:1
	ds_write2st64_b32 v1, v21, v20 offset0:2 offset1:3
	ds_write2st64_b32 v1, v19, v18 offset0:4 offset1:5
.LBB162_6:
	s_or_b64 exec, exec, s[10:11]
	s_waitcnt lgkmcnt(0)
	s_barrier
	s_and_saveexec_b64 s[0:1], vcc
	s_cbranch_execz .LBB162_13
; %bb.7:
	v_lshlrev_b32_e32 v3, 2, v0
	v_mbcnt_lo_u32_b32 v1, -1, 0
	v_mbcnt_hi_u32_b32 v7, -1, v1
	ds_read2st64_b32 v[5:6], v3 offset1:1
	v_and_b32_e32 v1, 64, v7
	v_add_u32_e32 v8, 64, v1
	v_xor_b32_e32 v1, 32, v7
	v_cmp_lt_i32_e32 vcc, v1, v8
	v_cndmask_b32_e32 v1, v7, v1, vcc
	v_lshlrev_b32_e32 v1, 2, v1
	s_waitcnt lgkmcnt(0)
	v_add_f32_e32 v10, v5, v23
	v_add_f32_e32 v6, v6, v22
	ds_bpermute_b32 v11, v1, v10
	ds_bpermute_b32 v12, v1, v6
	v_xor_b32_e32 v2, 16, v7
	v_cmp_lt_i32_e32 vcc, v2, v8
	v_cndmask_b32_e32 v2, v7, v2, vcc
	v_lshlrev_b32_e32 v2, 2, v2
	s_waitcnt lgkmcnt(1)
	v_add_f32_e32 v10, v10, v11
	s_waitcnt lgkmcnt(0)
	v_add_f32_e32 v6, v6, v12
	ds_bpermute_b32 v11, v2, v10
	ds_bpermute_b32 v12, v2, v6
	v_xor_b32_e32 v4, 8, v7
	v_cmp_lt_i32_e32 vcc, v4, v8
	v_cndmask_b32_e32 v4, v7, v4, vcc
	v_lshlrev_b32_e32 v4, 2, v4
	s_waitcnt lgkmcnt(1)
	v_add_f32_e32 v10, v10, v11
	s_waitcnt lgkmcnt(0)
	;; [unrolled: 10-line block ×3, first 2 shown]
	v_add_f32_e32 v12, v12, v13
	ds_bpermute_b32 v11, v5, v10
	ds_bpermute_b32 v13, v5, v12
	v_xor_b32_e32 v9, 2, v7
	v_cmp_lt_i32_e32 vcc, v9, v8
	v_cndmask_b32_e32 v9, v7, v9, vcc
	v_lshlrev_b32_e32 v6, 2, v9
	v_xor_b32_e32 v9, 1, v7
	v_cmp_lt_i32_e32 vcc, v9, v8
	s_waitcnt lgkmcnt(1)
	v_add_f32_e32 v8, v10, v11
	s_waitcnt lgkmcnt(0)
	v_add_f32_e32 v11, v12, v13
	ds_bpermute_b32 v10, v6, v8
	ds_bpermute_b32 v12, v6, v11
	s_load_dwordx2 s[0:1], s[4:5], 0x38
	v_cndmask_b32_e32 v7, v7, v9, vcc
	s_mul_i32 s4, s14, s7
	v_lshlrev_b32_e32 v9, 2, v7
	s_waitcnt lgkmcnt(0)
	v_add_f32_e32 v7, v8, v10
	v_add_f32_e32 v10, v11, v12
	s_mul_i32 s3, s18, s8
	s_add_i32 s4, s4, s6
	ds_bpermute_b32 v8, v9, v7
	ds_bpermute_b32 v11, v9, v10
	s_add_i32 s4, s4, s3
	s_mov_b32 s5, 0
	s_lshl_b64 s[4:5], s[4:5], 2
	s_add_u32 s4, s0, s4
	v_add_u32_e32 v12, s6, v0
	s_addc_u32 s5, s1, s5
	v_cmp_gt_u32_e32 vcc, 2, v0
	v_cmp_gt_u32_e64 s[0:1], s2, v12
	s_and_b64 s[0:1], vcc, s[0:1]
	s_waitcnt lgkmcnt(1)
	v_add_f32_e32 v7, v7, v8
	s_waitcnt lgkmcnt(0)
	v_add_f32_e32 v8, v10, v11
	s_and_saveexec_b64 s[6:7], s[0:1]
	s_cbranch_execz .LBB162_9
; %bb.8:
	v_cmp_eq_u32_e32 vcc, 1, v0
	v_cndmask_b32_e32 v10, v7, v8, vcc
	v_cmp_eq_u32_e32 vcc, 2, v0
	v_cndmask_b32_e32 v10, v10, v21, vcc
	;; [unrolled: 2-line block ×5, first 2 shown]
	global_store_dword v3, v10, s[4:5]
.LBB162_9:
	s_or_b64 exec, exec, s[6:7]
	ds_read2st64_b32 v[10:11], v3 offset0:2 offset1:3
	s_waitcnt lgkmcnt(0)
	v_add_f32_e32 v10, v10, v21
	v_add_f32_e32 v11, v11, v20
	ds_bpermute_b32 v12, v1, v10
	ds_bpermute_b32 v13, v1, v11
	s_waitcnt lgkmcnt(1)
	v_add_f32_e32 v10, v10, v12
	s_waitcnt lgkmcnt(0)
	v_add_f32_e32 v11, v11, v13
	ds_bpermute_b32 v12, v2, v10
	ds_bpermute_b32 v13, v2, v11
	s_waitcnt lgkmcnt(1)
	v_add_f32_e32 v10, v10, v12
	s_waitcnt lgkmcnt(0)
	;; [unrolled: 6-line block ×6, first 2 shown]
	v_add_f32_e32 v10, v12, v13
	s_and_saveexec_b64 s[6:7], s[0:1]
	s_cbranch_execz .LBB162_11
; %bb.10:
	v_add_u32_e32 v12, 2, v0
	v_cmp_eq_u32_e32 vcc, 1, v12
	v_cndmask_b32_e32 v13, v7, v8, vcc
	v_cmp_eq_u32_e32 vcc, 2, v12
	v_cndmask_b32_e32 v13, v13, v11, vcc
	;; [unrolled: 2-line block ×5, first 2 shown]
	v_add_u32_e32 v12, s2, v0
	v_mov_b32_e32 v13, 0
	v_lshlrev_b64 v[12:13], 2, v[12:13]
	v_mov_b32_e32 v15, s5
	v_add_co_u32_e32 v12, vcc, s4, v12
	v_addc_co_u32_e32 v13, vcc, v15, v13, vcc
	global_store_dword v[12:13], v14, off
.LBB162_11:
	s_or_b64 exec, exec, s[6:7]
	ds_read2st64_b32 v[12:13], v3 offset0:4 offset1:5
	s_waitcnt lgkmcnt(0)
	v_add_f32_e32 v3, v12, v19
	v_add_f32_e32 v12, v13, v18
	ds_bpermute_b32 v13, v1, v3
	ds_bpermute_b32 v1, v1, v12
	s_waitcnt lgkmcnt(1)
	v_add_f32_e32 v3, v3, v13
	s_waitcnt lgkmcnt(0)
	v_add_f32_e32 v1, v12, v1
	ds_bpermute_b32 v12, v2, v3
	ds_bpermute_b32 v2, v2, v1
	s_waitcnt lgkmcnt(1)
	v_add_f32_e32 v3, v3, v12
	s_waitcnt lgkmcnt(0)
	;; [unrolled: 6-line block ×5, first 2 shown]
	v_add_f32_e32 v2, v3, v4
	ds_bpermute_b32 v3, v9, v1
	ds_bpermute_b32 v4, v9, v2
	s_and_b64 exec, exec, s[0:1]
	s_cbranch_execz .LBB162_13
; %bb.12:
	s_waitcnt lgkmcnt(1)
	v_add_f32_e32 v1, v1, v3
	v_add_u32_e32 v3, 4, v0
	v_cmp_eq_u32_e32 vcc, 1, v3
	s_waitcnt lgkmcnt(0)
	v_add_f32_e32 v2, v2, v4
	v_cndmask_b32_e32 v4, v7, v8, vcc
	v_cmp_eq_u32_e32 vcc, 2, v3
	v_cndmask_b32_e32 v4, v4, v11, vcc
	v_cmp_eq_u32_e32 vcc, 3, v3
	v_cndmask_b32_e32 v4, v4, v10, vcc
	v_cmp_eq_u32_e32 vcc, 4, v3
	v_cndmask_b32_e32 v1, v4, v1, vcc
	v_cmp_eq_u32_e32 vcc, 5, v3
	v_cndmask_b32_e32 v2, v1, v2, vcc
	v_lshl_or_b32 v0, s2, 1, v0
	v_mov_b32_e32 v1, 0
	v_lshlrev_b64 v[0:1], 2, v[0:1]
	v_mov_b32_e32 v3, s5
	v_add_co_u32_e32 v0, vcc, s4, v0
	v_addc_co_u32_e32 v1, vcc, v3, v1, vcc
	global_store_dword v[0:1], v2, off
.LBB162_13:
	s_endpgm
	.section	.rodata,"a",@progbits
	.p2align	6, 0x0
	.amdhsa_kernel _ZL13mul_mat_vec_qIL9ggml_type16ELi3ELb0ELb0EEvPKvS2_PKi31ggml_cuda_mm_fusion_args_devicePfj15HIP_vector_typeIjLj3EEjjjS8_jjjS8_jjjj
		.amdhsa_group_segment_fixed_size 1536
		.amdhsa_private_segment_fixed_size 0
		.amdhsa_kernarg_size 144
		.amdhsa_user_sgpr_count 6
		.amdhsa_user_sgpr_private_segment_buffer 1
		.amdhsa_user_sgpr_dispatch_ptr 0
		.amdhsa_user_sgpr_queue_ptr 0
		.amdhsa_user_sgpr_kernarg_segment_ptr 1
		.amdhsa_user_sgpr_dispatch_id 0
		.amdhsa_user_sgpr_flat_scratch_init 0
		.amdhsa_user_sgpr_private_segment_size 0
		.amdhsa_uses_dynamic_stack 0
		.amdhsa_system_sgpr_private_segment_wavefront_offset 0
		.amdhsa_system_sgpr_workgroup_id_x 1
		.amdhsa_system_sgpr_workgroup_id_y 1
		.amdhsa_system_sgpr_workgroup_id_z 1
		.amdhsa_system_sgpr_workgroup_info 0
		.amdhsa_system_vgpr_workitem_id 1
		.amdhsa_next_free_vgpr 54
		.amdhsa_next_free_sgpr 26
		.amdhsa_reserve_vcc 1
		.amdhsa_reserve_flat_scratch 0
		.amdhsa_float_round_mode_32 0
		.amdhsa_float_round_mode_16_64 0
		.amdhsa_float_denorm_mode_32 3
		.amdhsa_float_denorm_mode_16_64 3
		.amdhsa_dx10_clamp 1
		.amdhsa_ieee_mode 1
		.amdhsa_fp16_overflow 0
		.amdhsa_exception_fp_ieee_invalid_op 0
		.amdhsa_exception_fp_denorm_src 0
		.amdhsa_exception_fp_ieee_div_zero 0
		.amdhsa_exception_fp_ieee_overflow 0
		.amdhsa_exception_fp_ieee_underflow 0
		.amdhsa_exception_fp_ieee_inexact 0
		.amdhsa_exception_int_div_zero 0
	.end_amdhsa_kernel
	.section	.text._ZL13mul_mat_vec_qIL9ggml_type16ELi3ELb0ELb0EEvPKvS2_PKi31ggml_cuda_mm_fusion_args_devicePfj15HIP_vector_typeIjLj3EEjjjS8_jjjS8_jjjj,"axG",@progbits,_ZL13mul_mat_vec_qIL9ggml_type16ELi3ELb0ELb0EEvPKvS2_PKi31ggml_cuda_mm_fusion_args_devicePfj15HIP_vector_typeIjLj3EEjjjS8_jjjS8_jjjj,comdat
.Lfunc_end162:
	.size	_ZL13mul_mat_vec_qIL9ggml_type16ELi3ELb0ELb0EEvPKvS2_PKi31ggml_cuda_mm_fusion_args_devicePfj15HIP_vector_typeIjLj3EEjjjS8_jjjS8_jjjj, .Lfunc_end162-_ZL13mul_mat_vec_qIL9ggml_type16ELi3ELb0ELb0EEvPKvS2_PKi31ggml_cuda_mm_fusion_args_devicePfj15HIP_vector_typeIjLj3EEjjjS8_jjjS8_jjjj
                                        ; -- End function
	.set _ZL13mul_mat_vec_qIL9ggml_type16ELi3ELb0ELb0EEvPKvS2_PKi31ggml_cuda_mm_fusion_args_devicePfj15HIP_vector_typeIjLj3EEjjjS8_jjjS8_jjjj.num_vgpr, 54
	.set _ZL13mul_mat_vec_qIL9ggml_type16ELi3ELb0ELb0EEvPKvS2_PKi31ggml_cuda_mm_fusion_args_devicePfj15HIP_vector_typeIjLj3EEjjjS8_jjjS8_jjjj.num_agpr, 0
	.set _ZL13mul_mat_vec_qIL9ggml_type16ELi3ELb0ELb0EEvPKvS2_PKi31ggml_cuda_mm_fusion_args_devicePfj15HIP_vector_typeIjLj3EEjjjS8_jjjS8_jjjj.numbered_sgpr, 26
	.set _ZL13mul_mat_vec_qIL9ggml_type16ELi3ELb0ELb0EEvPKvS2_PKi31ggml_cuda_mm_fusion_args_devicePfj15HIP_vector_typeIjLj3EEjjjS8_jjjS8_jjjj.num_named_barrier, 0
	.set _ZL13mul_mat_vec_qIL9ggml_type16ELi3ELb0ELb0EEvPKvS2_PKi31ggml_cuda_mm_fusion_args_devicePfj15HIP_vector_typeIjLj3EEjjjS8_jjjS8_jjjj.private_seg_size, 0
	.set _ZL13mul_mat_vec_qIL9ggml_type16ELi3ELb0ELb0EEvPKvS2_PKi31ggml_cuda_mm_fusion_args_devicePfj15HIP_vector_typeIjLj3EEjjjS8_jjjS8_jjjj.uses_vcc, 1
	.set _ZL13mul_mat_vec_qIL9ggml_type16ELi3ELb0ELb0EEvPKvS2_PKi31ggml_cuda_mm_fusion_args_devicePfj15HIP_vector_typeIjLj3EEjjjS8_jjjS8_jjjj.uses_flat_scratch, 0
	.set _ZL13mul_mat_vec_qIL9ggml_type16ELi3ELb0ELb0EEvPKvS2_PKi31ggml_cuda_mm_fusion_args_devicePfj15HIP_vector_typeIjLj3EEjjjS8_jjjS8_jjjj.has_dyn_sized_stack, 0
	.set _ZL13mul_mat_vec_qIL9ggml_type16ELi3ELb0ELb0EEvPKvS2_PKi31ggml_cuda_mm_fusion_args_devicePfj15HIP_vector_typeIjLj3EEjjjS8_jjjS8_jjjj.has_recursion, 0
	.set _ZL13mul_mat_vec_qIL9ggml_type16ELi3ELb0ELb0EEvPKvS2_PKi31ggml_cuda_mm_fusion_args_devicePfj15HIP_vector_typeIjLj3EEjjjS8_jjjS8_jjjj.has_indirect_call, 0
	.section	.AMDGPU.csdata,"",@progbits
; Kernel info:
; codeLenInByte = 5924
; TotalNumSgprs: 30
; NumVgprs: 54
; ScratchSize: 0
; MemoryBound: 0
; FloatMode: 240
; IeeeMode: 1
; LDSByteSize: 1536 bytes/workgroup (compile time only)
; SGPRBlocks: 3
; VGPRBlocks: 13
; NumSGPRsForWavesPerEU: 30
; NumVGPRsForWavesPerEU: 54
; Occupancy: 4
; WaveLimiterHint : 0
; COMPUTE_PGM_RSRC2:SCRATCH_EN: 0
; COMPUTE_PGM_RSRC2:USER_SGPR: 6
; COMPUTE_PGM_RSRC2:TRAP_HANDLER: 0
; COMPUTE_PGM_RSRC2:TGID_X_EN: 1
; COMPUTE_PGM_RSRC2:TGID_Y_EN: 1
; COMPUTE_PGM_RSRC2:TGID_Z_EN: 1
; COMPUTE_PGM_RSRC2:TIDIG_COMP_CNT: 1
	.section	.text._ZL13mul_mat_vec_qIL9ggml_type16ELi4ELb0ELb0EEvPKvS2_PKi31ggml_cuda_mm_fusion_args_devicePfj15HIP_vector_typeIjLj3EEjjjS8_jjjS8_jjjj,"axG",@progbits,_ZL13mul_mat_vec_qIL9ggml_type16ELi4ELb0ELb0EEvPKvS2_PKi31ggml_cuda_mm_fusion_args_devicePfj15HIP_vector_typeIjLj3EEjjjS8_jjjS8_jjjj,comdat
	.globl	_ZL13mul_mat_vec_qIL9ggml_type16ELi4ELb0ELb0EEvPKvS2_PKi31ggml_cuda_mm_fusion_args_devicePfj15HIP_vector_typeIjLj3EEjjjS8_jjjS8_jjjj ; -- Begin function _ZL13mul_mat_vec_qIL9ggml_type16ELi4ELb0ELb0EEvPKvS2_PKi31ggml_cuda_mm_fusion_args_devicePfj15HIP_vector_typeIjLj3EEjjjS8_jjjS8_jjjj
	.p2align	8
	.type	_ZL13mul_mat_vec_qIL9ggml_type16ELi4ELb0ELb0EEvPKvS2_PKi31ggml_cuda_mm_fusion_args_devicePfj15HIP_vector_typeIjLj3EEjjjS8_jjjS8_jjjj,@function
_ZL13mul_mat_vec_qIL9ggml_type16ELi4ELb0ELb0EEvPKvS2_PKi31ggml_cuda_mm_fusion_args_devicePfj15HIP_vector_typeIjLj3EEjjjS8_jjjS8_jjjj: ; @_ZL13mul_mat_vec_qIL9ggml_type16ELi4ELb0ELb0EEvPKvS2_PKi31ggml_cuda_mm_fusion_args_devicePfj15HIP_vector_typeIjLj3EEjjjS8_jjjS8_jjjj
; %bb.0:
	s_load_dword s9, s[4:5], 0x40
	s_load_dwordx4 s[0:3], s[4:5], 0x50
	s_load_dword s25, s[4:5], 0x60
	s_load_dwordx4 s[12:15], s[4:5], 0x68
	;; [unrolled: 2-line block ×3, first 2 shown]
	v_lshl_add_u32 v2, v1, 6, v0
	s_waitcnt lgkmcnt(0)
	s_lshr_b32 s9, s9, 8
	v_lshrrev_b32_e32 v27, 3, v2
	v_mov_b32_e32 v20, 0
	s_lshl_b32 s6, s6, 1
	v_cmp_gt_u32_e32 vcc, s9, v27
	v_mov_b32_e32 v21, v20
	v_mov_b32_e32 v22, v20
	v_mov_b32_e32 v23, v20
	v_mov_b32_e32 v24, v20
	v_mov_b32_e32 v25, v20
	v_mov_b32_e32 v26, v20
	v_mov_b32_e32 v19, v20
	s_and_saveexec_b64 s[10:11], vcc
	s_cbranch_execz .LBB163_4
; %bb.1:
	s_mul_hi_u32 s3, s3, s7
	s_add_i32 s3, s7, s3
	s_load_dwordx4 s[20:23], s[4:5], 0x0
	s_lshr_b32 s3, s3, s25
	s_mul_i32 s3, s3, s12
	s_mul_hi_u32 s12, s15, s8
	s_add_i32 s12, s8, s12
	s_lshr_b32 s12, s12, s24
	s_mul_i32 s19, s17, s8
	s_mul_i32 s15, s12, s16
	;; [unrolled: 1-line block ×3, first 2 shown]
	s_mul_hi_u32 s12, s19, 36
	s_waitcnt lgkmcnt(0)
	s_add_u32 s16, s22, s16
	s_addc_u32 s17, s23, s12
	s_mul_i32 s12, s13, s7
	s_mul_hi_u32 s13, s12, 36
	s_mul_i32 s12, s12, 36
	s_add_u32 s16, s16, s12
	s_addc_u32 s17, s17, s13
	v_and_b32_e32 v6, 7, v0
	v_lshlrev_b32_e32 v2, 1, v0
	v_mad_u64_u32 v[10:11], s[16:17], v6, 36, s[16:17]
	v_and_b32_e32 v2, 14, v2
	s_add_i32 s16, s6, 1
	s_add_i32 s15, s15, s3
	v_lshlrev_b32_e32 v5, 1, v2
	s_mul_i32 s3, s6, s0
	s_mul_i32 s0, s0, s16
	v_mov_b32_e32 v2, s12
	s_add_i32 s3, s15, s3
	s_add_i32 s15, s15, s0
	s_movk_i32 s0, 0x120
	v_mov_b32_e32 v3, s13
	v_mad_u64_u32 v[2:3], s[12:13], v27, s0, v[2:3]
	v_lshlrev_b32_e32 v4, 3, v27
	v_add_u32_e32 v29, s1, v4
	v_mad_u64_u32 v[2:3], s[12:13], s19, 36, v[2:3]
	v_mad_u64_u32 v[12:13], s[12:13], s1, 3, v[4:5]
	;; [unrolled: 1-line block ×3, first 2 shown]
	v_lshl_add_u32 v30, s1, 1, v4
	v_mov_b32_e32 v4, s23
	v_add_co_u32_e32 v2, vcc, s22, v2
	v_addc_co_u32_e32 v3, vcc, v4, v3, vcc
	v_add_co_u32_e32 v13, vcc, 16, v2
	v_mov_b32_e32 v15, s20
	v_mov_b32_e32 v28, 0
	v_addc_co_u32_e32 v14, vcc, 0, v3, vcc
	s_mov_b64 s[0:1], 0
	s_movk_i32 s16, 0x42
	v_mov_b32_e32 v16, s21
	v_lshlrev_b32_e32 v31, 1, v5
	s_mov_b32 s17, 0x1010101
	s_movk_i32 s19, 0xff00
	s_mov_b32 s20, 0xc0c0105
	v_mov_b32_e32 v32, 3
	v_mov_b32_e32 v33, 8
	;; [unrolled: 1-line block ×10, first 2 shown]
.LBB163_2:                              ; =>This Inner Loop Header: Depth=1
	v_add_u32_e32 v17, s3, v27
	v_mad_i64_i32 v[17:18], s[12:13], v17, s16, v[15:16]
	global_load_dword v44, v[13:14], off offset:16
	global_load_dwordx4 v[2:5], v[13:14], off
	global_load_dwordx4 v[6:9], v[13:14], off offset:-16
	s_getpc_b64 s[12:13]
	s_add_u32 s12, s12, _ZL11iq2xxs_grid@rel32@lo+4
	s_addc_u32 s13, s13, _ZL11iq2xxs_grid@rel32@hi+12
	v_add_co_u32_e32 v34, vcc, v17, v31
	v_addc_co_u32_e32 v35, vcc, 0, v18, vcc
	global_load_dwordx2 v[40:41], v[34:35], off offset:2
	s_waitcnt vmcnt(1)
	v_cvt_f32_f16_e32 v45, v6
	global_load_ushort v17, v[17:18], off
	s_waitcnt vmcnt(1)
	v_lshlrev_b32_sdwa v6, v32, v40 dst_sel:DWORD dst_unused:UNUSED_PAD src0_sel:DWORD src1_sel:BYTE_0
	global_load_dwordx2 v[34:35], v6, s[12:13]
	v_and_b32_e32 v6, 0xff, v41
	v_bcnt_u32_b32 v36, v6, 0
	v_and_b32_e32 v36, 1, v36
	v_lshlrev_b32_e32 v36, 7, v36
	v_xor_b32_e32 v6, v36, v6
	v_mul_lo_u32 v36, v6, s17
	v_and_b32_e32 v6, 0x8040201, v36
	v_cmp_ne_u16_sdwa s[22:23], v6, v28 src0_sel:BYTE_3 src1_sel:DWORD
	v_cmp_ne_u16_sdwa s[24:25], v6, v28 src0_sel:BYTE_1 src1_sel:DWORD
	v_lshrrev_b32_e32 v37, 18, v36
	v_cndmask_b32_e64 v38, 0, -1, s[24:25]
	v_cndmask_b32_e64 v42, 0, -1, s[22:23]
	v_bfe_i32 v6, v36, 0, 1
	v_lshlrev_b16_e32 v38, 8, v38
	v_bfe_i32 v37, v37, 0, 1
	v_lshlrev_b16_e32 v42, 8, v42
	v_or_b32_sdwa v39, v6, v38 dst_sel:DWORD dst_unused:UNUSED_PAD src0_sel:BYTE_0 src1_sel:DWORD
	v_or_b32_sdwa v43, v37, v42 dst_sel:WORD_1 dst_unused:UNUSED_PAD src0_sel:BYTE_0 src1_sel:DWORD
	v_or_b32_sdwa v39, v39, v43 dst_sel:DWORD dst_unused:UNUSED_PAD src0_sel:WORD_0 src1_sel:DWORD
	v_lshlrev_b16_e32 v6, 8, v6
	v_lshlrev_b16_e32 v37, 8, v37
	s_waitcnt vmcnt(0)
	v_xor_b32_e32 v34, v34, v39
	v_and_b32_e32 v39, 0xffffff00, v34
	v_sub_i16 v38, v39, v38 clamp
	v_lshlrev_b16_e32 v39, 8, v34
	v_sub_i16 v6, v39, v6 clamp
	v_perm_b32 v6, v6, v38, s20
	v_and_b32_sdwa v38, v34, s19 dst_sel:DWORD dst_unused:UNUSED_PAD src0_sel:WORD_1 src1_sel:DWORD
	v_lshlrev_b16_sdwa v34, v33, v34 dst_sel:DWORD dst_unused:UNUSED_PAD src0_sel:DWORD src1_sel:WORD_1
	v_sub_i16 v38, v38, v42 clamp
	v_sub_i16 v34, v34, v37 clamp
	v_perm_b32 v34, v34, v38, s20
	v_lshl_or_b32 v6, v34, 16, v6
	v_and_b32_e32 v34, 0x80402010, v36
	v_cmp_ne_u16_sdwa s[22:23], v34, v28 src0_sel:BYTE_3 src1_sel:DWORD
	v_cmp_ne_u16_sdwa s[24:25], v34, v28 src0_sel:BYTE_1 src1_sel:DWORD
	v_lshrrev_b32_e32 v36, 22, v36
	v_lshrrev_b16_e32 v34, 4, v34
	v_cndmask_b32_e64 v38, 0, -1, s[24:25]
	v_cndmask_b32_e64 v42, 0, -1, s[22:23]
	v_bfe_i32 v34, v34, 0, 1
	v_lshlrev_b16_e32 v38, 8, v38
	v_bfe_i32 v36, v36, 0, 1
	v_lshlrev_b16_e32 v42, 8, v42
	v_or_b32_sdwa v39, v34, v38 dst_sel:DWORD dst_unused:UNUSED_PAD src0_sel:BYTE_0 src1_sel:DWORD
	v_or_b32_sdwa v43, v36, v42 dst_sel:WORD_1 dst_unused:UNUSED_PAD src0_sel:BYTE_0 src1_sel:DWORD
	v_or_b32_sdwa v39, v39, v43 dst_sel:DWORD dst_unused:UNUSED_PAD src0_sel:WORD_0 src1_sel:DWORD
	v_xor_b32_e32 v35, v35, v39
	v_and_b32_e32 v39, 0xffffff00, v35
	v_sub_i16 v38, v39, v38 clamp
	v_lshlrev_b16_e32 v39, 8, v35
	v_lshlrev_b16_e32 v34, 8, v34
	v_sub_i16 v34, v39, v34 clamp
	v_perm_b32 v34, v34, v38, s20
	v_and_b32_sdwa v38, v35, s19 dst_sel:DWORD dst_unused:UNUSED_PAD src0_sel:WORD_1 src1_sel:DWORD
	v_lshlrev_b16_sdwa v35, v33, v35 dst_sel:DWORD dst_unused:UNUSED_PAD src0_sel:DWORD src1_sel:WORD_1
	v_lshlrev_b16_e32 v36, 8, v36
	v_sub_i16 v38, v38, v42 clamp
	v_sub_i16 v35, v35, v36 clamp
	v_perm_b32 v35, v35, v38, s20
	v_lshl_or_b32 v34, v35, 16, v34
	v_lshlrev_b32_sdwa v35, v32, v40 dst_sel:DWORD dst_unused:UNUSED_PAD src0_sel:DWORD src1_sel:BYTE_1
	global_load_dwordx2 v[35:36], v35, s[12:13]
	v_bfe_u32 v38, v41, 7, 8
	v_bcnt_u32_b32 v39, v38, 0
	v_and_b32_e32 v39, 1, v39
	v_lshlrev_b32_e32 v39, 7, v39
	v_xor_b32_e32 v38, v39, v38
	v_mul_lo_u32 v38, v38, s17
	v_dot4_i32_i8 v37, v6, v7, 0
	v_dot4_i32_i8 v37, v34, v8, v37
	v_and_b32_e32 v39, 0x8040201, v38
	v_cmp_ne_u16_sdwa s[22:23], v39, v28 src0_sel:BYTE_3 src1_sel:DWORD
	v_cmp_ne_u16_sdwa s[24:25], v39, v28 src0_sel:BYTE_1 src1_sel:DWORD
	v_lshrrev_b32_e32 v42, 18, v38
	v_cndmask_b32_e64 v43, 0, -1, s[24:25]
	v_cndmask_b32_e64 v47, 0, -1, s[22:23]
	v_bfe_i32 v39, v38, 0, 1
	v_lshlrev_b16_e32 v43, 8, v43
	v_bfe_i32 v42, v42, 0, 1
	v_lshlrev_b16_e32 v47, 8, v47
	v_or_b32_sdwa v46, v39, v43 dst_sel:DWORD dst_unused:UNUSED_PAD src0_sel:BYTE_0 src1_sel:DWORD
	v_or_b32_sdwa v48, v42, v47 dst_sel:WORD_1 dst_unused:UNUSED_PAD src0_sel:BYTE_0 src1_sel:DWORD
	v_or_b32_sdwa v46, v46, v48 dst_sel:DWORD dst_unused:UNUSED_PAD src0_sel:WORD_0 src1_sel:DWORD
	v_lshlrev_b16_e32 v39, 8, v39
	v_lshlrev_b16_e32 v42, 8, v42
	s_waitcnt vmcnt(0)
	v_xor_b32_e32 v35, v35, v46
	v_and_b32_e32 v46, 0xffffff00, v35
	v_sub_i16 v43, v46, v43 clamp
	v_lshlrev_b16_e32 v46, 8, v35
	v_sub_i16 v39, v46, v39 clamp
	v_perm_b32 v39, v39, v43, s20
	v_and_b32_sdwa v43, v35, s19 dst_sel:DWORD dst_unused:UNUSED_PAD src0_sel:WORD_1 src1_sel:DWORD
	v_lshlrev_b16_sdwa v35, v33, v35 dst_sel:DWORD dst_unused:UNUSED_PAD src0_sel:DWORD src1_sel:WORD_1
	v_sub_i16 v43, v43, v47 clamp
	v_sub_i16 v35, v35, v42 clamp
	v_perm_b32 v35, v35, v43, s20
	v_lshl_or_b32 v35, v35, 16, v39
	v_and_b32_e32 v39, 0x80402010, v38
	v_cmp_ne_u16_sdwa s[22:23], v39, v28 src0_sel:BYTE_3 src1_sel:DWORD
	v_cmp_ne_u16_sdwa s[24:25], v39, v28 src0_sel:BYTE_1 src1_sel:DWORD
	v_lshrrev_b32_e32 v38, 22, v38
	v_lshrrev_b16_e32 v39, 4, v39
	v_cndmask_b32_e64 v42, 0, -1, s[24:25]
	v_cndmask_b32_e64 v46, 0, -1, s[22:23]
	v_bfe_i32 v39, v39, 0, 1
	v_lshlrev_b16_e32 v42, 8, v42
	v_bfe_i32 v38, v38, 0, 1
	v_lshlrev_b16_e32 v46, 8, v46
	v_or_b32_sdwa v43, v39, v42 dst_sel:DWORD dst_unused:UNUSED_PAD src0_sel:BYTE_0 src1_sel:DWORD
	v_or_b32_sdwa v47, v38, v46 dst_sel:WORD_1 dst_unused:UNUSED_PAD src0_sel:BYTE_0 src1_sel:DWORD
	v_or_b32_sdwa v43, v43, v47 dst_sel:DWORD dst_unused:UNUSED_PAD src0_sel:WORD_0 src1_sel:DWORD
	v_xor_b32_e32 v36, v36, v43
	v_and_b32_e32 v43, 0xffffff00, v36
	v_sub_i16 v42, v43, v42 clamp
	v_lshlrev_b16_e32 v43, 8, v36
	v_lshlrev_b16_e32 v39, 8, v39
	v_sub_i16 v39, v43, v39 clamp
	v_perm_b32 v39, v39, v42, s20
	v_and_b32_sdwa v42, v36, s19 dst_sel:DWORD dst_unused:UNUSED_PAD src0_sel:WORD_1 src1_sel:DWORD
	v_lshlrev_b16_sdwa v36, v33, v36 dst_sel:DWORD dst_unused:UNUSED_PAD src0_sel:DWORD src1_sel:WORD_1
	v_lshlrev_b16_e32 v38, 8, v38
	v_sub_i16 v42, v42, v46 clamp
	v_sub_i16 v36, v36, v38 clamp
	v_perm_b32 v36, v36, v42, s20
	v_dot4_i32_i8 v37, v35, v9, v37
	v_lshl_or_b32 v36, v36, 16, v39
	v_dot4_i32_i8 v39, v36, v2, v37
	v_lshlrev_b32_sdwa v37, v32, v40 dst_sel:DWORD dst_unused:UNUSED_PAD src0_sel:DWORD src1_sel:BYTE_2
	global_load_dwordx2 v[37:38], v37, s[12:13]
	v_bfe_u32 v42, v41, 14, 8
	v_bcnt_u32_b32 v43, v42, 0
	v_and_b32_e32 v43, 1, v43
	v_lshlrev_b32_e32 v43, 7, v43
	v_xor_b32_e32 v42, v43, v42
	v_mul_lo_u32 v42, v42, s17
	v_and_b32_e32 v43, 0x8040201, v42
	v_cmp_ne_u16_sdwa s[22:23], v43, v28 src0_sel:BYTE_3 src1_sel:DWORD
	v_cmp_ne_u16_sdwa s[24:25], v43, v28 src0_sel:BYTE_1 src1_sel:DWORD
	v_lshrrev_b32_e32 v46, 18, v42
	v_cndmask_b32_e64 v47, 0, -1, s[24:25]
	v_cndmask_b32_e64 v49, 0, -1, s[22:23]
	v_bfe_i32 v43, v42, 0, 1
	v_lshlrev_b16_e32 v47, 8, v47
	v_bfe_i32 v46, v46, 0, 1
	v_lshlrev_b16_e32 v49, 8, v49
	v_or_b32_sdwa v48, v43, v47 dst_sel:DWORD dst_unused:UNUSED_PAD src0_sel:BYTE_0 src1_sel:DWORD
	v_or_b32_sdwa v50, v46, v49 dst_sel:WORD_1 dst_unused:UNUSED_PAD src0_sel:BYTE_0 src1_sel:DWORD
	v_or_b32_sdwa v48, v48, v50 dst_sel:DWORD dst_unused:UNUSED_PAD src0_sel:WORD_0 src1_sel:DWORD
	v_lshlrev_b16_e32 v43, 8, v43
	v_lshlrev_b16_e32 v46, 8, v46
	s_waitcnt vmcnt(0)
	v_xor_b32_e32 v37, v37, v48
	v_and_b32_e32 v48, 0xffffff00, v37
	v_sub_i16 v47, v48, v47 clamp
	v_lshlrev_b16_e32 v48, 8, v37
	v_sub_i16 v43, v48, v43 clamp
	v_perm_b32 v43, v43, v47, s20
	v_and_b32_sdwa v47, v37, s19 dst_sel:DWORD dst_unused:UNUSED_PAD src0_sel:WORD_1 src1_sel:DWORD
	v_lshlrev_b16_sdwa v37, v33, v37 dst_sel:DWORD dst_unused:UNUSED_PAD src0_sel:DWORD src1_sel:WORD_1
	v_sub_i16 v47, v47, v49 clamp
	v_sub_i16 v37, v37, v46 clamp
	v_perm_b32 v37, v37, v47, s20
	v_lshl_or_b32 v37, v37, 16, v43
	v_and_b32_e32 v43, 0x80402010, v42
	v_cmp_ne_u16_sdwa s[22:23], v43, v28 src0_sel:BYTE_3 src1_sel:DWORD
	v_cmp_ne_u16_sdwa s[24:25], v43, v28 src0_sel:BYTE_1 src1_sel:DWORD
	v_lshrrev_b32_e32 v42, 22, v42
	v_lshrrev_b16_e32 v43, 4, v43
	v_cndmask_b32_e64 v46, 0, -1, s[24:25]
	v_cndmask_b32_e64 v48, 0, -1, s[22:23]
	v_bfe_i32 v43, v43, 0, 1
	v_lshlrev_b16_e32 v46, 8, v46
	v_bfe_i32 v42, v42, 0, 1
	v_lshlrev_b16_e32 v48, 8, v48
	v_or_b32_sdwa v47, v43, v46 dst_sel:DWORD dst_unused:UNUSED_PAD src0_sel:BYTE_0 src1_sel:DWORD
	v_or_b32_sdwa v49, v42, v48 dst_sel:WORD_1 dst_unused:UNUSED_PAD src0_sel:BYTE_0 src1_sel:DWORD
	v_or_b32_sdwa v47, v47, v49 dst_sel:DWORD dst_unused:UNUSED_PAD src0_sel:WORD_0 src1_sel:DWORD
	v_xor_b32_e32 v38, v38, v47
	v_and_b32_e32 v47, 0xffffff00, v38
	v_sub_i16 v46, v47, v46 clamp
	v_lshlrev_b16_e32 v47, 8, v38
	v_lshlrev_b16_e32 v43, 8, v43
	v_sub_i16 v43, v47, v43 clamp
	v_perm_b32 v43, v43, v46, s20
	v_and_b32_sdwa v46, v38, s19 dst_sel:DWORD dst_unused:UNUSED_PAD src0_sel:WORD_1 src1_sel:DWORD
	v_lshlrev_b16_sdwa v38, v33, v38 dst_sel:DWORD dst_unused:UNUSED_PAD src0_sel:DWORD src1_sel:WORD_1
	v_lshlrev_b16_e32 v42, 8, v42
	v_sub_i16 v46, v46, v48 clamp
	v_sub_i16 v38, v38, v42 clamp
	v_perm_b32 v38, v38, v46, s20
	v_dot4_i32_i8 v39, v37, v3, v39
	v_lshl_or_b32 v38, v38, 16, v43
	v_dot4_i32_i8 v42, v38, v4, v39
	v_lshlrev_b32_sdwa v39, v32, v40 dst_sel:DWORD dst_unused:UNUSED_PAD src0_sel:DWORD src1_sel:BYTE_3
	global_load_dwordx2 v[39:40], v39, s[12:13]
	v_bfe_u32 v43, v41, 21, 8
	v_bcnt_u32_b32 v46, v43, 0
	v_and_b32_e32 v46, 1, v46
	v_lshlrev_b32_e32 v46, 7, v46
	v_xor_b32_e32 v43, v46, v43
	v_mul_lo_u32 v43, v43, s17
	v_lshrrev_b32_e32 v41, 27, v41
	v_or_b32_e32 v41, 1, v41
	v_and_b32_e32 v46, 0x8040201, v43
	v_cmp_ne_u16_sdwa s[22:23], v46, v28 src0_sel:BYTE_3 src1_sel:DWORD
	v_cmp_ne_u16_sdwa s[24:25], v46, v28 src0_sel:BYTE_1 src1_sel:DWORD
	v_lshrrev_b32_e32 v47, 18, v43
	v_cndmask_b32_e64 v48, 0, -1, s[24:25]
	v_cndmask_b32_e64 v50, 0, -1, s[22:23]
	v_bfe_i32 v46, v43, 0, 1
	v_lshlrev_b16_e32 v48, 8, v48
	v_bfe_i32 v47, v47, 0, 1
	v_lshlrev_b16_e32 v50, 8, v50
	v_or_b32_sdwa v49, v46, v48 dst_sel:DWORD dst_unused:UNUSED_PAD src0_sel:BYTE_0 src1_sel:DWORD
	v_or_b32_sdwa v51, v47, v50 dst_sel:WORD_1 dst_unused:UNUSED_PAD src0_sel:BYTE_0 src1_sel:DWORD
	v_or_b32_sdwa v49, v49, v51 dst_sel:DWORD dst_unused:UNUSED_PAD src0_sel:WORD_0 src1_sel:DWORD
	v_lshlrev_b16_e32 v46, 8, v46
	v_lshlrev_b16_e32 v47, 8, v47
	s_waitcnt vmcnt(0)
	v_xor_b32_e32 v39, v39, v49
	v_and_b32_e32 v49, 0xffffff00, v39
	v_sub_i16 v48, v49, v48 clamp
	v_lshlrev_b16_e32 v49, 8, v39
	v_sub_i16 v46, v49, v46 clamp
	v_perm_b32 v46, v46, v48, s20
	v_and_b32_sdwa v48, v39, s19 dst_sel:DWORD dst_unused:UNUSED_PAD src0_sel:WORD_1 src1_sel:DWORD
	v_lshlrev_b16_sdwa v39, v33, v39 dst_sel:DWORD dst_unused:UNUSED_PAD src0_sel:DWORD src1_sel:WORD_1
	v_sub_i16 v48, v48, v50 clamp
	v_sub_i16 v39, v39, v47 clamp
	v_perm_b32 v39, v39, v48, s20
	v_lshl_or_b32 v39, v39, 16, v46
	v_and_b32_e32 v46, 0x80402010, v43
	v_cmp_ne_u16_sdwa s[22:23], v46, v28 src0_sel:BYTE_3 src1_sel:DWORD
	v_cmp_ne_u16_sdwa s[24:25], v46, v28 src0_sel:BYTE_1 src1_sel:DWORD
	v_lshrrev_b32_e32 v43, 22, v43
	v_lshrrev_b16_e32 v46, 4, v46
	v_cndmask_b32_e64 v47, 0, -1, s[24:25]
	v_cndmask_b32_e64 v49, 0, -1, s[22:23]
	v_bfe_i32 v46, v46, 0, 1
	v_lshlrev_b16_e32 v47, 8, v47
	v_bfe_i32 v43, v43, 0, 1
	v_lshlrev_b16_e32 v49, 8, v49
	v_or_b32_sdwa v48, v46, v47 dst_sel:DWORD dst_unused:UNUSED_PAD src0_sel:BYTE_0 src1_sel:DWORD
	v_or_b32_sdwa v50, v43, v49 dst_sel:WORD_1 dst_unused:UNUSED_PAD src0_sel:BYTE_0 src1_sel:DWORD
	v_or_b32_sdwa v48, v48, v50 dst_sel:DWORD dst_unused:UNUSED_PAD src0_sel:WORD_0 src1_sel:DWORD
	v_xor_b32_e32 v40, v40, v48
	v_and_b32_e32 v48, 0xffffff00, v40
	v_sub_i16 v47, v48, v47 clamp
	v_lshlrev_b16_e32 v48, 8, v40
	v_lshlrev_b16_e32 v46, 8, v46
	v_sub_i16 v46, v48, v46 clamp
	v_perm_b32 v46, v46, v47, s20
	v_and_b32_sdwa v47, v40, s19 dst_sel:DWORD dst_unused:UNUSED_PAD src0_sel:WORD_1 src1_sel:DWORD
	v_lshlrev_b16_sdwa v40, v33, v40 dst_sel:DWORD dst_unused:UNUSED_PAD src0_sel:DWORD src1_sel:WORD_1
	v_lshlrev_b16_e32 v43, 8, v43
	v_sub_i16 v47, v47, v49 clamp
	v_sub_i16 v40, v40, v43 clamp
	v_perm_b32 v40, v40, v47, s20
	v_dot4_i32_i8 v42, v39, v5, v42
	v_lshl_or_b32 v40, v40, 16, v46
	v_dot4_i32_i8 v42, v40, v44, v42
	v_mul_lo_u32 v42, v42, v41
	v_ashrrev_i32_e32 v43, 31, v42
	v_lshrrev_b32_e32 v43, 29, v43
	v_add_u32_e32 v42, v42, v43
	v_ashrrev_i32_e32 v43, 3, v42
	v_cvt_f32_f16_e32 v42, v17
	v_cvt_f32_i32_e32 v18, v43
	v_mul_f32_e32 v17, v42, v45
	v_fmac_f32_e32 v26, v17, v18
	v_add_u32_e32 v17, s15, v27
	v_mad_i64_i32 v[17:18], s[22:23], v17, s16, v[15:16]
	v_add_u32_e32 v27, 16, v27
	v_add_co_u32_e32 v46, vcc, v17, v31
	v_addc_co_u32_e32 v47, vcc, 0, v18, vcc
	global_load_dwordx2 v[46:47], v[46:47], off offset:2
	v_add_co_u32_e32 v13, vcc, 0x1200, v13
	global_load_ushort v17, v[17:18], off
	v_addc_co_u32_e32 v14, vcc, 0, v14, vcc
	v_cmp_le_u32_e32 vcc, s9, v27
	s_or_b64 s[0:1], vcc, s[0:1]
	s_waitcnt vmcnt(1)
	v_lshlrev_b32_sdwa v43, v32, v46 dst_sel:DWORD dst_unused:UNUSED_PAD src0_sel:DWORD src1_sel:BYTE_0
	global_load_dwordx2 v[48:49], v43, s[12:13]
	v_and_b32_e32 v43, 0xff, v47
	v_bcnt_u32_b32 v50, v43, 0
	v_and_b32_e32 v50, 1, v50
	v_lshlrev_b32_e32 v50, 7, v50
	v_xor_b32_e32 v43, v50, v43
	v_mul_lo_u32 v50, v43, s17
	s_waitcnt vmcnt(1)
	v_cvt_f32_f16_e32 v17, v17
	v_and_b32_e32 v43, 0x8040201, v50
	v_cmp_ne_u16_sdwa s[22:23], v43, v28 src0_sel:BYTE_3 src1_sel:DWORD
	v_cmp_ne_u16_sdwa s[24:25], v43, v28 src0_sel:BYTE_1 src1_sel:DWORD
	v_lshrrev_b32_e32 v51, 18, v50
	v_cndmask_b32_e64 v52, 0, -1, s[24:25]
	v_cndmask_b32_e64 v54, 0, -1, s[22:23]
	v_bfe_i32 v43, v50, 0, 1
	v_lshlrev_b16_e32 v52, 8, v52
	v_bfe_i32 v51, v51, 0, 1
	v_lshlrev_b16_e32 v54, 8, v54
	v_or_b32_sdwa v53, v43, v52 dst_sel:DWORD dst_unused:UNUSED_PAD src0_sel:BYTE_0 src1_sel:DWORD
	v_or_b32_sdwa v55, v51, v54 dst_sel:WORD_1 dst_unused:UNUSED_PAD src0_sel:BYTE_0 src1_sel:DWORD
	v_or_b32_sdwa v53, v53, v55 dst_sel:DWORD dst_unused:UNUSED_PAD src0_sel:WORD_0 src1_sel:DWORD
	v_lshlrev_b16_e32 v43, 8, v43
	v_lshlrev_b16_e32 v51, 8, v51
	v_mul_f32_e32 v18, v17, v45
	s_waitcnt vmcnt(0)
	v_xor_b32_e32 v48, v48, v53
	v_and_b32_e32 v53, 0xffffff00, v48
	v_sub_i16 v52, v53, v52 clamp
	v_lshlrev_b16_e32 v53, 8, v48
	v_sub_i16 v43, v53, v43 clamp
	v_perm_b32 v43, v43, v52, s20
	v_and_b32_sdwa v52, v48, s19 dst_sel:DWORD dst_unused:UNUSED_PAD src0_sel:WORD_1 src1_sel:DWORD
	v_lshlrev_b16_sdwa v48, v33, v48 dst_sel:DWORD dst_unused:UNUSED_PAD src0_sel:DWORD src1_sel:WORD_1
	v_sub_i16 v52, v52, v54 clamp
	v_sub_i16 v48, v48, v51 clamp
	v_perm_b32 v48, v48, v52, s20
	v_lshl_or_b32 v43, v48, 16, v43
	v_dot4_i32_i8 v48, v43, v7, 0
	v_and_b32_e32 v7, 0x80402010, v50
	v_cmp_ne_u16_sdwa s[22:23], v7, v28 src0_sel:BYTE_3 src1_sel:DWORD
	v_cmp_ne_u16_sdwa s[24:25], v7, v28 src0_sel:BYTE_1 src1_sel:DWORD
	v_lshrrev_b32_e32 v50, 22, v50
	v_lshrrev_b16_e32 v7, 4, v7
	v_cndmask_b32_e64 v51, 0, -1, s[24:25]
	v_cndmask_b32_e64 v53, 0, -1, s[22:23]
	v_bfe_i32 v7, v7, 0, 1
	v_lshlrev_b16_e32 v51, 8, v51
	v_bfe_i32 v50, v50, 0, 1
	v_lshlrev_b16_e32 v53, 8, v53
	v_or_b32_sdwa v52, v7, v51 dst_sel:DWORD dst_unused:UNUSED_PAD src0_sel:BYTE_0 src1_sel:DWORD
	v_or_b32_sdwa v54, v50, v53 dst_sel:WORD_1 dst_unused:UNUSED_PAD src0_sel:BYTE_0 src1_sel:DWORD
	v_or_b32_sdwa v52, v52, v54 dst_sel:DWORD dst_unused:UNUSED_PAD src0_sel:WORD_0 src1_sel:DWORD
	v_xor_b32_e32 v49, v49, v52
	v_and_b32_e32 v52, 0xffffff00, v49
	v_sub_i16 v51, v52, v51 clamp
	v_lshlrev_b16_e32 v52, 8, v49
	v_lshlrev_b16_e32 v7, 8, v7
	v_sub_i16 v7, v52, v7 clamp
	v_perm_b32 v7, v7, v51, s20
	v_and_b32_sdwa v51, v49, s19 dst_sel:DWORD dst_unused:UNUSED_PAD src0_sel:WORD_1 src1_sel:DWORD
	v_lshlrev_b16_sdwa v49, v33, v49 dst_sel:DWORD dst_unused:UNUSED_PAD src0_sel:DWORD src1_sel:WORD_1
	v_lshlrev_b16_e32 v50, 8, v50
	v_sub_i16 v51, v51, v53 clamp
	v_sub_i16 v49, v49, v50 clamp
	v_perm_b32 v49, v49, v51, s20
	v_lshl_or_b32 v7, v49, 16, v7
	v_dot4_i32_i8 v50, v7, v8, v48
	v_lshlrev_b32_sdwa v8, v32, v46 dst_sel:DWORD dst_unused:UNUSED_PAD src0_sel:DWORD src1_sel:BYTE_1
	global_load_dwordx2 v[48:49], v8, s[12:13]
	v_bfe_u32 v8, v47, 7, 8
	v_bcnt_u32_b32 v51, v8, 0
	v_and_b32_e32 v51, 1, v51
	v_lshlrev_b32_e32 v51, 7, v51
	v_xor_b32_e32 v8, v51, v8
	v_mul_lo_u32 v51, v8, s17
	v_and_b32_e32 v8, 0x8040201, v51
	v_cmp_ne_u16_sdwa s[22:23], v8, v28 src0_sel:BYTE_3 src1_sel:DWORD
	v_cmp_ne_u16_sdwa s[24:25], v8, v28 src0_sel:BYTE_1 src1_sel:DWORD
	v_lshrrev_b32_e32 v52, 18, v51
	v_cndmask_b32_e64 v53, 0, -1, s[24:25]
	v_cndmask_b32_e64 v55, 0, -1, s[22:23]
	v_bfe_i32 v8, v51, 0, 1
	v_lshlrev_b16_e32 v53, 8, v53
	v_bfe_i32 v52, v52, 0, 1
	v_lshlrev_b16_e32 v55, 8, v55
	v_or_b32_sdwa v54, v8, v53 dst_sel:DWORD dst_unused:UNUSED_PAD src0_sel:BYTE_0 src1_sel:DWORD
	v_or_b32_sdwa v56, v52, v55 dst_sel:WORD_1 dst_unused:UNUSED_PAD src0_sel:BYTE_0 src1_sel:DWORD
	v_or_b32_sdwa v54, v54, v56 dst_sel:DWORD dst_unused:UNUSED_PAD src0_sel:WORD_0 src1_sel:DWORD
	v_lshlrev_b16_e32 v8, 8, v8
	v_lshlrev_b16_e32 v52, 8, v52
	s_waitcnt vmcnt(0)
	v_xor_b32_e32 v48, v48, v54
	v_and_b32_e32 v54, 0xffffff00, v48
	v_sub_i16 v53, v54, v53 clamp
	v_lshlrev_b16_e32 v54, 8, v48
	v_sub_i16 v8, v54, v8 clamp
	v_perm_b32 v8, v8, v53, s20
	v_and_b32_sdwa v53, v48, s19 dst_sel:DWORD dst_unused:UNUSED_PAD src0_sel:WORD_1 src1_sel:DWORD
	v_lshlrev_b16_sdwa v48, v33, v48 dst_sel:DWORD dst_unused:UNUSED_PAD src0_sel:DWORD src1_sel:WORD_1
	v_sub_i16 v53, v53, v55 clamp
	v_sub_i16 v48, v48, v52 clamp
	v_perm_b32 v48, v48, v53, s20
	v_lshl_or_b32 v8, v48, 16, v8
	v_dot4_i32_i8 v48, v8, v9, v50
	v_and_b32_e32 v9, 0x80402010, v51
	v_cmp_ne_u16_sdwa s[22:23], v9, v28 src0_sel:BYTE_3 src1_sel:DWORD
	v_cmp_ne_u16_sdwa s[24:25], v9, v28 src0_sel:BYTE_1 src1_sel:DWORD
	v_lshrrev_b32_e32 v50, 22, v51
	v_lshrrev_b16_e32 v9, 4, v9
	v_cndmask_b32_e64 v51, 0, -1, s[24:25]
	v_cndmask_b32_e64 v53, 0, -1, s[22:23]
	v_bfe_i32 v9, v9, 0, 1
	v_lshlrev_b16_e32 v51, 8, v51
	v_bfe_i32 v50, v50, 0, 1
	v_lshlrev_b16_e32 v53, 8, v53
	v_or_b32_sdwa v52, v9, v51 dst_sel:DWORD dst_unused:UNUSED_PAD src0_sel:BYTE_0 src1_sel:DWORD
	v_or_b32_sdwa v54, v50, v53 dst_sel:WORD_1 dst_unused:UNUSED_PAD src0_sel:BYTE_0 src1_sel:DWORD
	v_or_b32_sdwa v52, v52, v54 dst_sel:DWORD dst_unused:UNUSED_PAD src0_sel:WORD_0 src1_sel:DWORD
	v_xor_b32_e32 v49, v49, v52
	v_and_b32_e32 v52, 0xffffff00, v49
	v_sub_i16 v51, v52, v51 clamp
	v_lshlrev_b16_e32 v52, 8, v49
	v_lshlrev_b16_e32 v9, 8, v9
	v_sub_i16 v9, v52, v9 clamp
	v_perm_b32 v9, v9, v51, s20
	v_and_b32_sdwa v51, v49, s19 dst_sel:DWORD dst_unused:UNUSED_PAD src0_sel:WORD_1 src1_sel:DWORD
	v_lshlrev_b16_sdwa v49, v33, v49 dst_sel:DWORD dst_unused:UNUSED_PAD src0_sel:DWORD src1_sel:WORD_1
	v_lshlrev_b16_e32 v50, 8, v50
	v_sub_i16 v51, v51, v53 clamp
	v_sub_i16 v49, v49, v50 clamp
	v_perm_b32 v49, v49, v51, s20
	v_lshl_or_b32 v9, v49, 16, v9
	v_dot4_i32_i8 v50, v9, v2, v48
	v_lshlrev_b32_sdwa v2, v32, v46 dst_sel:DWORD dst_unused:UNUSED_PAD src0_sel:DWORD src1_sel:BYTE_2
	global_load_dwordx2 v[48:49], v2, s[12:13]
	v_bfe_u32 v2, v47, 14, 8
	v_bcnt_u32_b32 v51, v2, 0
	v_and_b32_e32 v51, 1, v51
	v_lshlrev_b32_e32 v51, 7, v51
	v_xor_b32_e32 v2, v51, v2
	v_mul_lo_u32 v51, v2, s17
	v_and_b32_e32 v2, 0x8040201, v51
	v_cmp_ne_u16_sdwa s[22:23], v2, v28 src0_sel:BYTE_3 src1_sel:DWORD
	v_cmp_ne_u16_sdwa s[24:25], v2, v28 src0_sel:BYTE_1 src1_sel:DWORD
	v_lshrrev_b32_e32 v52, 18, v51
	v_cndmask_b32_e64 v53, 0, -1, s[24:25]
	v_cndmask_b32_e64 v55, 0, -1, s[22:23]
	v_bfe_i32 v2, v51, 0, 1
	v_lshlrev_b16_e32 v53, 8, v53
	v_bfe_i32 v52, v52, 0, 1
	v_lshlrev_b16_e32 v55, 8, v55
	v_or_b32_sdwa v54, v2, v53 dst_sel:DWORD dst_unused:UNUSED_PAD src0_sel:BYTE_0 src1_sel:DWORD
	v_or_b32_sdwa v56, v52, v55 dst_sel:WORD_1 dst_unused:UNUSED_PAD src0_sel:BYTE_0 src1_sel:DWORD
	v_or_b32_sdwa v54, v54, v56 dst_sel:DWORD dst_unused:UNUSED_PAD src0_sel:WORD_0 src1_sel:DWORD
	v_lshlrev_b16_e32 v2, 8, v2
	v_lshlrev_b16_e32 v52, 8, v52
	s_waitcnt vmcnt(0)
	v_xor_b32_e32 v48, v48, v54
	v_and_b32_e32 v54, 0xffffff00, v48
	v_sub_i16 v53, v54, v53 clamp
	v_lshlrev_b16_e32 v54, 8, v48
	v_sub_i16 v2, v54, v2 clamp
	v_perm_b32 v2, v2, v53, s20
	v_and_b32_sdwa v53, v48, s19 dst_sel:DWORD dst_unused:UNUSED_PAD src0_sel:WORD_1 src1_sel:DWORD
	v_lshlrev_b16_sdwa v48, v33, v48 dst_sel:DWORD dst_unused:UNUSED_PAD src0_sel:DWORD src1_sel:WORD_1
	v_sub_i16 v53, v53, v55 clamp
	v_sub_i16 v48, v48, v52 clamp
	v_perm_b32 v48, v48, v53, s20
	v_lshl_or_b32 v2, v48, 16, v2
	v_dot4_i32_i8 v48, v2, v3, v50
	v_and_b32_e32 v3, 0x80402010, v51
	v_cmp_ne_u16_sdwa s[22:23], v3, v28 src0_sel:BYTE_3 src1_sel:DWORD
	v_cmp_ne_u16_sdwa s[24:25], v3, v28 src0_sel:BYTE_1 src1_sel:DWORD
	v_lshrrev_b32_e32 v50, 22, v51
	v_lshrrev_b16_e32 v3, 4, v3
	v_cndmask_b32_e64 v51, 0, -1, s[24:25]
	v_cndmask_b32_e64 v53, 0, -1, s[22:23]
	v_bfe_i32 v3, v3, 0, 1
	v_lshlrev_b16_e32 v51, 8, v51
	v_bfe_i32 v50, v50, 0, 1
	v_lshlrev_b16_e32 v53, 8, v53
	v_or_b32_sdwa v52, v3, v51 dst_sel:DWORD dst_unused:UNUSED_PAD src0_sel:BYTE_0 src1_sel:DWORD
	v_or_b32_sdwa v54, v50, v53 dst_sel:WORD_1 dst_unused:UNUSED_PAD src0_sel:BYTE_0 src1_sel:DWORD
	v_or_b32_sdwa v52, v52, v54 dst_sel:DWORD dst_unused:UNUSED_PAD src0_sel:WORD_0 src1_sel:DWORD
	v_xor_b32_e32 v49, v49, v52
	v_and_b32_e32 v52, 0xffffff00, v49
	v_sub_i16 v51, v52, v51 clamp
	v_lshlrev_b16_e32 v52, 8, v49
	v_lshlrev_b16_e32 v3, 8, v3
	v_sub_i16 v3, v52, v3 clamp
	v_perm_b32 v3, v3, v51, s20
	v_and_b32_sdwa v51, v49, s19 dst_sel:DWORD dst_unused:UNUSED_PAD src0_sel:WORD_1 src1_sel:DWORD
	v_lshlrev_b16_sdwa v49, v33, v49 dst_sel:DWORD dst_unused:UNUSED_PAD src0_sel:DWORD src1_sel:WORD_1
	v_lshlrev_b16_e32 v50, 8, v50
	v_sub_i16 v51, v51, v53 clamp
	v_sub_i16 v49, v49, v50 clamp
	v_perm_b32 v49, v49, v51, s20
	v_lshl_or_b32 v3, v49, 16, v3
	v_dot4_i32_i8 v50, v3, v4, v48
	v_lshlrev_b32_sdwa v4, v32, v46 dst_sel:DWORD dst_unused:UNUSED_PAD src0_sel:DWORD src1_sel:BYTE_3
	global_load_dwordx2 v[48:49], v4, s[12:13]
	v_bfe_u32 v4, v47, 21, 8
	v_bcnt_u32_b32 v46, v4, 0
	v_and_b32_e32 v46, 1, v46
	v_lshlrev_b32_e32 v46, 7, v46
	v_xor_b32_e32 v4, v46, v4
	v_mul_lo_u32 v46, v4, s17
	v_and_b32_e32 v4, 0x8040201, v46
	v_cmp_ne_u16_sdwa s[12:13], v4, v28 src0_sel:BYTE_3 src1_sel:DWORD
	v_cmp_ne_u16_sdwa s[22:23], v4, v28 src0_sel:BYTE_1 src1_sel:DWORD
	v_lshrrev_b32_e32 v51, 18, v46
	v_cndmask_b32_e64 v52, 0, -1, s[22:23]
	v_cndmask_b32_e64 v54, 0, -1, s[12:13]
	v_bfe_i32 v4, v46, 0, 1
	v_lshlrev_b16_e32 v52, 8, v52
	v_bfe_i32 v51, v51, 0, 1
	v_lshlrev_b16_e32 v54, 8, v54
	v_or_b32_sdwa v53, v4, v52 dst_sel:DWORD dst_unused:UNUSED_PAD src0_sel:BYTE_0 src1_sel:DWORD
	v_or_b32_sdwa v55, v51, v54 dst_sel:WORD_1 dst_unused:UNUSED_PAD src0_sel:BYTE_0 src1_sel:DWORD
	v_or_b32_sdwa v53, v53, v55 dst_sel:DWORD dst_unused:UNUSED_PAD src0_sel:WORD_0 src1_sel:DWORD
	v_lshlrev_b16_e32 v4, 8, v4
	v_lshlrev_b16_e32 v51, 8, v51
	s_waitcnt vmcnt(0)
	v_xor_b32_e32 v48, v48, v53
	v_and_b32_e32 v53, 0xffffff00, v48
	v_sub_i16 v52, v53, v52 clamp
	v_lshlrev_b16_e32 v53, 8, v48
	v_sub_i16 v4, v53, v4 clamp
	v_perm_b32 v4, v4, v52, s20
	v_and_b32_sdwa v52, v48, s19 dst_sel:DWORD dst_unused:UNUSED_PAD src0_sel:WORD_1 src1_sel:DWORD
	v_lshlrev_b16_sdwa v48, v33, v48 dst_sel:DWORD dst_unused:UNUSED_PAD src0_sel:DWORD src1_sel:WORD_1
	v_sub_i16 v52, v52, v54 clamp
	v_sub_i16 v48, v48, v51 clamp
	v_perm_b32 v48, v48, v52, s20
	v_lshl_or_b32 v4, v48, 16, v4
	v_dot4_i32_i8 v48, v4, v5, v50
	v_and_b32_e32 v5, 0x80402010, v46
	v_cmp_ne_u16_sdwa s[12:13], v5, v28 src0_sel:BYTE_3 src1_sel:DWORD
	v_cmp_ne_u16_sdwa s[22:23], v5, v28 src0_sel:BYTE_1 src1_sel:DWORD
	v_lshrrev_b32_e32 v46, 22, v46
	v_lshrrev_b16_e32 v5, 4, v5
	v_cndmask_b32_e64 v50, 0, -1, s[22:23]
	v_cndmask_b32_e64 v52, 0, -1, s[12:13]
	v_bfe_i32 v5, v5, 0, 1
	v_lshlrev_b16_e32 v50, 8, v50
	v_bfe_i32 v46, v46, 0, 1
	v_lshlrev_b16_e32 v52, 8, v52
	v_or_b32_sdwa v51, v5, v50 dst_sel:DWORD dst_unused:UNUSED_PAD src0_sel:BYTE_0 src1_sel:DWORD
	v_or_b32_sdwa v53, v46, v52 dst_sel:WORD_1 dst_unused:UNUSED_PAD src0_sel:BYTE_0 src1_sel:DWORD
	v_or_b32_sdwa v51, v51, v53 dst_sel:DWORD dst_unused:UNUSED_PAD src0_sel:WORD_0 src1_sel:DWORD
	v_xor_b32_e32 v49, v49, v51
	v_and_b32_e32 v51, 0xffffff00, v49
	v_sub_i16 v50, v51, v50 clamp
	v_lshlrev_b16_e32 v51, 8, v49
	v_lshlrev_b16_e32 v5, 8, v5
	v_sub_i16 v5, v51, v5 clamp
	v_perm_b32 v5, v5, v50, s20
	v_and_b32_sdwa v50, v49, s19 dst_sel:DWORD dst_unused:UNUSED_PAD src0_sel:WORD_1 src1_sel:DWORD
	v_lshlrev_b16_sdwa v49, v33, v49 dst_sel:DWORD dst_unused:UNUSED_PAD src0_sel:DWORD src1_sel:WORD_1
	v_lshlrev_b16_e32 v46, 8, v46
	v_sub_i16 v50, v50, v52 clamp
	v_sub_i16 v46, v49, v46 clamp
	v_perm_b32 v46, v46, v50, s20
	v_lshl_or_b32 v5, v46, 16, v5
	v_dot4_i32_i8 v46, v5, v44, v48
	v_lshrrev_b32_e32 v44, 27, v47
	v_or_b32_e32 v44, 1, v44
	v_mul_lo_u32 v46, v46, v44
	v_mad_u64_u32 v[53:54], s[12:13], v29, 36, v[10:11]
	v_add_u32_e32 v29, 0x80, v29
	v_ashrrev_i32_e32 v47, 31, v46
	v_lshrrev_b32_e32 v47, 29, v47
	v_add_u32_e32 v46, v46, v47
	v_ashrrev_i32_e32 v46, 3, v46
	v_cvt_f32_i32_e32 v45, v46
	v_fmac_f32_e32 v25, v18, v45
	global_load_dword v18, v[53:54], off offset:32
	global_load_dwordx4 v[45:48], v[53:54], off offset:16
	global_load_dwordx4 v[49:52], v[53:54], off
	s_waitcnt vmcnt(0)
	v_dot4_i32_i8 v53, v6, v50, 0
	v_dot4_i32_i8 v53, v34, v51, v53
	;; [unrolled: 1-line block ×12, first 2 shown]
	v_mul_lo_u32 v53, v53, v41
	v_dot4_i32_i8 v45, v2, v46, v45
	v_dot4_i32_i8 v45, v3, v47, v45
	;; [unrolled: 1-line block ×4, first 2 shown]
	v_ashrrev_i32_e32 v54, 31, v53
	v_mul_lo_u32 v18, v18, v44
	v_lshrrev_b32_e32 v54, 29, v54
	v_add_u32_e32 v53, v53, v54
	v_cvt_f32_f16_e32 v49, v49
	v_ashrrev_i32_e32 v53, 3, v53
	v_cvt_f32_i32_e32 v53, v53
	v_ashrrev_i32_e32 v45, 31, v18
	v_lshrrev_b32_e32 v45, 29, v45
	v_add_u32_e32 v18, v18, v45
	v_mul_f32_e32 v54, v42, v49
	v_ashrrev_i32_e32 v18, 3, v18
	v_fmac_f32_e32 v24, v54, v53
	v_cvt_f32_i32_e32 v18, v18
	v_mad_u64_u32 v[53:54], s[12:13], v30, 36, v[10:11]
	v_mul_f32_e32 v45, v17, v49
	v_fmac_f32_e32 v23, v45, v18
	global_load_dword v18, v[53:54], off offset:32
	global_load_dwordx4 v[45:48], v[53:54], off offset:16
	global_load_dwordx4 v[49:52], v[53:54], off
	v_add_u32_e32 v30, 0x80, v30
	s_waitcnt vmcnt(0)
	v_dot4_i32_i8 v53, v6, v50, 0
	v_dot4_i32_i8 v53, v34, v51, v53
	;; [unrolled: 1-line block ×12, first 2 shown]
	v_mul_lo_u32 v53, v53, v41
	v_dot4_i32_i8 v45, v2, v46, v45
	v_dot4_i32_i8 v45, v3, v47, v45
	;; [unrolled: 1-line block ×4, first 2 shown]
	v_ashrrev_i32_e32 v54, 31, v53
	v_mul_lo_u32 v18, v18, v44
	v_lshrrev_b32_e32 v54, 29, v54
	v_add_u32_e32 v53, v53, v54
	v_cvt_f32_f16_e32 v49, v49
	v_ashrrev_i32_e32 v53, 3, v53
	v_cvt_f32_i32_e32 v53, v53
	v_ashrrev_i32_e32 v45, 31, v18
	v_lshrrev_b32_e32 v45, 29, v45
	v_add_u32_e32 v18, v18, v45
	v_mul_f32_e32 v54, v42, v49
	v_ashrrev_i32_e32 v18, 3, v18
	v_fmac_f32_e32 v22, v54, v53
	v_cvt_f32_i32_e32 v18, v18
	v_mad_u64_u32 v[53:54], s[12:13], v12, 36, v[10:11]
	v_mul_f32_e32 v45, v17, v49
	v_fmac_f32_e32 v21, v45, v18
	global_load_dword v18, v[53:54], off offset:32
	global_load_dwordx4 v[45:48], v[53:54], off offset:16
	global_load_dwordx4 v[49:52], v[53:54], off
	v_add_u32_e32 v12, 0x80, v12
	s_waitcnt vmcnt(0)
	v_dot4_i32_i8 v6, v6, v50, 0
	v_dot4_i32_i8 v6, v34, v51, v6
	;; [unrolled: 1-line block ×8, first 2 shown]
	v_mul_lo_u32 v6, v6, v41
	v_cvt_f32_f16_e32 v49, v49
	v_ashrrev_i32_e32 v34, 31, v6
	v_lshrrev_b32_e32 v34, 29, v34
	v_add_u32_e32 v6, v6, v34
	v_ashrrev_i32_e32 v6, 3, v6
	v_cvt_f32_i32_e32 v6, v6
	v_mul_f32_e32 v34, v42, v49
	v_fmac_f32_e32 v20, v34, v6
	v_dot4_i32_i8 v6, v43, v50, 0
	v_dot4_i32_i8 v6, v7, v51, v6
	;; [unrolled: 1-line block ×8, first 2 shown]
	v_mul_lo_u32 v2, v2, v44
	v_ashrrev_i32_e32 v3, 31, v2
	v_lshrrev_b32_e32 v3, 29, v3
	v_add_u32_e32 v2, v2, v3
	v_ashrrev_i32_e32 v2, 3, v2
	v_cvt_f32_i32_e32 v2, v2
	v_mul_f32_e32 v3, v17, v49
	v_fmac_f32_e32 v19, v3, v2
	s_andn2_b64 exec, exec, s[0:1]
	s_cbranch_execnz .LBB163_2
; %bb.3:
	s_or_b64 exec, exec, s[0:1]
.LBB163_4:
	s_or_b64 exec, exec, s[10:11]
	v_cmp_eq_u32_e32 vcc, 0, v1
	v_cmp_ne_u32_e64 s[0:1], 0, v1
	v_lshlrev_b32_e32 v2, 2, v0
	s_and_saveexec_b64 s[10:11], s[0:1]
	s_cbranch_execz .LBB163_6
; %bb.5:
	v_lshl_or_b32 v1, v1, 11, v2
	v_add_u32_e32 v1, 0xfffff800, v1
	ds_write2st64_b32 v1, v26, v25 offset1:1
	ds_write2st64_b32 v1, v24, v23 offset0:2 offset1:3
	ds_write2st64_b32 v1, v22, v21 offset0:4 offset1:5
	;; [unrolled: 1-line block ×3, first 2 shown]
.LBB163_6:
	s_or_b64 exec, exec, s[10:11]
	s_waitcnt lgkmcnt(0)
	s_barrier
	s_and_saveexec_b64 s[0:1], vcc
	s_cbranch_execz .LBB163_15
; %bb.7:
	v_mbcnt_lo_u32_b32 v1, -1, 0
	v_mbcnt_hi_u32_b32 v7, -1, v1
	ds_read2st64_b32 v[5:6], v2 offset1:1
	v_and_b32_e32 v1, 64, v7
	v_add_u32_e32 v8, 64, v1
	v_xor_b32_e32 v1, 32, v7
	v_cmp_lt_i32_e32 vcc, v1, v8
	v_cndmask_b32_e32 v1, v7, v1, vcc
	v_lshlrev_b32_e32 v1, 2, v1
	s_waitcnt lgkmcnt(0)
	v_add_f32_e32 v10, v5, v26
	v_add_f32_e32 v6, v6, v25
	ds_bpermute_b32 v11, v1, v10
	ds_bpermute_b32 v12, v1, v6
	v_xor_b32_e32 v3, 16, v7
	v_cmp_lt_i32_e32 vcc, v3, v8
	v_cndmask_b32_e32 v3, v7, v3, vcc
	v_lshlrev_b32_e32 v3, 2, v3
	s_waitcnt lgkmcnt(1)
	v_add_f32_e32 v10, v10, v11
	s_waitcnt lgkmcnt(0)
	v_add_f32_e32 v6, v6, v12
	ds_bpermute_b32 v11, v3, v10
	ds_bpermute_b32 v12, v3, v6
	v_xor_b32_e32 v4, 8, v7
	v_cmp_lt_i32_e32 vcc, v4, v8
	v_cndmask_b32_e32 v4, v7, v4, vcc
	v_lshlrev_b32_e32 v4, 2, v4
	s_waitcnt lgkmcnt(1)
	v_add_f32_e32 v10, v10, v11
	s_waitcnt lgkmcnt(0)
	;; [unrolled: 10-line block ×3, first 2 shown]
	v_add_f32_e32 v12, v12, v13
	ds_bpermute_b32 v11, v5, v10
	ds_bpermute_b32 v13, v5, v12
	v_xor_b32_e32 v9, 2, v7
	v_cmp_lt_i32_e32 vcc, v9, v8
	v_cndmask_b32_e32 v9, v7, v9, vcc
	v_lshlrev_b32_e32 v6, 2, v9
	v_xor_b32_e32 v9, 1, v7
	v_cmp_lt_i32_e32 vcc, v9, v8
	s_waitcnt lgkmcnt(1)
	v_add_f32_e32 v8, v10, v11
	s_waitcnt lgkmcnt(0)
	v_add_f32_e32 v11, v12, v13
	ds_bpermute_b32 v10, v6, v8
	ds_bpermute_b32 v12, v6, v11
	s_load_dwordx2 s[0:1], s[4:5], 0x38
	v_cndmask_b32_e32 v7, v7, v9, vcc
	s_mul_i32 s4, s14, s7
	v_lshlrev_b32_e32 v9, 2, v7
	s_waitcnt lgkmcnt(0)
	v_add_f32_e32 v7, v8, v10
	v_add_f32_e32 v10, v11, v12
	s_mul_i32 s3, s18, s8
	s_add_i32 s4, s4, s6
	ds_bpermute_b32 v8, v9, v7
	ds_bpermute_b32 v11, v9, v10
	s_add_i32 s4, s4, s3
	s_mov_b32 s5, 0
	s_lshl_b64 s[4:5], s[4:5], 2
	s_add_u32 s4, s0, s4
	v_add_u32_e32 v12, s6, v0
	s_addc_u32 s5, s1, s5
	v_cmp_gt_u32_e32 vcc, 2, v0
	v_cmp_gt_u32_e64 s[0:1], s2, v12
	s_and_b64 s[0:1], vcc, s[0:1]
	s_waitcnt lgkmcnt(1)
	v_add_f32_e32 v7, v7, v8
	s_waitcnt lgkmcnt(0)
	v_add_f32_e32 v8, v10, v11
	s_and_saveexec_b64 s[6:7], s[0:1]
	s_cbranch_execz .LBB163_9
; %bb.8:
	v_cmp_eq_u32_e32 vcc, 1, v0
	v_cndmask_b32_e32 v10, v7, v8, vcc
	v_cmp_eq_u32_e32 vcc, 2, v0
	v_cndmask_b32_e32 v10, v10, v24, vcc
	;; [unrolled: 2-line block ×7, first 2 shown]
	global_store_dword v2, v10, s[4:5]
.LBB163_9:
	s_or_b64 exec, exec, s[6:7]
	ds_read2st64_b32 v[10:11], v2 offset0:2 offset1:3
	s_waitcnt lgkmcnt(0)
	v_add_f32_e32 v10, v10, v24
	v_add_f32_e32 v11, v11, v23
	ds_bpermute_b32 v12, v1, v10
	ds_bpermute_b32 v13, v1, v11
	s_waitcnt lgkmcnt(1)
	v_add_f32_e32 v10, v10, v12
	s_waitcnt lgkmcnt(0)
	v_add_f32_e32 v11, v11, v13
	ds_bpermute_b32 v12, v3, v10
	ds_bpermute_b32 v13, v3, v11
	s_waitcnt lgkmcnt(1)
	v_add_f32_e32 v10, v10, v12
	s_waitcnt lgkmcnt(0)
	;; [unrolled: 6-line block ×6, first 2 shown]
	v_add_f32_e32 v10, v12, v13
	s_and_saveexec_b64 s[6:7], s[0:1]
	s_cbranch_execz .LBB163_11
; %bb.10:
	v_add_u32_e32 v12, 2, v0
	v_cmp_eq_u32_e32 vcc, 1, v12
	v_cndmask_b32_e32 v13, v7, v8, vcc
	v_cmp_eq_u32_e32 vcc, 2, v12
	v_cndmask_b32_e32 v13, v13, v11, vcc
	;; [unrolled: 2-line block ×7, first 2 shown]
	v_add_u32_e32 v12, s2, v0
	v_mov_b32_e32 v13, 0
	v_lshlrev_b64 v[12:13], 2, v[12:13]
	v_mov_b32_e32 v15, s5
	v_add_co_u32_e32 v12, vcc, s4, v12
	v_addc_co_u32_e32 v13, vcc, v15, v13, vcc
	global_store_dword v[12:13], v14, off
.LBB163_11:
	s_or_b64 exec, exec, s[6:7]
	ds_read2st64_b32 v[12:13], v2 offset0:4 offset1:5
	s_waitcnt lgkmcnt(0)
	v_add_f32_e32 v12, v12, v22
	v_add_f32_e32 v13, v13, v21
	ds_bpermute_b32 v14, v1, v12
	ds_bpermute_b32 v15, v1, v13
	s_waitcnt lgkmcnt(1)
	v_add_f32_e32 v12, v12, v14
	s_waitcnt lgkmcnt(0)
	v_add_f32_e32 v13, v13, v15
	ds_bpermute_b32 v14, v3, v12
	ds_bpermute_b32 v15, v3, v13
	s_waitcnt lgkmcnt(1)
	v_add_f32_e32 v12, v12, v14
	s_waitcnt lgkmcnt(0)
	;; [unrolled: 6-line block ×6, first 2 shown]
	v_add_f32_e32 v12, v14, v15
	s_and_saveexec_b64 s[6:7], s[0:1]
	s_cbranch_execz .LBB163_13
; %bb.12:
	v_add_u32_e32 v14, 4, v0
	v_cmp_eq_u32_e32 vcc, 1, v14
	v_cndmask_b32_e32 v15, v7, v8, vcc
	v_cmp_eq_u32_e32 vcc, 2, v14
	v_cndmask_b32_e32 v15, v15, v11, vcc
	;; [unrolled: 2-line block ×7, first 2 shown]
	v_lshl_or_b32 v14, s2, 1, v0
	v_mov_b32_e32 v15, 0
	v_lshlrev_b64 v[14:15], 2, v[14:15]
	v_mov_b32_e32 v17, s5
	v_add_co_u32_e32 v14, vcc, s4, v14
	v_addc_co_u32_e32 v15, vcc, v17, v15, vcc
	global_store_dword v[14:15], v16, off
.LBB163_13:
	s_or_b64 exec, exec, s[6:7]
	ds_read2st64_b32 v[14:15], v2 offset0:6 offset1:7
	s_waitcnt lgkmcnt(0)
	v_add_f32_e32 v2, v14, v20
	v_add_f32_e32 v14, v15, v19
	ds_bpermute_b32 v15, v1, v2
	ds_bpermute_b32 v1, v1, v14
	s_waitcnt lgkmcnt(1)
	v_add_f32_e32 v2, v2, v15
	s_waitcnt lgkmcnt(0)
	v_add_f32_e32 v1, v14, v1
	ds_bpermute_b32 v14, v3, v2
	ds_bpermute_b32 v3, v3, v1
	s_waitcnt lgkmcnt(1)
	v_add_f32_e32 v2, v2, v14
	s_waitcnt lgkmcnt(0)
	;; [unrolled: 6-line block ×5, first 2 shown]
	v_add_f32_e32 v2, v3, v4
	ds_bpermute_b32 v3, v9, v1
	ds_bpermute_b32 v4, v9, v2
	s_and_b64 exec, exec, s[0:1]
	s_cbranch_execz .LBB163_15
; %bb.14:
	s_waitcnt lgkmcnt(1)
	v_add_f32_e32 v1, v1, v3
	v_add_u32_e32 v3, 6, v0
	v_cmp_eq_u32_e32 vcc, 1, v3
	s_waitcnt lgkmcnt(0)
	v_add_f32_e32 v2, v2, v4
	v_cndmask_b32_e32 v4, v7, v8, vcc
	v_cmp_eq_u32_e32 vcc, 2, v3
	v_cndmask_b32_e32 v4, v4, v11, vcc
	v_cmp_eq_u32_e32 vcc, 3, v3
	;; [unrolled: 2-line block ×5, first 2 shown]
	v_cndmask_b32_e32 v4, v4, v1, vcc
	v_mad_u64_u32 v[0:1], s[0:1], s2, 3, v[0:1]
	v_mov_b32_e32 v1, 0
	v_cmp_eq_u32_e32 vcc, 7, v3
	v_lshlrev_b64 v[0:1], 2, v[0:1]
	v_cndmask_b32_e32 v2, v4, v2, vcc
	v_mov_b32_e32 v3, s5
	v_add_co_u32_e32 v0, vcc, s4, v0
	v_addc_co_u32_e32 v1, vcc, v3, v1, vcc
	global_store_dword v[0:1], v2, off
.LBB163_15:
	s_endpgm
	.section	.rodata,"a",@progbits
	.p2align	6, 0x0
	.amdhsa_kernel _ZL13mul_mat_vec_qIL9ggml_type16ELi4ELb0ELb0EEvPKvS2_PKi31ggml_cuda_mm_fusion_args_devicePfj15HIP_vector_typeIjLj3EEjjjS8_jjjS8_jjjj
		.amdhsa_group_segment_fixed_size 2048
		.amdhsa_private_segment_fixed_size 0
		.amdhsa_kernarg_size 144
		.amdhsa_user_sgpr_count 6
		.amdhsa_user_sgpr_private_segment_buffer 1
		.amdhsa_user_sgpr_dispatch_ptr 0
		.amdhsa_user_sgpr_queue_ptr 0
		.amdhsa_user_sgpr_kernarg_segment_ptr 1
		.amdhsa_user_sgpr_dispatch_id 0
		.amdhsa_user_sgpr_flat_scratch_init 0
		.amdhsa_user_sgpr_private_segment_size 0
		.amdhsa_uses_dynamic_stack 0
		.amdhsa_system_sgpr_private_segment_wavefront_offset 0
		.amdhsa_system_sgpr_workgroup_id_x 1
		.amdhsa_system_sgpr_workgroup_id_y 1
		.amdhsa_system_sgpr_workgroup_id_z 1
		.amdhsa_system_sgpr_workgroup_info 0
		.amdhsa_system_vgpr_workitem_id 1
		.amdhsa_next_free_vgpr 57
		.amdhsa_next_free_sgpr 61
		.amdhsa_reserve_vcc 1
		.amdhsa_reserve_flat_scratch 0
		.amdhsa_float_round_mode_32 0
		.amdhsa_float_round_mode_16_64 0
		.amdhsa_float_denorm_mode_32 3
		.amdhsa_float_denorm_mode_16_64 3
		.amdhsa_dx10_clamp 1
		.amdhsa_ieee_mode 1
		.amdhsa_fp16_overflow 0
		.amdhsa_exception_fp_ieee_invalid_op 0
		.amdhsa_exception_fp_denorm_src 0
		.amdhsa_exception_fp_ieee_div_zero 0
		.amdhsa_exception_fp_ieee_overflow 0
		.amdhsa_exception_fp_ieee_underflow 0
		.amdhsa_exception_fp_ieee_inexact 0
		.amdhsa_exception_int_div_zero 0
	.end_amdhsa_kernel
	.section	.text._ZL13mul_mat_vec_qIL9ggml_type16ELi4ELb0ELb0EEvPKvS2_PKi31ggml_cuda_mm_fusion_args_devicePfj15HIP_vector_typeIjLj3EEjjjS8_jjjS8_jjjj,"axG",@progbits,_ZL13mul_mat_vec_qIL9ggml_type16ELi4ELb0ELb0EEvPKvS2_PKi31ggml_cuda_mm_fusion_args_devicePfj15HIP_vector_typeIjLj3EEjjjS8_jjjS8_jjjj,comdat
.Lfunc_end163:
	.size	_ZL13mul_mat_vec_qIL9ggml_type16ELi4ELb0ELb0EEvPKvS2_PKi31ggml_cuda_mm_fusion_args_devicePfj15HIP_vector_typeIjLj3EEjjjS8_jjjS8_jjjj, .Lfunc_end163-_ZL13mul_mat_vec_qIL9ggml_type16ELi4ELb0ELb0EEvPKvS2_PKi31ggml_cuda_mm_fusion_args_devicePfj15HIP_vector_typeIjLj3EEjjjS8_jjjS8_jjjj
                                        ; -- End function
	.set _ZL13mul_mat_vec_qIL9ggml_type16ELi4ELb0ELb0EEvPKvS2_PKi31ggml_cuda_mm_fusion_args_devicePfj15HIP_vector_typeIjLj3EEjjjS8_jjjS8_jjjj.num_vgpr, 57
	.set _ZL13mul_mat_vec_qIL9ggml_type16ELi4ELb0ELb0EEvPKvS2_PKi31ggml_cuda_mm_fusion_args_devicePfj15HIP_vector_typeIjLj3EEjjjS8_jjjS8_jjjj.num_agpr, 0
	.set _ZL13mul_mat_vec_qIL9ggml_type16ELi4ELb0ELb0EEvPKvS2_PKi31ggml_cuda_mm_fusion_args_devicePfj15HIP_vector_typeIjLj3EEjjjS8_jjjS8_jjjj.numbered_sgpr, 26
	.set _ZL13mul_mat_vec_qIL9ggml_type16ELi4ELb0ELb0EEvPKvS2_PKi31ggml_cuda_mm_fusion_args_devicePfj15HIP_vector_typeIjLj3EEjjjS8_jjjS8_jjjj.num_named_barrier, 0
	.set _ZL13mul_mat_vec_qIL9ggml_type16ELi4ELb0ELb0EEvPKvS2_PKi31ggml_cuda_mm_fusion_args_devicePfj15HIP_vector_typeIjLj3EEjjjS8_jjjS8_jjjj.private_seg_size, 0
	.set _ZL13mul_mat_vec_qIL9ggml_type16ELi4ELb0ELb0EEvPKvS2_PKi31ggml_cuda_mm_fusion_args_devicePfj15HIP_vector_typeIjLj3EEjjjS8_jjjS8_jjjj.uses_vcc, 1
	.set _ZL13mul_mat_vec_qIL9ggml_type16ELi4ELb0ELb0EEvPKvS2_PKi31ggml_cuda_mm_fusion_args_devicePfj15HIP_vector_typeIjLj3EEjjjS8_jjjS8_jjjj.uses_flat_scratch, 0
	.set _ZL13mul_mat_vec_qIL9ggml_type16ELi4ELb0ELb0EEvPKvS2_PKi31ggml_cuda_mm_fusion_args_devicePfj15HIP_vector_typeIjLj3EEjjjS8_jjjS8_jjjj.has_dyn_sized_stack, 0
	.set _ZL13mul_mat_vec_qIL9ggml_type16ELi4ELb0ELb0EEvPKvS2_PKi31ggml_cuda_mm_fusion_args_devicePfj15HIP_vector_typeIjLj3EEjjjS8_jjjS8_jjjj.has_recursion, 0
	.set _ZL13mul_mat_vec_qIL9ggml_type16ELi4ELb0ELb0EEvPKvS2_PKi31ggml_cuda_mm_fusion_args_devicePfj15HIP_vector_typeIjLj3EEjjjS8_jjjS8_jjjj.has_indirect_call, 0
	.section	.AMDGPU.csdata,"",@progbits
; Kernel info:
; codeLenInByte = 6568
; TotalNumSgprs: 30
; NumVgprs: 57
; ScratchSize: 0
; MemoryBound: 0
; FloatMode: 240
; IeeeMode: 1
; LDSByteSize: 2048 bytes/workgroup (compile time only)
; SGPRBlocks: 8
; VGPRBlocks: 14
; NumSGPRsForWavesPerEU: 65
; NumVGPRsForWavesPerEU: 57
; Occupancy: 4
; WaveLimiterHint : 0
; COMPUTE_PGM_RSRC2:SCRATCH_EN: 0
; COMPUTE_PGM_RSRC2:USER_SGPR: 6
; COMPUTE_PGM_RSRC2:TRAP_HANDLER: 0
; COMPUTE_PGM_RSRC2:TGID_X_EN: 1
; COMPUTE_PGM_RSRC2:TGID_Y_EN: 1
; COMPUTE_PGM_RSRC2:TGID_Z_EN: 1
; COMPUTE_PGM_RSRC2:TIDIG_COMP_CNT: 1
	.section	.text._ZL13mul_mat_vec_qIL9ggml_type16ELi5ELb0ELb0EEvPKvS2_PKi31ggml_cuda_mm_fusion_args_devicePfj15HIP_vector_typeIjLj3EEjjjS8_jjjS8_jjjj,"axG",@progbits,_ZL13mul_mat_vec_qIL9ggml_type16ELi5ELb0ELb0EEvPKvS2_PKi31ggml_cuda_mm_fusion_args_devicePfj15HIP_vector_typeIjLj3EEjjjS8_jjjS8_jjjj,comdat
	.globl	_ZL13mul_mat_vec_qIL9ggml_type16ELi5ELb0ELb0EEvPKvS2_PKi31ggml_cuda_mm_fusion_args_devicePfj15HIP_vector_typeIjLj3EEjjjS8_jjjS8_jjjj ; -- Begin function _ZL13mul_mat_vec_qIL9ggml_type16ELi5ELb0ELb0EEvPKvS2_PKi31ggml_cuda_mm_fusion_args_devicePfj15HIP_vector_typeIjLj3EEjjjS8_jjjS8_jjjj
	.p2align	8
	.type	_ZL13mul_mat_vec_qIL9ggml_type16ELi5ELb0ELb0EEvPKvS2_PKi31ggml_cuda_mm_fusion_args_devicePfj15HIP_vector_typeIjLj3EEjjjS8_jjjS8_jjjj,@function
_ZL13mul_mat_vec_qIL9ggml_type16ELi5ELb0ELb0EEvPKvS2_PKi31ggml_cuda_mm_fusion_args_devicePfj15HIP_vector_typeIjLj3EEjjjS8_jjjS8_jjjj: ; @_ZL13mul_mat_vec_qIL9ggml_type16ELi5ELb0ELb0EEvPKvS2_PKi31ggml_cuda_mm_fusion_args_devicePfj15HIP_vector_typeIjLj3EEjjjS8_jjjS8_jjjj
; %bb.0:
	s_load_dword s9, s[4:5], 0x40
	s_load_dwordx4 s[0:3], s[4:5], 0x50
	s_load_dword s25, s[4:5], 0x60
	s_load_dwordx4 s[12:15], s[4:5], 0x68
	;; [unrolled: 2-line block ×3, first 2 shown]
	v_lshl_or_b32 v2, v1, 6, v0
	s_waitcnt lgkmcnt(0)
	s_lshr_b32 s9, s9, 8
	v_lshrrev_b32_e32 v28, 3, v2
	v_mov_b32_e32 v18, 0
	s_lshl_b32 s6, s6, 1
	v_cmp_gt_u32_e32 vcc, s9, v28
	v_mov_b32_e32 v19, v18
	v_mov_b32_e32 v20, v18
	;; [unrolled: 1-line block ×9, first 2 shown]
	s_and_saveexec_b64 s[10:11], vcc
	s_cbranch_execz .LBB164_4
; %bb.1:
	s_mul_hi_u32 s3, s3, s7
	s_add_i32 s3, s7, s3
	s_load_dwordx4 s[20:23], s[4:5], 0x0
	s_lshr_b32 s3, s3, s25
	s_mul_i32 s3, s3, s12
	s_mul_hi_u32 s12, s15, s8
	s_add_i32 s12, s8, s12
	s_lshr_b32 s12, s12, s24
	s_mul_i32 s19, s17, s8
	s_mul_i32 s15, s12, s16
	s_mul_i32 s16, s19, 36
	s_mul_hi_u32 s12, s19, 36
	s_waitcnt lgkmcnt(0)
	s_add_u32 s16, s22, s16
	s_addc_u32 s17, s23, s12
	s_mul_i32 s12, s13, s7
	s_mul_hi_u32 s13, s12, 36
	s_mul_i32 s12, s12, 36
	s_add_u32 s16, s16, s12
	s_addc_u32 s17, s17, s13
	v_lshlrev_b32_e32 v2, 1, v0
	v_and_b32_e32 v5, 7, v0
	v_and_b32_e32 v2, 14, v2
	v_mad_u64_u32 v[10:11], s[16:17], v5, 36, s[16:17]
	v_lshlrev_b32_e32 v4, 1, v2
	s_add_i32 s16, s6, 1
	v_mov_b32_e32 v2, s12
	s_add_i32 s15, s15, s3
	s_mul_i32 s3, s6, s0
	s_mul_i32 s0, s0, s16
	s_movk_i32 s16, 0x120
	v_mov_b32_e32 v3, s13
	v_mad_u64_u32 v[2:3], s[12:13], v28, s16, v[2:3]
	v_mov_b32_e32 v14, s20
	v_mov_b32_e32 v29, 0
	v_mad_u64_u32 v[2:3], s[12:13], s19, 36, v[2:3]
	s_add_i32 s3, s15, s3
	s_add_i32 s0, s15, s0
	v_mad_u64_u32 v[2:3], s[12:13], v5, 36, v[2:3]
	v_mov_b32_e32 v5, s23
	v_lshlrev_b32_e32 v30, 3, v28
	v_add_co_u32_e32 v2, vcc, s22, v2
	v_addc_co_u32_e32 v3, vcc, v5, v3, vcc
	v_add_co_u32_e32 v12, vcc, 16, v2
	s_lshl_b32 s15, s1, 2
	s_mul_i32 s19, s1, 3
	s_lshl_b32 s24, s1, 1
	v_addc_co_u32_e32 v13, vcc, 0, v3, vcc
	s_mov_b64 s[12:13], 0
	s_movk_i32 s22, 0x42
	v_lshlrev_b32_e32 v31, 1, v4
	s_mov_b32 s23, 0x1010101
	s_movk_i32 s25, 0xff00
	s_mov_b32 s26, 0xc0c0105
	v_mov_b32_e32 v32, 3
	v_mov_b32_e32 v33, 8
	;; [unrolled: 1-line block ×13, first 2 shown]
.LBB164_2:                              ; =>This Inner Loop Header: Depth=1
	v_add_u32_e32 v16, s3, v28
	v_mad_i64_i32 v[16:17], s[16:17], v16, s22, v[14:15]
	global_load_dword v44, v[12:13], off offset:16
	global_load_dwordx4 v[2:5], v[12:13], off
	global_load_dwordx4 v[6:9], v[12:13], off offset:-16
	s_getpc_b64 s[16:17]
	s_add_u32 s16, s16, _ZL11iq2xxs_grid@rel32@lo+4
	s_addc_u32 s17, s17, _ZL11iq2xxs_grid@rel32@hi+12
	v_add_co_u32_e32 v34, vcc, v16, v31
	v_addc_co_u32_e32 v35, vcc, 0, v17, vcc
	global_load_dwordx2 v[40:41], v[34:35], off offset:2
	s_waitcnt vmcnt(1)
	v_cvt_f32_f16_e32 v45, v6
	global_load_ushort v16, v[16:17], off
	s_waitcnt vmcnt(1)
	v_lshlrev_b32_sdwa v6, v32, v40 dst_sel:DWORD dst_unused:UNUSED_PAD src0_sel:DWORD src1_sel:BYTE_0
	global_load_dwordx2 v[34:35], v6, s[16:17]
	v_and_b32_e32 v6, 0xff, v41
	v_bcnt_u32_b32 v36, v6, 0
	v_and_b32_e32 v36, 1, v36
	v_lshlrev_b32_e32 v36, 7, v36
	v_xor_b32_e32 v6, v36, v6
	v_mul_lo_u32 v36, v6, s23
	v_and_b32_e32 v6, 0x8040201, v36
	v_cmp_ne_u16_sdwa s[20:21], v6, v29 src0_sel:BYTE_3 src1_sel:DWORD
	v_cmp_ne_u16_sdwa s[28:29], v6, v29 src0_sel:BYTE_1 src1_sel:DWORD
	v_lshrrev_b32_e32 v37, 18, v36
	v_cndmask_b32_e64 v38, 0, -1, s[28:29]
	v_cndmask_b32_e64 v42, 0, -1, s[20:21]
	v_bfe_i32 v6, v36, 0, 1
	v_lshlrev_b16_e32 v38, 8, v38
	v_bfe_i32 v37, v37, 0, 1
	v_lshlrev_b16_e32 v42, 8, v42
	v_or_b32_sdwa v39, v6, v38 dst_sel:DWORD dst_unused:UNUSED_PAD src0_sel:BYTE_0 src1_sel:DWORD
	v_or_b32_sdwa v43, v37, v42 dst_sel:WORD_1 dst_unused:UNUSED_PAD src0_sel:BYTE_0 src1_sel:DWORD
	v_or_b32_sdwa v39, v39, v43 dst_sel:DWORD dst_unused:UNUSED_PAD src0_sel:WORD_0 src1_sel:DWORD
	v_lshlrev_b16_e32 v6, 8, v6
	v_lshlrev_b16_e32 v37, 8, v37
	s_waitcnt vmcnt(0)
	v_xor_b32_e32 v34, v34, v39
	v_and_b32_e32 v39, 0xffffff00, v34
	v_sub_i16 v38, v39, v38 clamp
	v_lshlrev_b16_e32 v39, 8, v34
	v_sub_i16 v6, v39, v6 clamp
	v_perm_b32 v6, v6, v38, s26
	v_and_b32_sdwa v38, v34, s25 dst_sel:DWORD dst_unused:UNUSED_PAD src0_sel:WORD_1 src1_sel:DWORD
	v_lshlrev_b16_sdwa v34, v33, v34 dst_sel:DWORD dst_unused:UNUSED_PAD src0_sel:DWORD src1_sel:WORD_1
	v_sub_i16 v38, v38, v42 clamp
	v_sub_i16 v34, v34, v37 clamp
	v_perm_b32 v34, v34, v38, s26
	v_lshl_or_b32 v6, v34, 16, v6
	v_and_b32_e32 v34, 0x80402010, v36
	v_cmp_ne_u16_sdwa s[20:21], v34, v29 src0_sel:BYTE_3 src1_sel:DWORD
	v_cmp_ne_u16_sdwa s[28:29], v34, v29 src0_sel:BYTE_1 src1_sel:DWORD
	v_lshrrev_b32_e32 v36, 22, v36
	v_lshrrev_b16_e32 v34, 4, v34
	v_cndmask_b32_e64 v38, 0, -1, s[28:29]
	v_cndmask_b32_e64 v42, 0, -1, s[20:21]
	v_bfe_i32 v34, v34, 0, 1
	v_lshlrev_b16_e32 v38, 8, v38
	v_bfe_i32 v36, v36, 0, 1
	v_lshlrev_b16_e32 v42, 8, v42
	v_or_b32_sdwa v39, v34, v38 dst_sel:DWORD dst_unused:UNUSED_PAD src0_sel:BYTE_0 src1_sel:DWORD
	v_or_b32_sdwa v43, v36, v42 dst_sel:WORD_1 dst_unused:UNUSED_PAD src0_sel:BYTE_0 src1_sel:DWORD
	v_or_b32_sdwa v39, v39, v43 dst_sel:DWORD dst_unused:UNUSED_PAD src0_sel:WORD_0 src1_sel:DWORD
	v_xor_b32_e32 v35, v35, v39
	v_and_b32_e32 v39, 0xffffff00, v35
	v_sub_i16 v38, v39, v38 clamp
	v_lshlrev_b16_e32 v39, 8, v35
	v_lshlrev_b16_e32 v34, 8, v34
	v_sub_i16 v34, v39, v34 clamp
	v_perm_b32 v34, v34, v38, s26
	v_and_b32_sdwa v38, v35, s25 dst_sel:DWORD dst_unused:UNUSED_PAD src0_sel:WORD_1 src1_sel:DWORD
	v_lshlrev_b16_sdwa v35, v33, v35 dst_sel:DWORD dst_unused:UNUSED_PAD src0_sel:DWORD src1_sel:WORD_1
	v_lshlrev_b16_e32 v36, 8, v36
	v_sub_i16 v38, v38, v42 clamp
	v_sub_i16 v35, v35, v36 clamp
	v_perm_b32 v35, v35, v38, s26
	v_lshl_or_b32 v34, v35, 16, v34
	v_lshlrev_b32_sdwa v35, v32, v40 dst_sel:DWORD dst_unused:UNUSED_PAD src0_sel:DWORD src1_sel:BYTE_1
	global_load_dwordx2 v[35:36], v35, s[16:17]
	v_bfe_u32 v38, v41, 7, 8
	v_bcnt_u32_b32 v39, v38, 0
	v_and_b32_e32 v39, 1, v39
	v_lshlrev_b32_e32 v39, 7, v39
	v_xor_b32_e32 v38, v39, v38
	v_mul_lo_u32 v38, v38, s23
	v_dot4_i32_i8 v37, v6, v7, 0
	v_dot4_i32_i8 v37, v34, v8, v37
	v_and_b32_e32 v39, 0x8040201, v38
	v_cmp_ne_u16_sdwa s[20:21], v39, v29 src0_sel:BYTE_3 src1_sel:DWORD
	v_cmp_ne_u16_sdwa s[28:29], v39, v29 src0_sel:BYTE_1 src1_sel:DWORD
	v_lshrrev_b32_e32 v42, 18, v38
	v_cndmask_b32_e64 v43, 0, -1, s[28:29]
	v_cndmask_b32_e64 v47, 0, -1, s[20:21]
	v_bfe_i32 v39, v38, 0, 1
	v_lshlrev_b16_e32 v43, 8, v43
	v_bfe_i32 v42, v42, 0, 1
	v_lshlrev_b16_e32 v47, 8, v47
	v_or_b32_sdwa v46, v39, v43 dst_sel:DWORD dst_unused:UNUSED_PAD src0_sel:BYTE_0 src1_sel:DWORD
	v_or_b32_sdwa v48, v42, v47 dst_sel:WORD_1 dst_unused:UNUSED_PAD src0_sel:BYTE_0 src1_sel:DWORD
	v_or_b32_sdwa v46, v46, v48 dst_sel:DWORD dst_unused:UNUSED_PAD src0_sel:WORD_0 src1_sel:DWORD
	v_lshlrev_b16_e32 v39, 8, v39
	v_lshlrev_b16_e32 v42, 8, v42
	s_waitcnt vmcnt(0)
	v_xor_b32_e32 v35, v35, v46
	v_and_b32_e32 v46, 0xffffff00, v35
	v_sub_i16 v43, v46, v43 clamp
	v_lshlrev_b16_e32 v46, 8, v35
	v_sub_i16 v39, v46, v39 clamp
	v_perm_b32 v39, v39, v43, s26
	v_and_b32_sdwa v43, v35, s25 dst_sel:DWORD dst_unused:UNUSED_PAD src0_sel:WORD_1 src1_sel:DWORD
	v_lshlrev_b16_sdwa v35, v33, v35 dst_sel:DWORD dst_unused:UNUSED_PAD src0_sel:DWORD src1_sel:WORD_1
	v_sub_i16 v43, v43, v47 clamp
	v_sub_i16 v35, v35, v42 clamp
	v_perm_b32 v35, v35, v43, s26
	v_lshl_or_b32 v35, v35, 16, v39
	v_and_b32_e32 v39, 0x80402010, v38
	v_cmp_ne_u16_sdwa s[20:21], v39, v29 src0_sel:BYTE_3 src1_sel:DWORD
	v_cmp_ne_u16_sdwa s[28:29], v39, v29 src0_sel:BYTE_1 src1_sel:DWORD
	v_lshrrev_b32_e32 v38, 22, v38
	v_lshrrev_b16_e32 v39, 4, v39
	v_cndmask_b32_e64 v42, 0, -1, s[28:29]
	v_cndmask_b32_e64 v46, 0, -1, s[20:21]
	v_bfe_i32 v39, v39, 0, 1
	v_lshlrev_b16_e32 v42, 8, v42
	v_bfe_i32 v38, v38, 0, 1
	v_lshlrev_b16_e32 v46, 8, v46
	v_or_b32_sdwa v43, v39, v42 dst_sel:DWORD dst_unused:UNUSED_PAD src0_sel:BYTE_0 src1_sel:DWORD
	v_or_b32_sdwa v47, v38, v46 dst_sel:WORD_1 dst_unused:UNUSED_PAD src0_sel:BYTE_0 src1_sel:DWORD
	v_or_b32_sdwa v43, v43, v47 dst_sel:DWORD dst_unused:UNUSED_PAD src0_sel:WORD_0 src1_sel:DWORD
	v_xor_b32_e32 v36, v36, v43
	v_and_b32_e32 v43, 0xffffff00, v36
	v_sub_i16 v42, v43, v42 clamp
	v_lshlrev_b16_e32 v43, 8, v36
	v_lshlrev_b16_e32 v39, 8, v39
	v_sub_i16 v39, v43, v39 clamp
	v_perm_b32 v39, v39, v42, s26
	v_and_b32_sdwa v42, v36, s25 dst_sel:DWORD dst_unused:UNUSED_PAD src0_sel:WORD_1 src1_sel:DWORD
	v_lshlrev_b16_sdwa v36, v33, v36 dst_sel:DWORD dst_unused:UNUSED_PAD src0_sel:DWORD src1_sel:WORD_1
	v_lshlrev_b16_e32 v38, 8, v38
	v_sub_i16 v42, v42, v46 clamp
	v_sub_i16 v36, v36, v38 clamp
	v_perm_b32 v36, v36, v42, s26
	v_dot4_i32_i8 v37, v35, v9, v37
	v_lshl_or_b32 v36, v36, 16, v39
	v_dot4_i32_i8 v39, v36, v2, v37
	v_lshlrev_b32_sdwa v37, v32, v40 dst_sel:DWORD dst_unused:UNUSED_PAD src0_sel:DWORD src1_sel:BYTE_2
	global_load_dwordx2 v[37:38], v37, s[16:17]
	v_bfe_u32 v42, v41, 14, 8
	v_bcnt_u32_b32 v43, v42, 0
	v_and_b32_e32 v43, 1, v43
	v_lshlrev_b32_e32 v43, 7, v43
	v_xor_b32_e32 v42, v43, v42
	v_mul_lo_u32 v42, v42, s23
	v_and_b32_e32 v43, 0x8040201, v42
	v_cmp_ne_u16_sdwa s[20:21], v43, v29 src0_sel:BYTE_3 src1_sel:DWORD
	v_cmp_ne_u16_sdwa s[28:29], v43, v29 src0_sel:BYTE_1 src1_sel:DWORD
	v_lshrrev_b32_e32 v46, 18, v42
	v_cndmask_b32_e64 v47, 0, -1, s[28:29]
	v_cndmask_b32_e64 v49, 0, -1, s[20:21]
	v_bfe_i32 v43, v42, 0, 1
	v_lshlrev_b16_e32 v47, 8, v47
	v_bfe_i32 v46, v46, 0, 1
	v_lshlrev_b16_e32 v49, 8, v49
	v_or_b32_sdwa v48, v43, v47 dst_sel:DWORD dst_unused:UNUSED_PAD src0_sel:BYTE_0 src1_sel:DWORD
	v_or_b32_sdwa v50, v46, v49 dst_sel:WORD_1 dst_unused:UNUSED_PAD src0_sel:BYTE_0 src1_sel:DWORD
	v_or_b32_sdwa v48, v48, v50 dst_sel:DWORD dst_unused:UNUSED_PAD src0_sel:WORD_0 src1_sel:DWORD
	v_lshlrev_b16_e32 v43, 8, v43
	v_lshlrev_b16_e32 v46, 8, v46
	s_waitcnt vmcnt(0)
	v_xor_b32_e32 v37, v37, v48
	v_and_b32_e32 v48, 0xffffff00, v37
	v_sub_i16 v47, v48, v47 clamp
	v_lshlrev_b16_e32 v48, 8, v37
	v_sub_i16 v43, v48, v43 clamp
	v_perm_b32 v43, v43, v47, s26
	v_and_b32_sdwa v47, v37, s25 dst_sel:DWORD dst_unused:UNUSED_PAD src0_sel:WORD_1 src1_sel:DWORD
	v_lshlrev_b16_sdwa v37, v33, v37 dst_sel:DWORD dst_unused:UNUSED_PAD src0_sel:DWORD src1_sel:WORD_1
	v_sub_i16 v47, v47, v49 clamp
	v_sub_i16 v37, v37, v46 clamp
	v_perm_b32 v37, v37, v47, s26
	v_lshl_or_b32 v37, v37, 16, v43
	v_and_b32_e32 v43, 0x80402010, v42
	v_cmp_ne_u16_sdwa s[20:21], v43, v29 src0_sel:BYTE_3 src1_sel:DWORD
	v_cmp_ne_u16_sdwa s[28:29], v43, v29 src0_sel:BYTE_1 src1_sel:DWORD
	v_lshrrev_b32_e32 v42, 22, v42
	v_lshrrev_b16_e32 v43, 4, v43
	v_cndmask_b32_e64 v46, 0, -1, s[28:29]
	v_cndmask_b32_e64 v48, 0, -1, s[20:21]
	v_bfe_i32 v43, v43, 0, 1
	v_lshlrev_b16_e32 v46, 8, v46
	v_bfe_i32 v42, v42, 0, 1
	v_lshlrev_b16_e32 v48, 8, v48
	v_or_b32_sdwa v47, v43, v46 dst_sel:DWORD dst_unused:UNUSED_PAD src0_sel:BYTE_0 src1_sel:DWORD
	v_or_b32_sdwa v49, v42, v48 dst_sel:WORD_1 dst_unused:UNUSED_PAD src0_sel:BYTE_0 src1_sel:DWORD
	v_or_b32_sdwa v47, v47, v49 dst_sel:DWORD dst_unused:UNUSED_PAD src0_sel:WORD_0 src1_sel:DWORD
	v_xor_b32_e32 v38, v38, v47
	v_and_b32_e32 v47, 0xffffff00, v38
	v_sub_i16 v46, v47, v46 clamp
	v_lshlrev_b16_e32 v47, 8, v38
	v_lshlrev_b16_e32 v43, 8, v43
	v_sub_i16 v43, v47, v43 clamp
	v_perm_b32 v43, v43, v46, s26
	v_and_b32_sdwa v46, v38, s25 dst_sel:DWORD dst_unused:UNUSED_PAD src0_sel:WORD_1 src1_sel:DWORD
	v_lshlrev_b16_sdwa v38, v33, v38 dst_sel:DWORD dst_unused:UNUSED_PAD src0_sel:DWORD src1_sel:WORD_1
	v_lshlrev_b16_e32 v42, 8, v42
	v_sub_i16 v46, v46, v48 clamp
	v_sub_i16 v38, v38, v42 clamp
	v_perm_b32 v38, v38, v46, s26
	v_dot4_i32_i8 v39, v37, v3, v39
	v_lshl_or_b32 v38, v38, 16, v43
	v_dot4_i32_i8 v42, v38, v4, v39
	v_lshlrev_b32_sdwa v39, v32, v40 dst_sel:DWORD dst_unused:UNUSED_PAD src0_sel:DWORD src1_sel:BYTE_3
	global_load_dwordx2 v[39:40], v39, s[16:17]
	v_bfe_u32 v43, v41, 21, 8
	v_bcnt_u32_b32 v46, v43, 0
	v_and_b32_e32 v46, 1, v46
	v_lshlrev_b32_e32 v46, 7, v46
	v_xor_b32_e32 v43, v46, v43
	v_mul_lo_u32 v43, v43, s23
	v_lshrrev_b32_e32 v41, 27, v41
	v_or_b32_e32 v41, 1, v41
	v_and_b32_e32 v46, 0x8040201, v43
	v_cmp_ne_u16_sdwa s[20:21], v46, v29 src0_sel:BYTE_3 src1_sel:DWORD
	v_cmp_ne_u16_sdwa s[28:29], v46, v29 src0_sel:BYTE_1 src1_sel:DWORD
	v_lshrrev_b32_e32 v47, 18, v43
	v_cndmask_b32_e64 v48, 0, -1, s[28:29]
	v_cndmask_b32_e64 v50, 0, -1, s[20:21]
	v_bfe_i32 v46, v43, 0, 1
	v_lshlrev_b16_e32 v48, 8, v48
	v_bfe_i32 v47, v47, 0, 1
	v_lshlrev_b16_e32 v50, 8, v50
	v_or_b32_sdwa v49, v46, v48 dst_sel:DWORD dst_unused:UNUSED_PAD src0_sel:BYTE_0 src1_sel:DWORD
	v_or_b32_sdwa v51, v47, v50 dst_sel:WORD_1 dst_unused:UNUSED_PAD src0_sel:BYTE_0 src1_sel:DWORD
	v_or_b32_sdwa v49, v49, v51 dst_sel:DWORD dst_unused:UNUSED_PAD src0_sel:WORD_0 src1_sel:DWORD
	v_lshlrev_b16_e32 v46, 8, v46
	v_lshlrev_b16_e32 v47, 8, v47
	s_waitcnt vmcnt(0)
	v_xor_b32_e32 v39, v39, v49
	v_and_b32_e32 v49, 0xffffff00, v39
	v_sub_i16 v48, v49, v48 clamp
	v_lshlrev_b16_e32 v49, 8, v39
	v_sub_i16 v46, v49, v46 clamp
	v_perm_b32 v46, v46, v48, s26
	v_and_b32_sdwa v48, v39, s25 dst_sel:DWORD dst_unused:UNUSED_PAD src0_sel:WORD_1 src1_sel:DWORD
	v_lshlrev_b16_sdwa v39, v33, v39 dst_sel:DWORD dst_unused:UNUSED_PAD src0_sel:DWORD src1_sel:WORD_1
	v_sub_i16 v48, v48, v50 clamp
	v_sub_i16 v39, v39, v47 clamp
	v_perm_b32 v39, v39, v48, s26
	v_lshl_or_b32 v39, v39, 16, v46
	v_and_b32_e32 v46, 0x80402010, v43
	v_cmp_ne_u16_sdwa s[20:21], v46, v29 src0_sel:BYTE_3 src1_sel:DWORD
	v_cmp_ne_u16_sdwa s[28:29], v46, v29 src0_sel:BYTE_1 src1_sel:DWORD
	v_lshrrev_b32_e32 v43, 22, v43
	v_lshrrev_b16_e32 v46, 4, v46
	v_cndmask_b32_e64 v47, 0, -1, s[28:29]
	v_cndmask_b32_e64 v49, 0, -1, s[20:21]
	v_bfe_i32 v46, v46, 0, 1
	v_lshlrev_b16_e32 v47, 8, v47
	v_bfe_i32 v43, v43, 0, 1
	v_lshlrev_b16_e32 v49, 8, v49
	v_or_b32_sdwa v48, v46, v47 dst_sel:DWORD dst_unused:UNUSED_PAD src0_sel:BYTE_0 src1_sel:DWORD
	v_or_b32_sdwa v50, v43, v49 dst_sel:WORD_1 dst_unused:UNUSED_PAD src0_sel:BYTE_0 src1_sel:DWORD
	v_or_b32_sdwa v48, v48, v50 dst_sel:DWORD dst_unused:UNUSED_PAD src0_sel:WORD_0 src1_sel:DWORD
	v_xor_b32_e32 v40, v40, v48
	v_and_b32_e32 v48, 0xffffff00, v40
	v_sub_i16 v47, v48, v47 clamp
	v_lshlrev_b16_e32 v48, 8, v40
	v_lshlrev_b16_e32 v46, 8, v46
	v_sub_i16 v46, v48, v46 clamp
	v_perm_b32 v46, v46, v47, s26
	v_and_b32_sdwa v47, v40, s25 dst_sel:DWORD dst_unused:UNUSED_PAD src0_sel:WORD_1 src1_sel:DWORD
	v_lshlrev_b16_sdwa v40, v33, v40 dst_sel:DWORD dst_unused:UNUSED_PAD src0_sel:DWORD src1_sel:WORD_1
	v_lshlrev_b16_e32 v43, 8, v43
	v_sub_i16 v47, v47, v49 clamp
	v_sub_i16 v40, v40, v43 clamp
	v_perm_b32 v40, v40, v47, s26
	v_dot4_i32_i8 v42, v39, v5, v42
	v_lshl_or_b32 v40, v40, 16, v46
	v_dot4_i32_i8 v42, v40, v44, v42
	v_mul_lo_u32 v42, v42, v41
	v_ashrrev_i32_e32 v43, 31, v42
	v_lshrrev_b32_e32 v43, 29, v43
	v_add_u32_e32 v42, v42, v43
	v_ashrrev_i32_e32 v43, 3, v42
	v_cvt_f32_f16_e32 v42, v16
	v_cvt_f32_i32_e32 v17, v43
	v_mul_f32_e32 v16, v42, v45
	v_fmac_f32_e32 v27, v16, v17
	v_add_u32_e32 v16, s0, v28
	v_mad_i64_i32 v[16:17], s[20:21], v16, s22, v[14:15]
	v_add_u32_e32 v28, 8, v28
	v_add_co_u32_e32 v46, vcc, v16, v31
	v_addc_co_u32_e32 v47, vcc, 0, v17, vcc
	global_load_dwordx2 v[46:47], v[46:47], off offset:2
	v_add_co_u32_e32 v12, vcc, 0x900, v12
	global_load_ushort v16, v[16:17], off
	v_addc_co_u32_e32 v13, vcc, 0, v13, vcc
	v_cmp_le_u32_e32 vcc, s9, v28
	s_or_b64 s[12:13], vcc, s[12:13]
	s_waitcnt vmcnt(1)
	v_lshlrev_b32_sdwa v43, v32, v46 dst_sel:DWORD dst_unused:UNUSED_PAD src0_sel:DWORD src1_sel:BYTE_0
	global_load_dwordx2 v[48:49], v43, s[16:17]
	v_and_b32_e32 v43, 0xff, v47
	v_bcnt_u32_b32 v50, v43, 0
	v_and_b32_e32 v50, 1, v50
	v_lshlrev_b32_e32 v50, 7, v50
	v_xor_b32_e32 v43, v50, v43
	v_mul_lo_u32 v50, v43, s23
	s_waitcnt vmcnt(1)
	v_cvt_f32_f16_e32 v16, v16
	v_and_b32_e32 v43, 0x8040201, v50
	v_cmp_ne_u16_sdwa s[20:21], v43, v29 src0_sel:BYTE_3 src1_sel:DWORD
	v_cmp_ne_u16_sdwa s[28:29], v43, v29 src0_sel:BYTE_1 src1_sel:DWORD
	v_lshrrev_b32_e32 v51, 18, v50
	v_cndmask_b32_e64 v52, 0, -1, s[28:29]
	v_cndmask_b32_e64 v54, 0, -1, s[20:21]
	v_bfe_i32 v43, v50, 0, 1
	v_lshlrev_b16_e32 v52, 8, v52
	v_bfe_i32 v51, v51, 0, 1
	v_lshlrev_b16_e32 v54, 8, v54
	v_or_b32_sdwa v53, v43, v52 dst_sel:DWORD dst_unused:UNUSED_PAD src0_sel:BYTE_0 src1_sel:DWORD
	v_or_b32_sdwa v55, v51, v54 dst_sel:WORD_1 dst_unused:UNUSED_PAD src0_sel:BYTE_0 src1_sel:DWORD
	v_or_b32_sdwa v53, v53, v55 dst_sel:DWORD dst_unused:UNUSED_PAD src0_sel:WORD_0 src1_sel:DWORD
	v_lshlrev_b16_e32 v43, 8, v43
	v_lshlrev_b16_e32 v51, 8, v51
	v_mul_f32_e32 v17, v16, v45
	s_waitcnt vmcnt(0)
	v_xor_b32_e32 v48, v48, v53
	v_and_b32_e32 v53, 0xffffff00, v48
	v_sub_i16 v52, v53, v52 clamp
	v_lshlrev_b16_e32 v53, 8, v48
	v_sub_i16 v43, v53, v43 clamp
	v_perm_b32 v43, v43, v52, s26
	v_and_b32_sdwa v52, v48, s25 dst_sel:DWORD dst_unused:UNUSED_PAD src0_sel:WORD_1 src1_sel:DWORD
	v_lshlrev_b16_sdwa v48, v33, v48 dst_sel:DWORD dst_unused:UNUSED_PAD src0_sel:DWORD src1_sel:WORD_1
	v_sub_i16 v52, v52, v54 clamp
	v_sub_i16 v48, v48, v51 clamp
	v_perm_b32 v48, v48, v52, s26
	v_lshl_or_b32 v43, v48, 16, v43
	v_dot4_i32_i8 v48, v43, v7, 0
	v_and_b32_e32 v7, 0x80402010, v50
	v_cmp_ne_u16_sdwa s[20:21], v7, v29 src0_sel:BYTE_3 src1_sel:DWORD
	v_cmp_ne_u16_sdwa s[28:29], v7, v29 src0_sel:BYTE_1 src1_sel:DWORD
	v_lshrrev_b32_e32 v50, 22, v50
	v_lshrrev_b16_e32 v7, 4, v7
	v_cndmask_b32_e64 v51, 0, -1, s[28:29]
	v_cndmask_b32_e64 v53, 0, -1, s[20:21]
	v_bfe_i32 v7, v7, 0, 1
	v_lshlrev_b16_e32 v51, 8, v51
	v_bfe_i32 v50, v50, 0, 1
	v_lshlrev_b16_e32 v53, 8, v53
	v_or_b32_sdwa v52, v7, v51 dst_sel:DWORD dst_unused:UNUSED_PAD src0_sel:BYTE_0 src1_sel:DWORD
	v_or_b32_sdwa v54, v50, v53 dst_sel:WORD_1 dst_unused:UNUSED_PAD src0_sel:BYTE_0 src1_sel:DWORD
	v_or_b32_sdwa v52, v52, v54 dst_sel:DWORD dst_unused:UNUSED_PAD src0_sel:WORD_0 src1_sel:DWORD
	v_xor_b32_e32 v49, v49, v52
	v_and_b32_e32 v52, 0xffffff00, v49
	v_sub_i16 v51, v52, v51 clamp
	v_lshlrev_b16_e32 v52, 8, v49
	v_lshlrev_b16_e32 v7, 8, v7
	v_sub_i16 v7, v52, v7 clamp
	v_perm_b32 v7, v7, v51, s26
	v_and_b32_sdwa v51, v49, s25 dst_sel:DWORD dst_unused:UNUSED_PAD src0_sel:WORD_1 src1_sel:DWORD
	v_lshlrev_b16_sdwa v49, v33, v49 dst_sel:DWORD dst_unused:UNUSED_PAD src0_sel:DWORD src1_sel:WORD_1
	v_lshlrev_b16_e32 v50, 8, v50
	v_sub_i16 v51, v51, v53 clamp
	v_sub_i16 v49, v49, v50 clamp
	v_perm_b32 v49, v49, v51, s26
	v_lshl_or_b32 v7, v49, 16, v7
	v_dot4_i32_i8 v50, v7, v8, v48
	v_lshlrev_b32_sdwa v8, v32, v46 dst_sel:DWORD dst_unused:UNUSED_PAD src0_sel:DWORD src1_sel:BYTE_1
	global_load_dwordx2 v[48:49], v8, s[16:17]
	v_bfe_u32 v8, v47, 7, 8
	v_bcnt_u32_b32 v51, v8, 0
	v_and_b32_e32 v51, 1, v51
	v_lshlrev_b32_e32 v51, 7, v51
	v_xor_b32_e32 v8, v51, v8
	v_mul_lo_u32 v51, v8, s23
	v_and_b32_e32 v8, 0x8040201, v51
	v_cmp_ne_u16_sdwa s[20:21], v8, v29 src0_sel:BYTE_3 src1_sel:DWORD
	v_cmp_ne_u16_sdwa s[28:29], v8, v29 src0_sel:BYTE_1 src1_sel:DWORD
	v_lshrrev_b32_e32 v52, 18, v51
	v_cndmask_b32_e64 v53, 0, -1, s[28:29]
	v_cndmask_b32_e64 v55, 0, -1, s[20:21]
	v_bfe_i32 v8, v51, 0, 1
	v_lshlrev_b16_e32 v53, 8, v53
	v_bfe_i32 v52, v52, 0, 1
	v_lshlrev_b16_e32 v55, 8, v55
	v_or_b32_sdwa v54, v8, v53 dst_sel:DWORD dst_unused:UNUSED_PAD src0_sel:BYTE_0 src1_sel:DWORD
	v_or_b32_sdwa v56, v52, v55 dst_sel:WORD_1 dst_unused:UNUSED_PAD src0_sel:BYTE_0 src1_sel:DWORD
	v_or_b32_sdwa v54, v54, v56 dst_sel:DWORD dst_unused:UNUSED_PAD src0_sel:WORD_0 src1_sel:DWORD
	v_lshlrev_b16_e32 v8, 8, v8
	v_lshlrev_b16_e32 v52, 8, v52
	s_waitcnt vmcnt(0)
	v_xor_b32_e32 v48, v48, v54
	v_and_b32_e32 v54, 0xffffff00, v48
	v_sub_i16 v53, v54, v53 clamp
	v_lshlrev_b16_e32 v54, 8, v48
	v_sub_i16 v8, v54, v8 clamp
	v_perm_b32 v8, v8, v53, s26
	v_and_b32_sdwa v53, v48, s25 dst_sel:DWORD dst_unused:UNUSED_PAD src0_sel:WORD_1 src1_sel:DWORD
	v_lshlrev_b16_sdwa v48, v33, v48 dst_sel:DWORD dst_unused:UNUSED_PAD src0_sel:DWORD src1_sel:WORD_1
	v_sub_i16 v53, v53, v55 clamp
	v_sub_i16 v48, v48, v52 clamp
	v_perm_b32 v48, v48, v53, s26
	v_lshl_or_b32 v8, v48, 16, v8
	v_dot4_i32_i8 v48, v8, v9, v50
	v_and_b32_e32 v9, 0x80402010, v51
	v_cmp_ne_u16_sdwa s[20:21], v9, v29 src0_sel:BYTE_3 src1_sel:DWORD
	v_cmp_ne_u16_sdwa s[28:29], v9, v29 src0_sel:BYTE_1 src1_sel:DWORD
	v_lshrrev_b32_e32 v50, 22, v51
	v_lshrrev_b16_e32 v9, 4, v9
	v_cndmask_b32_e64 v51, 0, -1, s[28:29]
	v_cndmask_b32_e64 v53, 0, -1, s[20:21]
	v_bfe_i32 v9, v9, 0, 1
	v_lshlrev_b16_e32 v51, 8, v51
	v_bfe_i32 v50, v50, 0, 1
	v_lshlrev_b16_e32 v53, 8, v53
	v_or_b32_sdwa v52, v9, v51 dst_sel:DWORD dst_unused:UNUSED_PAD src0_sel:BYTE_0 src1_sel:DWORD
	v_or_b32_sdwa v54, v50, v53 dst_sel:WORD_1 dst_unused:UNUSED_PAD src0_sel:BYTE_0 src1_sel:DWORD
	v_or_b32_sdwa v52, v52, v54 dst_sel:DWORD dst_unused:UNUSED_PAD src0_sel:WORD_0 src1_sel:DWORD
	v_xor_b32_e32 v49, v49, v52
	v_and_b32_e32 v52, 0xffffff00, v49
	v_sub_i16 v51, v52, v51 clamp
	v_lshlrev_b16_e32 v52, 8, v49
	v_lshlrev_b16_e32 v9, 8, v9
	v_sub_i16 v9, v52, v9 clamp
	v_perm_b32 v9, v9, v51, s26
	v_and_b32_sdwa v51, v49, s25 dst_sel:DWORD dst_unused:UNUSED_PAD src0_sel:WORD_1 src1_sel:DWORD
	v_lshlrev_b16_sdwa v49, v33, v49 dst_sel:DWORD dst_unused:UNUSED_PAD src0_sel:DWORD src1_sel:WORD_1
	v_lshlrev_b16_e32 v50, 8, v50
	v_sub_i16 v51, v51, v53 clamp
	v_sub_i16 v49, v49, v50 clamp
	v_perm_b32 v49, v49, v51, s26
	v_lshl_or_b32 v9, v49, 16, v9
	v_dot4_i32_i8 v50, v9, v2, v48
	v_lshlrev_b32_sdwa v2, v32, v46 dst_sel:DWORD dst_unused:UNUSED_PAD src0_sel:DWORD src1_sel:BYTE_2
	global_load_dwordx2 v[48:49], v2, s[16:17]
	v_bfe_u32 v2, v47, 14, 8
	v_bcnt_u32_b32 v51, v2, 0
	v_and_b32_e32 v51, 1, v51
	v_lshlrev_b32_e32 v51, 7, v51
	v_xor_b32_e32 v2, v51, v2
	v_mul_lo_u32 v51, v2, s23
	v_and_b32_e32 v2, 0x8040201, v51
	v_cmp_ne_u16_sdwa s[20:21], v2, v29 src0_sel:BYTE_3 src1_sel:DWORD
	v_cmp_ne_u16_sdwa s[28:29], v2, v29 src0_sel:BYTE_1 src1_sel:DWORD
	v_lshrrev_b32_e32 v52, 18, v51
	v_cndmask_b32_e64 v53, 0, -1, s[28:29]
	v_cndmask_b32_e64 v55, 0, -1, s[20:21]
	v_bfe_i32 v2, v51, 0, 1
	v_lshlrev_b16_e32 v53, 8, v53
	v_bfe_i32 v52, v52, 0, 1
	v_lshlrev_b16_e32 v55, 8, v55
	v_or_b32_sdwa v54, v2, v53 dst_sel:DWORD dst_unused:UNUSED_PAD src0_sel:BYTE_0 src1_sel:DWORD
	v_or_b32_sdwa v56, v52, v55 dst_sel:WORD_1 dst_unused:UNUSED_PAD src0_sel:BYTE_0 src1_sel:DWORD
	v_or_b32_sdwa v54, v54, v56 dst_sel:DWORD dst_unused:UNUSED_PAD src0_sel:WORD_0 src1_sel:DWORD
	v_lshlrev_b16_e32 v2, 8, v2
	v_lshlrev_b16_e32 v52, 8, v52
	s_waitcnt vmcnt(0)
	v_xor_b32_e32 v48, v48, v54
	v_and_b32_e32 v54, 0xffffff00, v48
	v_sub_i16 v53, v54, v53 clamp
	v_lshlrev_b16_e32 v54, 8, v48
	v_sub_i16 v2, v54, v2 clamp
	v_perm_b32 v2, v2, v53, s26
	v_and_b32_sdwa v53, v48, s25 dst_sel:DWORD dst_unused:UNUSED_PAD src0_sel:WORD_1 src1_sel:DWORD
	v_lshlrev_b16_sdwa v48, v33, v48 dst_sel:DWORD dst_unused:UNUSED_PAD src0_sel:DWORD src1_sel:WORD_1
	v_sub_i16 v53, v53, v55 clamp
	v_sub_i16 v48, v48, v52 clamp
	v_perm_b32 v48, v48, v53, s26
	v_lshl_or_b32 v2, v48, 16, v2
	v_dot4_i32_i8 v48, v2, v3, v50
	v_and_b32_e32 v3, 0x80402010, v51
	v_cmp_ne_u16_sdwa s[20:21], v3, v29 src0_sel:BYTE_3 src1_sel:DWORD
	v_cmp_ne_u16_sdwa s[28:29], v3, v29 src0_sel:BYTE_1 src1_sel:DWORD
	v_lshrrev_b32_e32 v50, 22, v51
	v_lshrrev_b16_e32 v3, 4, v3
	v_cndmask_b32_e64 v51, 0, -1, s[28:29]
	v_cndmask_b32_e64 v53, 0, -1, s[20:21]
	v_bfe_i32 v3, v3, 0, 1
	v_lshlrev_b16_e32 v51, 8, v51
	v_bfe_i32 v50, v50, 0, 1
	v_lshlrev_b16_e32 v53, 8, v53
	v_or_b32_sdwa v52, v3, v51 dst_sel:DWORD dst_unused:UNUSED_PAD src0_sel:BYTE_0 src1_sel:DWORD
	v_or_b32_sdwa v54, v50, v53 dst_sel:WORD_1 dst_unused:UNUSED_PAD src0_sel:BYTE_0 src1_sel:DWORD
	v_or_b32_sdwa v52, v52, v54 dst_sel:DWORD dst_unused:UNUSED_PAD src0_sel:WORD_0 src1_sel:DWORD
	v_xor_b32_e32 v49, v49, v52
	v_and_b32_e32 v52, 0xffffff00, v49
	v_sub_i16 v51, v52, v51 clamp
	v_lshlrev_b16_e32 v52, 8, v49
	v_lshlrev_b16_e32 v3, 8, v3
	v_sub_i16 v3, v52, v3 clamp
	v_perm_b32 v3, v3, v51, s26
	v_and_b32_sdwa v51, v49, s25 dst_sel:DWORD dst_unused:UNUSED_PAD src0_sel:WORD_1 src1_sel:DWORD
	v_lshlrev_b16_sdwa v49, v33, v49 dst_sel:DWORD dst_unused:UNUSED_PAD src0_sel:DWORD src1_sel:WORD_1
	v_lshlrev_b16_e32 v50, 8, v50
	v_sub_i16 v51, v51, v53 clamp
	v_sub_i16 v49, v49, v50 clamp
	v_perm_b32 v49, v49, v51, s26
	v_lshl_or_b32 v3, v49, 16, v3
	v_dot4_i32_i8 v50, v3, v4, v48
	v_lshlrev_b32_sdwa v4, v32, v46 dst_sel:DWORD dst_unused:UNUSED_PAD src0_sel:DWORD src1_sel:BYTE_3
	global_load_dwordx2 v[48:49], v4, s[16:17]
	v_bfe_u32 v4, v47, 21, 8
	v_bcnt_u32_b32 v46, v4, 0
	v_and_b32_e32 v46, 1, v46
	v_lshlrev_b32_e32 v46, 7, v46
	v_xor_b32_e32 v4, v46, v4
	v_mul_lo_u32 v46, v4, s23
	v_and_b32_e32 v4, 0x8040201, v46
	v_cmp_ne_u16_sdwa s[16:17], v4, v29 src0_sel:BYTE_3 src1_sel:DWORD
	v_cmp_ne_u16_sdwa s[20:21], v4, v29 src0_sel:BYTE_1 src1_sel:DWORD
	v_lshrrev_b32_e32 v51, 18, v46
	v_cndmask_b32_e64 v52, 0, -1, s[20:21]
	v_cndmask_b32_e64 v54, 0, -1, s[16:17]
	v_bfe_i32 v4, v46, 0, 1
	v_lshlrev_b16_e32 v52, 8, v52
	v_bfe_i32 v51, v51, 0, 1
	v_lshlrev_b16_e32 v54, 8, v54
	v_or_b32_sdwa v53, v4, v52 dst_sel:DWORD dst_unused:UNUSED_PAD src0_sel:BYTE_0 src1_sel:DWORD
	v_or_b32_sdwa v55, v51, v54 dst_sel:WORD_1 dst_unused:UNUSED_PAD src0_sel:BYTE_0 src1_sel:DWORD
	v_or_b32_sdwa v53, v53, v55 dst_sel:DWORD dst_unused:UNUSED_PAD src0_sel:WORD_0 src1_sel:DWORD
	v_lshlrev_b16_e32 v4, 8, v4
	v_lshlrev_b16_e32 v51, 8, v51
	s_waitcnt vmcnt(0)
	v_xor_b32_e32 v48, v48, v53
	v_and_b32_e32 v53, 0xffffff00, v48
	v_sub_i16 v52, v53, v52 clamp
	v_lshlrev_b16_e32 v53, 8, v48
	v_sub_i16 v4, v53, v4 clamp
	v_perm_b32 v4, v4, v52, s26
	v_and_b32_sdwa v52, v48, s25 dst_sel:DWORD dst_unused:UNUSED_PAD src0_sel:WORD_1 src1_sel:DWORD
	v_lshlrev_b16_sdwa v48, v33, v48 dst_sel:DWORD dst_unused:UNUSED_PAD src0_sel:DWORD src1_sel:WORD_1
	v_sub_i16 v52, v52, v54 clamp
	v_sub_i16 v48, v48, v51 clamp
	v_perm_b32 v48, v48, v52, s26
	v_lshl_or_b32 v4, v48, 16, v4
	v_dot4_i32_i8 v48, v4, v5, v50
	v_and_b32_e32 v5, 0x80402010, v46
	v_cmp_ne_u16_sdwa s[16:17], v5, v29 src0_sel:BYTE_3 src1_sel:DWORD
	v_cmp_ne_u16_sdwa s[20:21], v5, v29 src0_sel:BYTE_1 src1_sel:DWORD
	v_lshrrev_b32_e32 v46, 22, v46
	v_lshrrev_b16_e32 v5, 4, v5
	v_cndmask_b32_e64 v50, 0, -1, s[20:21]
	v_cndmask_b32_e64 v52, 0, -1, s[16:17]
	v_bfe_i32 v5, v5, 0, 1
	v_lshlrev_b16_e32 v50, 8, v50
	v_bfe_i32 v46, v46, 0, 1
	v_lshlrev_b16_e32 v52, 8, v52
	v_or_b32_sdwa v51, v5, v50 dst_sel:DWORD dst_unused:UNUSED_PAD src0_sel:BYTE_0 src1_sel:DWORD
	v_or_b32_sdwa v53, v46, v52 dst_sel:WORD_1 dst_unused:UNUSED_PAD src0_sel:BYTE_0 src1_sel:DWORD
	v_or_b32_sdwa v51, v51, v53 dst_sel:DWORD dst_unused:UNUSED_PAD src0_sel:WORD_0 src1_sel:DWORD
	v_xor_b32_e32 v49, v49, v51
	v_and_b32_e32 v51, 0xffffff00, v49
	v_sub_i16 v50, v51, v50 clamp
	v_lshlrev_b16_e32 v51, 8, v49
	v_lshlrev_b16_e32 v5, 8, v5
	v_sub_i16 v5, v51, v5 clamp
	v_perm_b32 v5, v5, v50, s26
	v_and_b32_sdwa v50, v49, s25 dst_sel:DWORD dst_unused:UNUSED_PAD src0_sel:WORD_1 src1_sel:DWORD
	v_lshlrev_b16_sdwa v49, v33, v49 dst_sel:DWORD dst_unused:UNUSED_PAD src0_sel:DWORD src1_sel:WORD_1
	v_lshlrev_b16_e32 v46, 8, v46
	v_sub_i16 v50, v50, v52 clamp
	v_sub_i16 v46, v49, v46 clamp
	v_perm_b32 v46, v46, v50, s26
	v_lshl_or_b32 v5, v46, 16, v5
	v_dot4_i32_i8 v46, v5, v44, v48
	v_lshrrev_b32_e32 v44, 27, v47
	v_or_b32_e32 v44, 1, v44
	v_mul_lo_u32 v46, v46, v44
	v_ashrrev_i32_e32 v47, 31, v46
	v_lshrrev_b32_e32 v47, 29, v47
	v_add_u32_e32 v46, v46, v47
	v_ashrrev_i32_e32 v46, 3, v46
	v_cvt_f32_i32_e32 v45, v46
	v_fmac_f32_e32 v26, v17, v45
	v_add_u32_e32 v17, s1, v30
	v_mad_u64_u32 v[53:54], s[16:17], v17, 36, v[10:11]
	global_load_dword v17, v[53:54], off offset:32
	global_load_dwordx4 v[45:48], v[53:54], off offset:16
	global_load_dwordx4 v[49:52], v[53:54], off
	s_waitcnt vmcnt(0)
	v_dot4_i32_i8 v53, v6, v50, 0
	v_dot4_i32_i8 v50, v43, v50, 0
	v_dot4_i32_i8 v53, v34, v51, v53
	v_dot4_i32_i8 v50, v7, v51, v50
	v_dot4_i32_i8 v53, v35, v52, v53
	v_dot4_i32_i8 v50, v8, v52, v50
	v_dot4_i32_i8 v53, v36, v45, v53
	v_dot4_i32_i8 v45, v9, v45, v50
	v_dot4_i32_i8 v53, v37, v46, v53
	v_dot4_i32_i8 v45, v2, v46, v45
	v_dot4_i32_i8 v53, v38, v47, v53
	v_dot4_i32_i8 v45, v3, v47, v45
	v_dot4_i32_i8 v53, v39, v48, v53
	v_dot4_i32_i8 v45, v4, v48, v45
	v_dot4_i32_i8 v53, v40, v17, v53
	v_dot4_i32_i8 v17, v5, v17, v45
	v_mul_lo_u32 v17, v17, v44
	v_mul_lo_u32 v53, v53, v41
	v_cvt_f32_f16_e32 v49, v49
	v_ashrrev_i32_e32 v45, 31, v17
	v_ashrrev_i32_e32 v54, 31, v53
	v_lshrrev_b32_e32 v45, 29, v45
	v_lshrrev_b32_e32 v54, 29, v54
	v_add_u32_e32 v17, v17, v45
	v_add_u32_e32 v53, v53, v54
	v_ashrrev_i32_e32 v17, 3, v17
	v_ashrrev_i32_e32 v53, 3, v53
	v_cvt_f32_i32_e32 v17, v17
	v_cvt_f32_i32_e32 v53, v53
	v_mul_f32_e32 v45, v16, v49
	v_mul_f32_e32 v54, v42, v49
	v_fmac_f32_e32 v24, v45, v17
	v_add_u32_e32 v17, s24, v30
	v_fmac_f32_e32 v25, v54, v53
	v_mad_u64_u32 v[53:54], s[16:17], v17, 36, v[10:11]
	global_load_dword v17, v[53:54], off offset:32
	global_load_dwordx4 v[45:48], v[53:54], off offset:16
	global_load_dwordx4 v[49:52], v[53:54], off
	s_waitcnt vmcnt(0)
	v_dot4_i32_i8 v53, v6, v50, 0
	v_dot4_i32_i8 v50, v43, v50, 0
	v_dot4_i32_i8 v53, v34, v51, v53
	v_dot4_i32_i8 v50, v7, v51, v50
	v_dot4_i32_i8 v53, v35, v52, v53
	v_dot4_i32_i8 v50, v8, v52, v50
	v_dot4_i32_i8 v53, v36, v45, v53
	v_dot4_i32_i8 v45, v9, v45, v50
	v_dot4_i32_i8 v53, v37, v46, v53
	v_dot4_i32_i8 v45, v2, v46, v45
	v_dot4_i32_i8 v53, v38, v47, v53
	v_dot4_i32_i8 v45, v3, v47, v45
	v_dot4_i32_i8 v53, v39, v48, v53
	v_dot4_i32_i8 v45, v4, v48, v45
	v_dot4_i32_i8 v53, v40, v17, v53
	v_dot4_i32_i8 v17, v5, v17, v45
	v_mul_lo_u32 v17, v17, v44
	v_mul_lo_u32 v53, v53, v41
	v_cvt_f32_f16_e32 v49, v49
	v_ashrrev_i32_e32 v45, 31, v17
	v_ashrrev_i32_e32 v54, 31, v53
	v_lshrrev_b32_e32 v45, 29, v45
	v_lshrrev_b32_e32 v54, 29, v54
	v_add_u32_e32 v17, v17, v45
	v_add_u32_e32 v53, v53, v54
	v_ashrrev_i32_e32 v17, 3, v17
	v_ashrrev_i32_e32 v53, 3, v53
	v_cvt_f32_i32_e32 v17, v17
	v_cvt_f32_i32_e32 v53, v53
	v_mul_f32_e32 v45, v16, v49
	v_mul_f32_e32 v54, v42, v49
	v_fmac_f32_e32 v22, v45, v17
	v_add_u32_e32 v17, s19, v30
	v_fmac_f32_e32 v23, v54, v53
	v_mad_u64_u32 v[53:54], s[16:17], v17, 36, v[10:11]
	global_load_dword v17, v[53:54], off offset:32
	global_load_dwordx4 v[45:48], v[53:54], off offset:16
	global_load_dwordx4 v[49:52], v[53:54], off
	s_waitcnt vmcnt(0)
	v_dot4_i32_i8 v53, v6, v50, 0
	v_dot4_i32_i8 v50, v43, v50, 0
	v_dot4_i32_i8 v53, v34, v51, v53
	v_dot4_i32_i8 v50, v7, v51, v50
	v_dot4_i32_i8 v53, v35, v52, v53
	v_dot4_i32_i8 v50, v8, v52, v50
	v_dot4_i32_i8 v53, v36, v45, v53
	v_dot4_i32_i8 v45, v9, v45, v50
	v_dot4_i32_i8 v53, v37, v46, v53
	v_dot4_i32_i8 v45, v2, v46, v45
	v_dot4_i32_i8 v53, v38, v47, v53
	v_dot4_i32_i8 v45, v3, v47, v45
	v_dot4_i32_i8 v53, v39, v48, v53
	v_dot4_i32_i8 v45, v4, v48, v45
	v_dot4_i32_i8 v53, v40, v17, v53
	v_dot4_i32_i8 v17, v5, v17, v45
	v_mul_lo_u32 v17, v17, v44
	v_mul_lo_u32 v53, v53, v41
	v_cvt_f32_f16_e32 v49, v49
	v_ashrrev_i32_e32 v45, 31, v17
	v_ashrrev_i32_e32 v54, 31, v53
	v_lshrrev_b32_e32 v45, 29, v45
	v_lshrrev_b32_e32 v54, 29, v54
	v_add_u32_e32 v17, v17, v45
	v_add_u32_e32 v53, v53, v54
	v_ashrrev_i32_e32 v17, 3, v17
	v_ashrrev_i32_e32 v53, 3, v53
	v_cvt_f32_i32_e32 v17, v17
	v_cvt_f32_i32_e32 v53, v53
	v_mul_f32_e32 v45, v16, v49
	v_mul_f32_e32 v54, v42, v49
	v_fmac_f32_e32 v20, v45, v17
	v_add_u32_e32 v17, s15, v30
	v_fmac_f32_e32 v21, v54, v53
	v_mad_u64_u32 v[53:54], s[16:17], v17, 36, v[10:11]
	global_load_dword v17, v[53:54], off offset:32
	global_load_dwordx4 v[45:48], v[53:54], off offset:16
	global_load_dwordx4 v[49:52], v[53:54], off
	v_add_u32_e32 v30, 64, v30
	s_waitcnt vmcnt(0)
	v_dot4_i32_i8 v6, v6, v50, 0
	v_dot4_i32_i8 v6, v34, v51, v6
	;; [unrolled: 1-line block ×8, first 2 shown]
	v_mul_lo_u32 v6, v6, v41
	v_cvt_f32_f16_e32 v49, v49
	v_ashrrev_i32_e32 v34, 31, v6
	v_lshrrev_b32_e32 v34, 29, v34
	v_add_u32_e32 v6, v6, v34
	v_ashrrev_i32_e32 v6, 3, v6
	v_cvt_f32_i32_e32 v6, v6
	v_mul_f32_e32 v34, v42, v49
	v_fmac_f32_e32 v19, v34, v6
	v_dot4_i32_i8 v6, v43, v50, 0
	v_dot4_i32_i8 v6, v7, v51, v6
	;; [unrolled: 1-line block ×8, first 2 shown]
	v_mul_lo_u32 v2, v2, v44
	v_ashrrev_i32_e32 v3, 31, v2
	v_lshrrev_b32_e32 v3, 29, v3
	v_add_u32_e32 v2, v2, v3
	v_ashrrev_i32_e32 v2, 3, v2
	v_cvt_f32_i32_e32 v2, v2
	v_mul_f32_e32 v3, v16, v49
	v_fmac_f32_e32 v18, v3, v2
	s_andn2_b64 exec, exec, s[12:13]
	s_cbranch_execnz .LBB164_2
; %bb.3:
	s_or_b64 exec, exec, s[12:13]
.LBB164_4:
	s_or_b64 exec, exec, s[10:11]
	s_mov_b32 s1, 0
	v_cmp_eq_u32_e32 vcc, 0, v1
	; wave barrier
	s_and_saveexec_b64 s[10:11], vcc
	s_cbranch_execz .LBB164_15
; %bb.5:
	v_mbcnt_lo_u32_b32 v1, -1, 0
	v_mbcnt_hi_u32_b32 v6, -1, v1
	v_and_b32_e32 v1, 64, v6
	v_add_u32_e32 v7, 64, v1
	v_xor_b32_e32 v1, 32, v6
	v_cmp_lt_i32_e32 vcc, v1, v7
	v_cndmask_b32_e32 v1, v6, v1, vcc
	v_lshlrev_b32_e32 v1, 2, v1
	ds_bpermute_b32 v5, v1, v27
	ds_bpermute_b32 v8, v1, v26
	v_xor_b32_e32 v2, 16, v6
	v_cmp_lt_i32_e32 vcc, v2, v7
	v_cndmask_b32_e32 v2, v6, v2, vcc
	v_lshlrev_b32_e32 v2, 2, v2
	s_waitcnt lgkmcnt(1)
	v_add_f32_e32 v5, v27, v5
	s_waitcnt lgkmcnt(0)
	v_add_f32_e32 v8, v26, v8
	ds_bpermute_b32 v10, v2, v5
	ds_bpermute_b32 v11, v2, v8
	v_xor_b32_e32 v3, 8, v6
	v_cmp_lt_i32_e32 vcc, v3, v7
	v_cndmask_b32_e32 v3, v6, v3, vcc
	v_lshlrev_b32_e32 v3, 2, v3
	s_waitcnt lgkmcnt(1)
	v_add_f32_e32 v10, v5, v10
	s_waitcnt lgkmcnt(0)
	v_add_f32_e32 v8, v8, v11
	;; [unrolled: 10-line block ×3, first 2 shown]
	ds_bpermute_b32 v12, v4, v10
	ds_bpermute_b32 v11, v4, v8
	v_xor_b32_e32 v9, 2, v6
	v_cmp_lt_i32_e32 vcc, v9, v7
	v_cndmask_b32_e32 v9, v6, v9, vcc
	v_lshlrev_b32_e32 v5, 2, v9
	v_xor_b32_e32 v9, 1, v6
	v_cmp_lt_i32_e32 vcc, v9, v7
	s_waitcnt lgkmcnt(1)
	v_add_f32_e32 v7, v10, v12
	s_waitcnt lgkmcnt(0)
	v_add_f32_e32 v10, v8, v11
	v_cndmask_b32_e32 v6, v6, v9, vcc
	ds_bpermute_b32 v9, v5, v7
	ds_bpermute_b32 v11, v5, v10
	s_load_dwordx2 s[4:5], s[4:5], 0x38
	s_mul_i32 s3, s14, s7
	v_lshlrev_b32_e32 v8, 2, v6
	s_waitcnt lgkmcnt(0)
	v_add_f32_e32 v6, v7, v9
	v_add_f32_e32 v9, v10, v11
	s_mul_i32 s0, s18, s8
	s_add_i32 s3, s3, s6
	ds_bpermute_b32 v7, v8, v6
	ds_bpermute_b32 v10, v8, v9
	s_add_i32 s0, s3, s0
	s_lshl_b64 s[0:1], s[0:1], 2
	s_add_u32 s4, s4, s0
	v_add_u32_e32 v11, s6, v0
	s_addc_u32 s5, s5, s1
	v_cmp_gt_u32_e32 vcc, 2, v0
	v_cmp_gt_u32_e64 s[0:1], s2, v11
	s_and_b64 s[0:1], vcc, s[0:1]
	s_waitcnt lgkmcnt(1)
	v_add_f32_e32 v6, v6, v7
	s_waitcnt lgkmcnt(0)
	v_add_f32_e32 v7, v9, v10
	s_and_saveexec_b64 s[6:7], s[0:1]
	s_cbranch_execz .LBB164_7
; %bb.6:
	v_cmp_eq_u32_e32 vcc, 1, v0
	v_cndmask_b32_e32 v9, v6, v7, vcc
	v_cmp_eq_u32_e32 vcc, 2, v0
	v_cndmask_b32_e32 v9, v9, v25, vcc
	;; [unrolled: 2-line block ×9, first 2 shown]
	v_lshlrev_b32_e32 v10, 2, v0
	global_store_dword v10, v9, s[4:5]
.LBB164_7:
	s_or_b64 exec, exec, s[6:7]
	ds_bpermute_b32 v9, v1, v25
	ds_bpermute_b32 v10, v1, v24
	s_waitcnt lgkmcnt(1)
	v_add_f32_e32 v9, v25, v9
	s_waitcnt lgkmcnt(0)
	v_add_f32_e32 v10, v24, v10
	ds_bpermute_b32 v11, v2, v9
	ds_bpermute_b32 v12, v2, v10
	s_waitcnt lgkmcnt(1)
	v_add_f32_e32 v9, v9, v11
	s_waitcnt lgkmcnt(0)
	v_add_f32_e32 v10, v10, v12
	;; [unrolled: 6-line block ×6, first 2 shown]
	s_and_saveexec_b64 s[6:7], s[0:1]
	s_cbranch_execz .LBB164_9
; %bb.8:
	v_add_u32_e32 v11, 2, v0
	v_cmp_eq_u32_e32 vcc, 1, v11
	v_cndmask_b32_e32 v12, v6, v7, vcc
	v_cmp_eq_u32_e32 vcc, 2, v11
	v_cndmask_b32_e32 v12, v12, v10, vcc
	;; [unrolled: 2-line block ×9, first 2 shown]
	v_add_u32_e32 v11, s2, v0
	v_mov_b32_e32 v12, 0
	v_lshlrev_b64 v[11:12], 2, v[11:12]
	v_mov_b32_e32 v14, s5
	v_add_co_u32_e32 v11, vcc, s4, v11
	v_addc_co_u32_e32 v12, vcc, v14, v12, vcc
	global_store_dword v[11:12], v13, off
.LBB164_9:
	s_or_b64 exec, exec, s[6:7]
	ds_bpermute_b32 v11, v1, v23
	ds_bpermute_b32 v12, v1, v22
	s_waitcnt lgkmcnt(1)
	v_add_f32_e32 v11, v23, v11
	s_waitcnt lgkmcnt(0)
	v_add_f32_e32 v12, v22, v12
	ds_bpermute_b32 v13, v2, v11
	ds_bpermute_b32 v14, v2, v12
	s_waitcnt lgkmcnt(1)
	v_add_f32_e32 v11, v11, v13
	s_waitcnt lgkmcnt(0)
	v_add_f32_e32 v12, v12, v14
	;; [unrolled: 6-line block ×6, first 2 shown]
	s_and_saveexec_b64 s[6:7], s[0:1]
	s_cbranch_execz .LBB164_11
; %bb.10:
	v_add_u32_e32 v13, 4, v0
	v_cmp_eq_u32_e32 vcc, 1, v13
	v_cndmask_b32_e32 v14, v6, v7, vcc
	v_cmp_eq_u32_e32 vcc, 2, v13
	v_cndmask_b32_e32 v14, v14, v10, vcc
	;; [unrolled: 2-line block ×9, first 2 shown]
	v_lshl_or_b32 v13, s2, 1, v0
	v_mov_b32_e32 v14, 0
	v_lshlrev_b64 v[13:14], 2, v[13:14]
	v_mov_b32_e32 v16, s5
	v_add_co_u32_e32 v13, vcc, s4, v13
	v_addc_co_u32_e32 v14, vcc, v16, v14, vcc
	global_store_dword v[13:14], v15, off
.LBB164_11:
	s_or_b64 exec, exec, s[6:7]
	ds_bpermute_b32 v13, v1, v21
	ds_bpermute_b32 v14, v1, v20
	s_waitcnt lgkmcnt(1)
	v_add_f32_e32 v13, v21, v13
	s_waitcnt lgkmcnt(0)
	v_add_f32_e32 v14, v20, v14
	ds_bpermute_b32 v15, v2, v13
	ds_bpermute_b32 v16, v2, v14
	s_waitcnt lgkmcnt(1)
	v_add_f32_e32 v13, v13, v15
	s_waitcnt lgkmcnt(0)
	v_add_f32_e32 v14, v14, v16
	;; [unrolled: 6-line block ×6, first 2 shown]
	s_and_saveexec_b64 s[6:7], s[0:1]
	s_cbranch_execz .LBB164_13
; %bb.12:
	v_add_u32_e32 v17, 6, v0
	v_cmp_eq_u32_e32 vcc, 1, v17
	v_cndmask_b32_e32 v15, v6, v7, vcc
	v_cmp_eq_u32_e32 vcc, 2, v17
	v_cndmask_b32_e32 v15, v15, v10, vcc
	;; [unrolled: 2-line block ×8, first 2 shown]
	v_mad_u64_u32 v[15:16], s[8:9], s2, 3, v[0:1]
	v_mov_b32_e32 v16, 0
	v_cmp_eq_u32_e32 vcc, 9, v17
	v_lshlrev_b64 v[15:16], 2, v[15:16]
	v_cndmask_b32_e32 v17, v20, v18, vcc
	v_mov_b32_e32 v20, s5
	v_add_co_u32_e32 v15, vcc, s4, v15
	v_addc_co_u32_e32 v16, vcc, v20, v16, vcc
	global_store_dword v[15:16], v17, off
.LBB164_13:
	s_or_b64 exec, exec, s[6:7]
	ds_bpermute_b32 v15, v1, v19
	ds_bpermute_b32 v1, v1, v18
	s_waitcnt lgkmcnt(1)
	v_add_f32_e32 v15, v19, v15
	s_waitcnt lgkmcnt(0)
	v_add_f32_e32 v1, v18, v1
	ds_bpermute_b32 v16, v2, v15
	ds_bpermute_b32 v2, v2, v1
	s_waitcnt lgkmcnt(1)
	v_add_f32_e32 v15, v15, v16
	s_waitcnt lgkmcnt(0)
	v_add_f32_e32 v1, v1, v2
	;; [unrolled: 6-line block ×5, first 2 shown]
	ds_bpermute_b32 v3, v8, v1
	ds_bpermute_b32 v4, v8, v2
	s_and_b64 exec, exec, s[0:1]
	s_cbranch_execz .LBB164_15
; %bb.14:
	s_waitcnt lgkmcnt(1)
	v_add_f32_e32 v1, v1, v3
	v_add_u32_e32 v3, 8, v0
	v_cmp_eq_u32_e32 vcc, 1, v3
	s_waitcnt lgkmcnt(0)
	v_add_f32_e32 v2, v2, v4
	v_cndmask_b32_e32 v4, v6, v7, vcc
	v_cmp_eq_u32_e32 vcc, 2, v3
	v_cndmask_b32_e32 v4, v4, v10, vcc
	v_cmp_eq_u32_e32 vcc, 3, v3
	;; [unrolled: 2-line block ×8, first 2 shown]
	v_cndmask_b32_e32 v2, v1, v2, vcc
	v_lshl_or_b32 v0, s2, 2, v0
	v_mov_b32_e32 v1, 0
	v_lshlrev_b64 v[0:1], 2, v[0:1]
	v_mov_b32_e32 v3, s5
	v_add_co_u32_e32 v0, vcc, s4, v0
	v_addc_co_u32_e32 v1, vcc, v3, v1, vcc
	global_store_dword v[0:1], v2, off
.LBB164_15:
	s_endpgm
	.section	.rodata,"a",@progbits
	.p2align	6, 0x0
	.amdhsa_kernel _ZL13mul_mat_vec_qIL9ggml_type16ELi5ELb0ELb0EEvPKvS2_PKi31ggml_cuda_mm_fusion_args_devicePfj15HIP_vector_typeIjLj3EEjjjS8_jjjS8_jjjj
		.amdhsa_group_segment_fixed_size 0
		.amdhsa_private_segment_fixed_size 0
		.amdhsa_kernarg_size 144
		.amdhsa_user_sgpr_count 6
		.amdhsa_user_sgpr_private_segment_buffer 1
		.amdhsa_user_sgpr_dispatch_ptr 0
		.amdhsa_user_sgpr_queue_ptr 0
		.amdhsa_user_sgpr_kernarg_segment_ptr 1
		.amdhsa_user_sgpr_dispatch_id 0
		.amdhsa_user_sgpr_flat_scratch_init 0
		.amdhsa_user_sgpr_private_segment_size 0
		.amdhsa_uses_dynamic_stack 0
		.amdhsa_system_sgpr_private_segment_wavefront_offset 0
		.amdhsa_system_sgpr_workgroup_id_x 1
		.amdhsa_system_sgpr_workgroup_id_y 1
		.amdhsa_system_sgpr_workgroup_id_z 1
		.amdhsa_system_sgpr_workgroup_info 0
		.amdhsa_system_vgpr_workitem_id 1
		.amdhsa_next_free_vgpr 57
		.amdhsa_next_free_sgpr 30
		.amdhsa_reserve_vcc 1
		.amdhsa_reserve_flat_scratch 0
		.amdhsa_float_round_mode_32 0
		.amdhsa_float_round_mode_16_64 0
		.amdhsa_float_denorm_mode_32 3
		.amdhsa_float_denorm_mode_16_64 3
		.amdhsa_dx10_clamp 1
		.amdhsa_ieee_mode 1
		.amdhsa_fp16_overflow 0
		.amdhsa_exception_fp_ieee_invalid_op 0
		.amdhsa_exception_fp_denorm_src 0
		.amdhsa_exception_fp_ieee_div_zero 0
		.amdhsa_exception_fp_ieee_overflow 0
		.amdhsa_exception_fp_ieee_underflow 0
		.amdhsa_exception_fp_ieee_inexact 0
		.amdhsa_exception_int_div_zero 0
	.end_amdhsa_kernel
	.section	.text._ZL13mul_mat_vec_qIL9ggml_type16ELi5ELb0ELb0EEvPKvS2_PKi31ggml_cuda_mm_fusion_args_devicePfj15HIP_vector_typeIjLj3EEjjjS8_jjjS8_jjjj,"axG",@progbits,_ZL13mul_mat_vec_qIL9ggml_type16ELi5ELb0ELb0EEvPKvS2_PKi31ggml_cuda_mm_fusion_args_devicePfj15HIP_vector_typeIjLj3EEjjjS8_jjjS8_jjjj,comdat
.Lfunc_end164:
	.size	_ZL13mul_mat_vec_qIL9ggml_type16ELi5ELb0ELb0EEvPKvS2_PKi31ggml_cuda_mm_fusion_args_devicePfj15HIP_vector_typeIjLj3EEjjjS8_jjjS8_jjjj, .Lfunc_end164-_ZL13mul_mat_vec_qIL9ggml_type16ELi5ELb0ELb0EEvPKvS2_PKi31ggml_cuda_mm_fusion_args_devicePfj15HIP_vector_typeIjLj3EEjjjS8_jjjS8_jjjj
                                        ; -- End function
	.set _ZL13mul_mat_vec_qIL9ggml_type16ELi5ELb0ELb0EEvPKvS2_PKi31ggml_cuda_mm_fusion_args_devicePfj15HIP_vector_typeIjLj3EEjjjS8_jjjS8_jjjj.num_vgpr, 57
	.set _ZL13mul_mat_vec_qIL9ggml_type16ELi5ELb0ELb0EEvPKvS2_PKi31ggml_cuda_mm_fusion_args_devicePfj15HIP_vector_typeIjLj3EEjjjS8_jjjS8_jjjj.num_agpr, 0
	.set _ZL13mul_mat_vec_qIL9ggml_type16ELi5ELb0ELb0EEvPKvS2_PKi31ggml_cuda_mm_fusion_args_devicePfj15HIP_vector_typeIjLj3EEjjjS8_jjjS8_jjjj.numbered_sgpr, 30
	.set _ZL13mul_mat_vec_qIL9ggml_type16ELi5ELb0ELb0EEvPKvS2_PKi31ggml_cuda_mm_fusion_args_devicePfj15HIP_vector_typeIjLj3EEjjjS8_jjjS8_jjjj.num_named_barrier, 0
	.set _ZL13mul_mat_vec_qIL9ggml_type16ELi5ELb0ELb0EEvPKvS2_PKi31ggml_cuda_mm_fusion_args_devicePfj15HIP_vector_typeIjLj3EEjjjS8_jjjS8_jjjj.private_seg_size, 0
	.set _ZL13mul_mat_vec_qIL9ggml_type16ELi5ELb0ELb0EEvPKvS2_PKi31ggml_cuda_mm_fusion_args_devicePfj15HIP_vector_typeIjLj3EEjjjS8_jjjS8_jjjj.uses_vcc, 1
	.set _ZL13mul_mat_vec_qIL9ggml_type16ELi5ELb0ELb0EEvPKvS2_PKi31ggml_cuda_mm_fusion_args_devicePfj15HIP_vector_typeIjLj3EEjjjS8_jjjS8_jjjj.uses_flat_scratch, 0
	.set _ZL13mul_mat_vec_qIL9ggml_type16ELi5ELb0ELb0EEvPKvS2_PKi31ggml_cuda_mm_fusion_args_devicePfj15HIP_vector_typeIjLj3EEjjjS8_jjjS8_jjjj.has_dyn_sized_stack, 0
	.set _ZL13mul_mat_vec_qIL9ggml_type16ELi5ELb0ELb0EEvPKvS2_PKi31ggml_cuda_mm_fusion_args_devicePfj15HIP_vector_typeIjLj3EEjjjS8_jjjS8_jjjj.has_recursion, 0
	.set _ZL13mul_mat_vec_qIL9ggml_type16ELi5ELb0ELb0EEvPKvS2_PKi31ggml_cuda_mm_fusion_args_devicePfj15HIP_vector_typeIjLj3EEjjjS8_jjjS8_jjjj.has_indirect_call, 0
	.section	.AMDGPU.csdata,"",@progbits
; Kernel info:
; codeLenInByte = 7040
; TotalNumSgprs: 34
; NumVgprs: 57
; ScratchSize: 0
; MemoryBound: 0
; FloatMode: 240
; IeeeMode: 1
; LDSByteSize: 0 bytes/workgroup (compile time only)
; SGPRBlocks: 4
; VGPRBlocks: 14
; NumSGPRsForWavesPerEU: 34
; NumVGPRsForWavesPerEU: 57
; Occupancy: 4
; WaveLimiterHint : 0
; COMPUTE_PGM_RSRC2:SCRATCH_EN: 0
; COMPUTE_PGM_RSRC2:USER_SGPR: 6
; COMPUTE_PGM_RSRC2:TRAP_HANDLER: 0
; COMPUTE_PGM_RSRC2:TGID_X_EN: 1
; COMPUTE_PGM_RSRC2:TGID_Y_EN: 1
; COMPUTE_PGM_RSRC2:TGID_Z_EN: 1
; COMPUTE_PGM_RSRC2:TIDIG_COMP_CNT: 1
	.section	.text._ZL13mul_mat_vec_qIL9ggml_type16ELi6ELb0ELb0EEvPKvS2_PKi31ggml_cuda_mm_fusion_args_devicePfj15HIP_vector_typeIjLj3EEjjjS8_jjjS8_jjjj,"axG",@progbits,_ZL13mul_mat_vec_qIL9ggml_type16ELi6ELb0ELb0EEvPKvS2_PKi31ggml_cuda_mm_fusion_args_devicePfj15HIP_vector_typeIjLj3EEjjjS8_jjjS8_jjjj,comdat
	.globl	_ZL13mul_mat_vec_qIL9ggml_type16ELi6ELb0ELb0EEvPKvS2_PKi31ggml_cuda_mm_fusion_args_devicePfj15HIP_vector_typeIjLj3EEjjjS8_jjjS8_jjjj ; -- Begin function _ZL13mul_mat_vec_qIL9ggml_type16ELi6ELb0ELb0EEvPKvS2_PKi31ggml_cuda_mm_fusion_args_devicePfj15HIP_vector_typeIjLj3EEjjjS8_jjjS8_jjjj
	.p2align	8
	.type	_ZL13mul_mat_vec_qIL9ggml_type16ELi6ELb0ELb0EEvPKvS2_PKi31ggml_cuda_mm_fusion_args_devicePfj15HIP_vector_typeIjLj3EEjjjS8_jjjS8_jjjj,@function
_ZL13mul_mat_vec_qIL9ggml_type16ELi6ELb0ELb0EEvPKvS2_PKi31ggml_cuda_mm_fusion_args_devicePfj15HIP_vector_typeIjLj3EEjjjS8_jjjS8_jjjj: ; @_ZL13mul_mat_vec_qIL9ggml_type16ELi6ELb0ELb0EEvPKvS2_PKi31ggml_cuda_mm_fusion_args_devicePfj15HIP_vector_typeIjLj3EEjjjS8_jjjS8_jjjj
; %bb.0:
	s_load_dword s9, s[4:5], 0x40
	s_load_dwordx4 s[0:3], s[4:5], 0x50
	s_load_dword s25, s[4:5], 0x60
	s_load_dwordx4 s[12:15], s[4:5], 0x68
	;; [unrolled: 2-line block ×3, first 2 shown]
	v_lshl_or_b32 v2, v1, 6, v0
	s_waitcnt lgkmcnt(0)
	s_lshr_b32 s9, s9, 8
	v_lshrrev_b32_e32 v30, 3, v2
	v_mov_b32_e32 v18, 0
	s_lshl_b32 s6, s6, 1
	v_cmp_gt_u32_e32 vcc, s9, v30
	v_mov_b32_e32 v19, v18
	v_mov_b32_e32 v20, v18
	;; [unrolled: 1-line block ×11, first 2 shown]
	s_and_saveexec_b64 s[10:11], vcc
	s_cbranch_execz .LBB165_4
; %bb.1:
	s_mul_hi_u32 s3, s3, s7
	s_add_i32 s3, s7, s3
	s_load_dwordx4 s[20:23], s[4:5], 0x0
	s_lshr_b32 s3, s3, s25
	s_mul_i32 s3, s3, s12
	s_mul_hi_u32 s12, s15, s8
	s_add_i32 s12, s8, s12
	s_lshr_b32 s12, s12, s24
	s_mul_i32 s19, s17, s8
	s_mul_i32 s15, s12, s16
	;; [unrolled: 1-line block ×3, first 2 shown]
	s_mul_hi_u32 s12, s19, 36
	s_waitcnt lgkmcnt(0)
	s_add_u32 s16, s22, s16
	s_addc_u32 s17, s23, s12
	s_mul_i32 s12, s13, s7
	s_mul_hi_u32 s13, s12, 36
	s_mul_i32 s12, s12, 36
	s_add_u32 s16, s16, s12
	s_addc_u32 s17, s17, s13
	v_and_b32_e32 v5, 7, v0
	v_lshlrev_b32_e32 v2, 1, v0
	v_mad_u64_u32 v[10:11], s[16:17], v5, 36, s[16:17]
	v_and_b32_e32 v2, 14, v2
	s_add_i32 s16, s6, 1
	s_add_i32 s15, s15, s3
	v_lshlrev_b32_e32 v4, 1, v2
	s_mul_i32 s3, s6, s0
	s_mul_i32 s0, s0, s16
	v_mov_b32_e32 v2, s12
	s_add_i32 s3, s15, s3
	s_add_i32 s0, s15, s0
	s_movk_i32 s15, 0x120
	v_mov_b32_e32 v3, s13
	v_mad_u64_u32 v[2:3], s[12:13], v30, s15, v[2:3]
	v_mov_b32_e32 v14, s20
	v_mov_b32_e32 v31, 0
	v_mad_u64_u32 v[2:3], s[12:13], s19, 36, v[2:3]
	v_lshlrev_b32_e32 v32, 3, v30
	s_mul_i32 s15, s1, 5
	v_mad_u64_u32 v[2:3], s[12:13], v5, 36, v[2:3]
	v_mov_b32_e32 v5, s23
	s_lshl_b32 s19, s1, 2
	v_add_co_u32_e32 v2, vcc, s22, v2
	v_addc_co_u32_e32 v3, vcc, v5, v3, vcc
	v_add_co_u32_e32 v12, vcc, 16, v2
	s_mul_i32 s24, s1, 3
	s_lshl_b32 s25, s1, 1
	v_addc_co_u32_e32 v13, vcc, 0, v3, vcc
	s_mov_b64 s[12:13], 0
	s_movk_i32 s22, 0x42
	v_lshlrev_b32_e32 v33, 1, v4
	s_mov_b32 s23, 0x1010101
	s_movk_i32 s26, 0xff00
	s_mov_b32 s27, 0xc0c0105
	v_mov_b32_e32 v34, 3
	v_mov_b32_e32 v35, 8
	;; [unrolled: 1-line block ×15, first 2 shown]
.LBB165_2:                              ; =>This Inner Loop Header: Depth=1
	v_add_u32_e32 v16, s3, v30
	v_mad_i64_i32 v[16:17], s[16:17], v16, s22, v[14:15]
	global_load_dword v46, v[12:13], off offset:16
	global_load_dwordx4 v[2:5], v[12:13], off
	global_load_dwordx4 v[6:9], v[12:13], off offset:-16
	s_getpc_b64 s[16:17]
	s_add_u32 s16, s16, _ZL11iq2xxs_grid@rel32@lo+4
	s_addc_u32 s17, s17, _ZL11iq2xxs_grid@rel32@hi+12
	v_add_co_u32_e32 v36, vcc, v16, v33
	v_addc_co_u32_e32 v37, vcc, 0, v17, vcc
	global_load_dwordx2 v[42:43], v[36:37], off offset:2
	s_waitcnt vmcnt(1)
	v_cvt_f32_f16_e32 v47, v6
	global_load_ushort v16, v[16:17], off
	s_waitcnt vmcnt(1)
	v_lshlrev_b32_sdwa v6, v34, v42 dst_sel:DWORD dst_unused:UNUSED_PAD src0_sel:DWORD src1_sel:BYTE_0
	global_load_dwordx2 v[36:37], v6, s[16:17]
	v_and_b32_e32 v6, 0xff, v43
	v_bcnt_u32_b32 v38, v6, 0
	v_and_b32_e32 v38, 1, v38
	v_lshlrev_b32_e32 v38, 7, v38
	v_xor_b32_e32 v6, v38, v6
	v_mul_lo_u32 v38, v6, s23
	v_and_b32_e32 v6, 0x8040201, v38
	v_cmp_ne_u16_sdwa s[20:21], v6, v31 src0_sel:BYTE_3 src1_sel:DWORD
	v_cmp_ne_u16_sdwa s[28:29], v6, v31 src0_sel:BYTE_1 src1_sel:DWORD
	v_lshrrev_b32_e32 v39, 18, v38
	v_cndmask_b32_e64 v40, 0, -1, s[28:29]
	v_cndmask_b32_e64 v44, 0, -1, s[20:21]
	v_bfe_i32 v6, v38, 0, 1
	v_lshlrev_b16_e32 v40, 8, v40
	v_bfe_i32 v39, v39, 0, 1
	v_lshlrev_b16_e32 v44, 8, v44
	v_or_b32_sdwa v41, v6, v40 dst_sel:DWORD dst_unused:UNUSED_PAD src0_sel:BYTE_0 src1_sel:DWORD
	v_or_b32_sdwa v45, v39, v44 dst_sel:WORD_1 dst_unused:UNUSED_PAD src0_sel:BYTE_0 src1_sel:DWORD
	v_or_b32_sdwa v41, v41, v45 dst_sel:DWORD dst_unused:UNUSED_PAD src0_sel:WORD_0 src1_sel:DWORD
	v_lshlrev_b16_e32 v6, 8, v6
	v_lshlrev_b16_e32 v39, 8, v39
	s_waitcnt vmcnt(0)
	v_xor_b32_e32 v36, v36, v41
	v_and_b32_e32 v41, 0xffffff00, v36
	v_sub_i16 v40, v41, v40 clamp
	v_lshlrev_b16_e32 v41, 8, v36
	v_sub_i16 v6, v41, v6 clamp
	v_perm_b32 v6, v6, v40, s27
	v_and_b32_sdwa v40, v36, s26 dst_sel:DWORD dst_unused:UNUSED_PAD src0_sel:WORD_1 src1_sel:DWORD
	v_lshlrev_b16_sdwa v36, v35, v36 dst_sel:DWORD dst_unused:UNUSED_PAD src0_sel:DWORD src1_sel:WORD_1
	v_sub_i16 v40, v40, v44 clamp
	v_sub_i16 v36, v36, v39 clamp
	v_perm_b32 v36, v36, v40, s27
	v_lshl_or_b32 v6, v36, 16, v6
	v_and_b32_e32 v36, 0x80402010, v38
	v_cmp_ne_u16_sdwa s[20:21], v36, v31 src0_sel:BYTE_3 src1_sel:DWORD
	v_cmp_ne_u16_sdwa s[28:29], v36, v31 src0_sel:BYTE_1 src1_sel:DWORD
	v_lshrrev_b32_e32 v38, 22, v38
	v_lshrrev_b16_e32 v36, 4, v36
	v_cndmask_b32_e64 v40, 0, -1, s[28:29]
	v_cndmask_b32_e64 v44, 0, -1, s[20:21]
	v_bfe_i32 v36, v36, 0, 1
	v_lshlrev_b16_e32 v40, 8, v40
	v_bfe_i32 v38, v38, 0, 1
	v_lshlrev_b16_e32 v44, 8, v44
	v_or_b32_sdwa v41, v36, v40 dst_sel:DWORD dst_unused:UNUSED_PAD src0_sel:BYTE_0 src1_sel:DWORD
	v_or_b32_sdwa v45, v38, v44 dst_sel:WORD_1 dst_unused:UNUSED_PAD src0_sel:BYTE_0 src1_sel:DWORD
	v_or_b32_sdwa v41, v41, v45 dst_sel:DWORD dst_unused:UNUSED_PAD src0_sel:WORD_0 src1_sel:DWORD
	v_xor_b32_e32 v37, v37, v41
	v_and_b32_e32 v41, 0xffffff00, v37
	v_sub_i16 v40, v41, v40 clamp
	v_lshlrev_b16_e32 v41, 8, v37
	v_lshlrev_b16_e32 v36, 8, v36
	v_sub_i16 v36, v41, v36 clamp
	v_perm_b32 v36, v36, v40, s27
	v_and_b32_sdwa v40, v37, s26 dst_sel:DWORD dst_unused:UNUSED_PAD src0_sel:WORD_1 src1_sel:DWORD
	v_lshlrev_b16_sdwa v37, v35, v37 dst_sel:DWORD dst_unused:UNUSED_PAD src0_sel:DWORD src1_sel:WORD_1
	v_lshlrev_b16_e32 v38, 8, v38
	v_sub_i16 v40, v40, v44 clamp
	v_sub_i16 v37, v37, v38 clamp
	v_perm_b32 v37, v37, v40, s27
	v_lshl_or_b32 v36, v37, 16, v36
	v_lshlrev_b32_sdwa v37, v34, v42 dst_sel:DWORD dst_unused:UNUSED_PAD src0_sel:DWORD src1_sel:BYTE_1
	global_load_dwordx2 v[37:38], v37, s[16:17]
	v_bfe_u32 v40, v43, 7, 8
	v_bcnt_u32_b32 v41, v40, 0
	v_and_b32_e32 v41, 1, v41
	v_lshlrev_b32_e32 v41, 7, v41
	v_xor_b32_e32 v40, v41, v40
	v_mul_lo_u32 v40, v40, s23
	v_dot4_i32_i8 v39, v6, v7, 0
	v_dot4_i32_i8 v39, v36, v8, v39
	v_and_b32_e32 v41, 0x8040201, v40
	v_cmp_ne_u16_sdwa s[20:21], v41, v31 src0_sel:BYTE_3 src1_sel:DWORD
	v_cmp_ne_u16_sdwa s[28:29], v41, v31 src0_sel:BYTE_1 src1_sel:DWORD
	v_lshrrev_b32_e32 v44, 18, v40
	v_cndmask_b32_e64 v45, 0, -1, s[28:29]
	v_cndmask_b32_e64 v49, 0, -1, s[20:21]
	v_bfe_i32 v41, v40, 0, 1
	v_lshlrev_b16_e32 v45, 8, v45
	v_bfe_i32 v44, v44, 0, 1
	v_lshlrev_b16_e32 v49, 8, v49
	v_or_b32_sdwa v48, v41, v45 dst_sel:DWORD dst_unused:UNUSED_PAD src0_sel:BYTE_0 src1_sel:DWORD
	v_or_b32_sdwa v50, v44, v49 dst_sel:WORD_1 dst_unused:UNUSED_PAD src0_sel:BYTE_0 src1_sel:DWORD
	v_or_b32_sdwa v48, v48, v50 dst_sel:DWORD dst_unused:UNUSED_PAD src0_sel:WORD_0 src1_sel:DWORD
	v_lshlrev_b16_e32 v41, 8, v41
	v_lshlrev_b16_e32 v44, 8, v44
	s_waitcnt vmcnt(0)
	v_xor_b32_e32 v37, v37, v48
	v_and_b32_e32 v48, 0xffffff00, v37
	v_sub_i16 v45, v48, v45 clamp
	v_lshlrev_b16_e32 v48, 8, v37
	v_sub_i16 v41, v48, v41 clamp
	v_perm_b32 v41, v41, v45, s27
	v_and_b32_sdwa v45, v37, s26 dst_sel:DWORD dst_unused:UNUSED_PAD src0_sel:WORD_1 src1_sel:DWORD
	v_lshlrev_b16_sdwa v37, v35, v37 dst_sel:DWORD dst_unused:UNUSED_PAD src0_sel:DWORD src1_sel:WORD_1
	v_sub_i16 v45, v45, v49 clamp
	v_sub_i16 v37, v37, v44 clamp
	v_perm_b32 v37, v37, v45, s27
	v_lshl_or_b32 v37, v37, 16, v41
	v_and_b32_e32 v41, 0x80402010, v40
	v_cmp_ne_u16_sdwa s[20:21], v41, v31 src0_sel:BYTE_3 src1_sel:DWORD
	v_cmp_ne_u16_sdwa s[28:29], v41, v31 src0_sel:BYTE_1 src1_sel:DWORD
	v_lshrrev_b32_e32 v40, 22, v40
	v_lshrrev_b16_e32 v41, 4, v41
	v_cndmask_b32_e64 v44, 0, -1, s[28:29]
	v_cndmask_b32_e64 v48, 0, -1, s[20:21]
	v_bfe_i32 v41, v41, 0, 1
	v_lshlrev_b16_e32 v44, 8, v44
	v_bfe_i32 v40, v40, 0, 1
	v_lshlrev_b16_e32 v48, 8, v48
	v_or_b32_sdwa v45, v41, v44 dst_sel:DWORD dst_unused:UNUSED_PAD src0_sel:BYTE_0 src1_sel:DWORD
	v_or_b32_sdwa v49, v40, v48 dst_sel:WORD_1 dst_unused:UNUSED_PAD src0_sel:BYTE_0 src1_sel:DWORD
	v_or_b32_sdwa v45, v45, v49 dst_sel:DWORD dst_unused:UNUSED_PAD src0_sel:WORD_0 src1_sel:DWORD
	v_xor_b32_e32 v38, v38, v45
	v_and_b32_e32 v45, 0xffffff00, v38
	v_sub_i16 v44, v45, v44 clamp
	v_lshlrev_b16_e32 v45, 8, v38
	v_lshlrev_b16_e32 v41, 8, v41
	v_sub_i16 v41, v45, v41 clamp
	v_perm_b32 v41, v41, v44, s27
	v_and_b32_sdwa v44, v38, s26 dst_sel:DWORD dst_unused:UNUSED_PAD src0_sel:WORD_1 src1_sel:DWORD
	v_lshlrev_b16_sdwa v38, v35, v38 dst_sel:DWORD dst_unused:UNUSED_PAD src0_sel:DWORD src1_sel:WORD_1
	v_lshlrev_b16_e32 v40, 8, v40
	v_sub_i16 v44, v44, v48 clamp
	v_sub_i16 v38, v38, v40 clamp
	v_perm_b32 v38, v38, v44, s27
	v_dot4_i32_i8 v39, v37, v9, v39
	v_lshl_or_b32 v38, v38, 16, v41
	v_dot4_i32_i8 v41, v38, v2, v39
	v_lshlrev_b32_sdwa v39, v34, v42 dst_sel:DWORD dst_unused:UNUSED_PAD src0_sel:DWORD src1_sel:BYTE_2
	global_load_dwordx2 v[39:40], v39, s[16:17]
	v_bfe_u32 v44, v43, 14, 8
	v_bcnt_u32_b32 v45, v44, 0
	v_and_b32_e32 v45, 1, v45
	v_lshlrev_b32_e32 v45, 7, v45
	v_xor_b32_e32 v44, v45, v44
	v_mul_lo_u32 v44, v44, s23
	v_and_b32_e32 v45, 0x8040201, v44
	v_cmp_ne_u16_sdwa s[20:21], v45, v31 src0_sel:BYTE_3 src1_sel:DWORD
	v_cmp_ne_u16_sdwa s[28:29], v45, v31 src0_sel:BYTE_1 src1_sel:DWORD
	v_lshrrev_b32_e32 v48, 18, v44
	v_cndmask_b32_e64 v49, 0, -1, s[28:29]
	v_cndmask_b32_e64 v51, 0, -1, s[20:21]
	v_bfe_i32 v45, v44, 0, 1
	v_lshlrev_b16_e32 v49, 8, v49
	v_bfe_i32 v48, v48, 0, 1
	v_lshlrev_b16_e32 v51, 8, v51
	v_or_b32_sdwa v50, v45, v49 dst_sel:DWORD dst_unused:UNUSED_PAD src0_sel:BYTE_0 src1_sel:DWORD
	v_or_b32_sdwa v52, v48, v51 dst_sel:WORD_1 dst_unused:UNUSED_PAD src0_sel:BYTE_0 src1_sel:DWORD
	v_or_b32_sdwa v50, v50, v52 dst_sel:DWORD dst_unused:UNUSED_PAD src0_sel:WORD_0 src1_sel:DWORD
	v_lshlrev_b16_e32 v45, 8, v45
	v_lshlrev_b16_e32 v48, 8, v48
	s_waitcnt vmcnt(0)
	v_xor_b32_e32 v39, v39, v50
	v_and_b32_e32 v50, 0xffffff00, v39
	v_sub_i16 v49, v50, v49 clamp
	v_lshlrev_b16_e32 v50, 8, v39
	v_sub_i16 v45, v50, v45 clamp
	v_perm_b32 v45, v45, v49, s27
	v_and_b32_sdwa v49, v39, s26 dst_sel:DWORD dst_unused:UNUSED_PAD src0_sel:WORD_1 src1_sel:DWORD
	v_lshlrev_b16_sdwa v39, v35, v39 dst_sel:DWORD dst_unused:UNUSED_PAD src0_sel:DWORD src1_sel:WORD_1
	v_sub_i16 v49, v49, v51 clamp
	v_sub_i16 v39, v39, v48 clamp
	v_perm_b32 v39, v39, v49, s27
	v_lshl_or_b32 v39, v39, 16, v45
	v_and_b32_e32 v45, 0x80402010, v44
	v_cmp_ne_u16_sdwa s[20:21], v45, v31 src0_sel:BYTE_3 src1_sel:DWORD
	v_cmp_ne_u16_sdwa s[28:29], v45, v31 src0_sel:BYTE_1 src1_sel:DWORD
	v_lshrrev_b32_e32 v44, 22, v44
	v_lshrrev_b16_e32 v45, 4, v45
	v_cndmask_b32_e64 v48, 0, -1, s[28:29]
	v_cndmask_b32_e64 v50, 0, -1, s[20:21]
	v_bfe_i32 v45, v45, 0, 1
	v_lshlrev_b16_e32 v48, 8, v48
	v_bfe_i32 v44, v44, 0, 1
	v_lshlrev_b16_e32 v50, 8, v50
	v_or_b32_sdwa v49, v45, v48 dst_sel:DWORD dst_unused:UNUSED_PAD src0_sel:BYTE_0 src1_sel:DWORD
	v_or_b32_sdwa v51, v44, v50 dst_sel:WORD_1 dst_unused:UNUSED_PAD src0_sel:BYTE_0 src1_sel:DWORD
	v_or_b32_sdwa v49, v49, v51 dst_sel:DWORD dst_unused:UNUSED_PAD src0_sel:WORD_0 src1_sel:DWORD
	v_xor_b32_e32 v40, v40, v49
	v_and_b32_e32 v49, 0xffffff00, v40
	v_sub_i16 v48, v49, v48 clamp
	v_lshlrev_b16_e32 v49, 8, v40
	v_lshlrev_b16_e32 v45, 8, v45
	v_sub_i16 v45, v49, v45 clamp
	v_perm_b32 v45, v45, v48, s27
	v_and_b32_sdwa v48, v40, s26 dst_sel:DWORD dst_unused:UNUSED_PAD src0_sel:WORD_1 src1_sel:DWORD
	v_lshlrev_b16_sdwa v40, v35, v40 dst_sel:DWORD dst_unused:UNUSED_PAD src0_sel:DWORD src1_sel:WORD_1
	v_lshlrev_b16_e32 v44, 8, v44
	v_sub_i16 v48, v48, v50 clamp
	v_sub_i16 v40, v40, v44 clamp
	v_perm_b32 v40, v40, v48, s27
	v_dot4_i32_i8 v41, v39, v3, v41
	v_lshl_or_b32 v40, v40, 16, v45
	v_dot4_i32_i8 v44, v40, v4, v41
	v_lshlrev_b32_sdwa v41, v34, v42 dst_sel:DWORD dst_unused:UNUSED_PAD src0_sel:DWORD src1_sel:BYTE_3
	global_load_dwordx2 v[41:42], v41, s[16:17]
	v_bfe_u32 v45, v43, 21, 8
	v_bcnt_u32_b32 v48, v45, 0
	v_and_b32_e32 v48, 1, v48
	v_lshlrev_b32_e32 v48, 7, v48
	v_xor_b32_e32 v45, v48, v45
	v_mul_lo_u32 v45, v45, s23
	v_lshrrev_b32_e32 v43, 27, v43
	v_or_b32_e32 v43, 1, v43
	v_and_b32_e32 v48, 0x8040201, v45
	v_cmp_ne_u16_sdwa s[20:21], v48, v31 src0_sel:BYTE_3 src1_sel:DWORD
	v_cmp_ne_u16_sdwa s[28:29], v48, v31 src0_sel:BYTE_1 src1_sel:DWORD
	v_lshrrev_b32_e32 v49, 18, v45
	v_cndmask_b32_e64 v50, 0, -1, s[28:29]
	v_cndmask_b32_e64 v52, 0, -1, s[20:21]
	v_bfe_i32 v48, v45, 0, 1
	v_lshlrev_b16_e32 v50, 8, v50
	v_bfe_i32 v49, v49, 0, 1
	v_lshlrev_b16_e32 v52, 8, v52
	v_or_b32_sdwa v51, v48, v50 dst_sel:DWORD dst_unused:UNUSED_PAD src0_sel:BYTE_0 src1_sel:DWORD
	v_or_b32_sdwa v53, v49, v52 dst_sel:WORD_1 dst_unused:UNUSED_PAD src0_sel:BYTE_0 src1_sel:DWORD
	v_or_b32_sdwa v51, v51, v53 dst_sel:DWORD dst_unused:UNUSED_PAD src0_sel:WORD_0 src1_sel:DWORD
	v_lshlrev_b16_e32 v48, 8, v48
	v_lshlrev_b16_e32 v49, 8, v49
	s_waitcnt vmcnt(0)
	v_xor_b32_e32 v41, v41, v51
	v_and_b32_e32 v51, 0xffffff00, v41
	v_sub_i16 v50, v51, v50 clamp
	v_lshlrev_b16_e32 v51, 8, v41
	v_sub_i16 v48, v51, v48 clamp
	v_perm_b32 v48, v48, v50, s27
	v_and_b32_sdwa v50, v41, s26 dst_sel:DWORD dst_unused:UNUSED_PAD src0_sel:WORD_1 src1_sel:DWORD
	v_lshlrev_b16_sdwa v41, v35, v41 dst_sel:DWORD dst_unused:UNUSED_PAD src0_sel:DWORD src1_sel:WORD_1
	v_sub_i16 v50, v50, v52 clamp
	v_sub_i16 v41, v41, v49 clamp
	v_perm_b32 v41, v41, v50, s27
	v_lshl_or_b32 v41, v41, 16, v48
	v_and_b32_e32 v48, 0x80402010, v45
	v_cmp_ne_u16_sdwa s[20:21], v48, v31 src0_sel:BYTE_3 src1_sel:DWORD
	v_cmp_ne_u16_sdwa s[28:29], v48, v31 src0_sel:BYTE_1 src1_sel:DWORD
	v_lshrrev_b32_e32 v45, 22, v45
	v_lshrrev_b16_e32 v48, 4, v48
	v_cndmask_b32_e64 v49, 0, -1, s[28:29]
	v_cndmask_b32_e64 v51, 0, -1, s[20:21]
	v_bfe_i32 v48, v48, 0, 1
	v_lshlrev_b16_e32 v49, 8, v49
	v_bfe_i32 v45, v45, 0, 1
	v_lshlrev_b16_e32 v51, 8, v51
	v_or_b32_sdwa v50, v48, v49 dst_sel:DWORD dst_unused:UNUSED_PAD src0_sel:BYTE_0 src1_sel:DWORD
	v_or_b32_sdwa v52, v45, v51 dst_sel:WORD_1 dst_unused:UNUSED_PAD src0_sel:BYTE_0 src1_sel:DWORD
	v_or_b32_sdwa v50, v50, v52 dst_sel:DWORD dst_unused:UNUSED_PAD src0_sel:WORD_0 src1_sel:DWORD
	v_xor_b32_e32 v42, v42, v50
	v_and_b32_e32 v50, 0xffffff00, v42
	v_sub_i16 v49, v50, v49 clamp
	v_lshlrev_b16_e32 v50, 8, v42
	v_lshlrev_b16_e32 v48, 8, v48
	v_sub_i16 v48, v50, v48 clamp
	v_perm_b32 v48, v48, v49, s27
	v_and_b32_sdwa v49, v42, s26 dst_sel:DWORD dst_unused:UNUSED_PAD src0_sel:WORD_1 src1_sel:DWORD
	v_lshlrev_b16_sdwa v42, v35, v42 dst_sel:DWORD dst_unused:UNUSED_PAD src0_sel:DWORD src1_sel:WORD_1
	v_lshlrev_b16_e32 v45, 8, v45
	v_sub_i16 v49, v49, v51 clamp
	v_sub_i16 v42, v42, v45 clamp
	v_perm_b32 v42, v42, v49, s27
	v_dot4_i32_i8 v44, v41, v5, v44
	v_lshl_or_b32 v42, v42, 16, v48
	v_dot4_i32_i8 v44, v42, v46, v44
	v_mul_lo_u32 v44, v44, v43
	v_ashrrev_i32_e32 v45, 31, v44
	v_lshrrev_b32_e32 v45, 29, v45
	v_add_u32_e32 v44, v44, v45
	v_ashrrev_i32_e32 v45, 3, v44
	v_cvt_f32_f16_e32 v44, v16
	v_cvt_f32_i32_e32 v17, v45
	v_mul_f32_e32 v16, v44, v47
	v_fmac_f32_e32 v29, v16, v17
	v_add_u32_e32 v16, s0, v30
	v_mad_i64_i32 v[16:17], s[20:21], v16, s22, v[14:15]
	v_add_u32_e32 v30, 8, v30
	v_add_co_u32_e32 v48, vcc, v16, v33
	v_addc_co_u32_e32 v49, vcc, 0, v17, vcc
	global_load_dwordx2 v[48:49], v[48:49], off offset:2
	v_add_co_u32_e32 v12, vcc, 0x900, v12
	global_load_ushort v16, v[16:17], off
	v_addc_co_u32_e32 v13, vcc, 0, v13, vcc
	v_cmp_le_u32_e32 vcc, s9, v30
	s_or_b64 s[12:13], vcc, s[12:13]
	s_waitcnt vmcnt(1)
	v_lshlrev_b32_sdwa v45, v34, v48 dst_sel:DWORD dst_unused:UNUSED_PAD src0_sel:DWORD src1_sel:BYTE_0
	global_load_dwordx2 v[50:51], v45, s[16:17]
	v_and_b32_e32 v45, 0xff, v49
	v_bcnt_u32_b32 v52, v45, 0
	v_and_b32_e32 v52, 1, v52
	v_lshlrev_b32_e32 v52, 7, v52
	v_xor_b32_e32 v45, v52, v45
	v_mul_lo_u32 v52, v45, s23
	s_waitcnt vmcnt(1)
	v_cvt_f32_f16_e32 v16, v16
	v_and_b32_e32 v45, 0x8040201, v52
	v_cmp_ne_u16_sdwa s[20:21], v45, v31 src0_sel:BYTE_3 src1_sel:DWORD
	v_cmp_ne_u16_sdwa s[28:29], v45, v31 src0_sel:BYTE_1 src1_sel:DWORD
	v_lshrrev_b32_e32 v53, 18, v52
	v_cndmask_b32_e64 v54, 0, -1, s[28:29]
	v_cndmask_b32_e64 v56, 0, -1, s[20:21]
	v_bfe_i32 v45, v52, 0, 1
	v_lshlrev_b16_e32 v54, 8, v54
	v_bfe_i32 v53, v53, 0, 1
	v_lshlrev_b16_e32 v56, 8, v56
	v_or_b32_sdwa v55, v45, v54 dst_sel:DWORD dst_unused:UNUSED_PAD src0_sel:BYTE_0 src1_sel:DWORD
	v_or_b32_sdwa v57, v53, v56 dst_sel:WORD_1 dst_unused:UNUSED_PAD src0_sel:BYTE_0 src1_sel:DWORD
	v_or_b32_sdwa v55, v55, v57 dst_sel:DWORD dst_unused:UNUSED_PAD src0_sel:WORD_0 src1_sel:DWORD
	v_lshlrev_b16_e32 v45, 8, v45
	v_lshlrev_b16_e32 v53, 8, v53
	v_mul_f32_e32 v17, v16, v47
	s_waitcnt vmcnt(0)
	v_xor_b32_e32 v50, v50, v55
	v_and_b32_e32 v55, 0xffffff00, v50
	v_sub_i16 v54, v55, v54 clamp
	v_lshlrev_b16_e32 v55, 8, v50
	v_sub_i16 v45, v55, v45 clamp
	v_perm_b32 v45, v45, v54, s27
	v_and_b32_sdwa v54, v50, s26 dst_sel:DWORD dst_unused:UNUSED_PAD src0_sel:WORD_1 src1_sel:DWORD
	v_lshlrev_b16_sdwa v50, v35, v50 dst_sel:DWORD dst_unused:UNUSED_PAD src0_sel:DWORD src1_sel:WORD_1
	v_sub_i16 v54, v54, v56 clamp
	v_sub_i16 v50, v50, v53 clamp
	v_perm_b32 v50, v50, v54, s27
	v_lshl_or_b32 v45, v50, 16, v45
	v_dot4_i32_i8 v50, v45, v7, 0
	v_and_b32_e32 v7, 0x80402010, v52
	v_cmp_ne_u16_sdwa s[20:21], v7, v31 src0_sel:BYTE_3 src1_sel:DWORD
	v_cmp_ne_u16_sdwa s[28:29], v7, v31 src0_sel:BYTE_1 src1_sel:DWORD
	v_lshrrev_b32_e32 v52, 22, v52
	v_lshrrev_b16_e32 v7, 4, v7
	v_cndmask_b32_e64 v53, 0, -1, s[28:29]
	v_cndmask_b32_e64 v55, 0, -1, s[20:21]
	v_bfe_i32 v7, v7, 0, 1
	v_lshlrev_b16_e32 v53, 8, v53
	v_bfe_i32 v52, v52, 0, 1
	v_lshlrev_b16_e32 v55, 8, v55
	v_or_b32_sdwa v54, v7, v53 dst_sel:DWORD dst_unused:UNUSED_PAD src0_sel:BYTE_0 src1_sel:DWORD
	v_or_b32_sdwa v56, v52, v55 dst_sel:WORD_1 dst_unused:UNUSED_PAD src0_sel:BYTE_0 src1_sel:DWORD
	v_or_b32_sdwa v54, v54, v56 dst_sel:DWORD dst_unused:UNUSED_PAD src0_sel:WORD_0 src1_sel:DWORD
	v_xor_b32_e32 v51, v51, v54
	v_and_b32_e32 v54, 0xffffff00, v51
	v_sub_i16 v53, v54, v53 clamp
	v_lshlrev_b16_e32 v54, 8, v51
	v_lshlrev_b16_e32 v7, 8, v7
	v_sub_i16 v7, v54, v7 clamp
	v_perm_b32 v7, v7, v53, s27
	v_and_b32_sdwa v53, v51, s26 dst_sel:DWORD dst_unused:UNUSED_PAD src0_sel:WORD_1 src1_sel:DWORD
	v_lshlrev_b16_sdwa v51, v35, v51 dst_sel:DWORD dst_unused:UNUSED_PAD src0_sel:DWORD src1_sel:WORD_1
	v_lshlrev_b16_e32 v52, 8, v52
	v_sub_i16 v53, v53, v55 clamp
	v_sub_i16 v51, v51, v52 clamp
	v_perm_b32 v51, v51, v53, s27
	v_lshl_or_b32 v7, v51, 16, v7
	v_dot4_i32_i8 v52, v7, v8, v50
	v_lshlrev_b32_sdwa v8, v34, v48 dst_sel:DWORD dst_unused:UNUSED_PAD src0_sel:DWORD src1_sel:BYTE_1
	global_load_dwordx2 v[50:51], v8, s[16:17]
	v_bfe_u32 v8, v49, 7, 8
	v_bcnt_u32_b32 v53, v8, 0
	v_and_b32_e32 v53, 1, v53
	v_lshlrev_b32_e32 v53, 7, v53
	v_xor_b32_e32 v8, v53, v8
	v_mul_lo_u32 v53, v8, s23
	v_and_b32_e32 v8, 0x8040201, v53
	v_cmp_ne_u16_sdwa s[20:21], v8, v31 src0_sel:BYTE_3 src1_sel:DWORD
	v_cmp_ne_u16_sdwa s[28:29], v8, v31 src0_sel:BYTE_1 src1_sel:DWORD
	v_lshrrev_b32_e32 v54, 18, v53
	v_cndmask_b32_e64 v55, 0, -1, s[28:29]
	v_cndmask_b32_e64 v57, 0, -1, s[20:21]
	v_bfe_i32 v8, v53, 0, 1
	v_lshlrev_b16_e32 v55, 8, v55
	v_bfe_i32 v54, v54, 0, 1
	v_lshlrev_b16_e32 v57, 8, v57
	v_or_b32_sdwa v56, v8, v55 dst_sel:DWORD dst_unused:UNUSED_PAD src0_sel:BYTE_0 src1_sel:DWORD
	v_or_b32_sdwa v58, v54, v57 dst_sel:WORD_1 dst_unused:UNUSED_PAD src0_sel:BYTE_0 src1_sel:DWORD
	v_or_b32_sdwa v56, v56, v58 dst_sel:DWORD dst_unused:UNUSED_PAD src0_sel:WORD_0 src1_sel:DWORD
	v_lshlrev_b16_e32 v8, 8, v8
	v_lshlrev_b16_e32 v54, 8, v54
	s_waitcnt vmcnt(0)
	v_xor_b32_e32 v50, v50, v56
	v_and_b32_e32 v56, 0xffffff00, v50
	v_sub_i16 v55, v56, v55 clamp
	v_lshlrev_b16_e32 v56, 8, v50
	v_sub_i16 v8, v56, v8 clamp
	v_perm_b32 v8, v8, v55, s27
	v_and_b32_sdwa v55, v50, s26 dst_sel:DWORD dst_unused:UNUSED_PAD src0_sel:WORD_1 src1_sel:DWORD
	v_lshlrev_b16_sdwa v50, v35, v50 dst_sel:DWORD dst_unused:UNUSED_PAD src0_sel:DWORD src1_sel:WORD_1
	v_sub_i16 v55, v55, v57 clamp
	v_sub_i16 v50, v50, v54 clamp
	v_perm_b32 v50, v50, v55, s27
	v_lshl_or_b32 v8, v50, 16, v8
	v_dot4_i32_i8 v50, v8, v9, v52
	v_and_b32_e32 v9, 0x80402010, v53
	v_cmp_ne_u16_sdwa s[20:21], v9, v31 src0_sel:BYTE_3 src1_sel:DWORD
	v_cmp_ne_u16_sdwa s[28:29], v9, v31 src0_sel:BYTE_1 src1_sel:DWORD
	v_lshrrev_b32_e32 v52, 22, v53
	v_lshrrev_b16_e32 v9, 4, v9
	v_cndmask_b32_e64 v53, 0, -1, s[28:29]
	v_cndmask_b32_e64 v55, 0, -1, s[20:21]
	v_bfe_i32 v9, v9, 0, 1
	v_lshlrev_b16_e32 v53, 8, v53
	v_bfe_i32 v52, v52, 0, 1
	v_lshlrev_b16_e32 v55, 8, v55
	v_or_b32_sdwa v54, v9, v53 dst_sel:DWORD dst_unused:UNUSED_PAD src0_sel:BYTE_0 src1_sel:DWORD
	v_or_b32_sdwa v56, v52, v55 dst_sel:WORD_1 dst_unused:UNUSED_PAD src0_sel:BYTE_0 src1_sel:DWORD
	v_or_b32_sdwa v54, v54, v56 dst_sel:DWORD dst_unused:UNUSED_PAD src0_sel:WORD_0 src1_sel:DWORD
	v_xor_b32_e32 v51, v51, v54
	v_and_b32_e32 v54, 0xffffff00, v51
	v_sub_i16 v53, v54, v53 clamp
	v_lshlrev_b16_e32 v54, 8, v51
	v_lshlrev_b16_e32 v9, 8, v9
	v_sub_i16 v9, v54, v9 clamp
	v_perm_b32 v9, v9, v53, s27
	v_and_b32_sdwa v53, v51, s26 dst_sel:DWORD dst_unused:UNUSED_PAD src0_sel:WORD_1 src1_sel:DWORD
	v_lshlrev_b16_sdwa v51, v35, v51 dst_sel:DWORD dst_unused:UNUSED_PAD src0_sel:DWORD src1_sel:WORD_1
	v_lshlrev_b16_e32 v52, 8, v52
	v_sub_i16 v53, v53, v55 clamp
	v_sub_i16 v51, v51, v52 clamp
	v_perm_b32 v51, v51, v53, s27
	v_lshl_or_b32 v9, v51, 16, v9
	v_dot4_i32_i8 v52, v9, v2, v50
	v_lshlrev_b32_sdwa v2, v34, v48 dst_sel:DWORD dst_unused:UNUSED_PAD src0_sel:DWORD src1_sel:BYTE_2
	global_load_dwordx2 v[50:51], v2, s[16:17]
	v_bfe_u32 v2, v49, 14, 8
	v_bcnt_u32_b32 v53, v2, 0
	v_and_b32_e32 v53, 1, v53
	v_lshlrev_b32_e32 v53, 7, v53
	v_xor_b32_e32 v2, v53, v2
	v_mul_lo_u32 v53, v2, s23
	v_and_b32_e32 v2, 0x8040201, v53
	v_cmp_ne_u16_sdwa s[20:21], v2, v31 src0_sel:BYTE_3 src1_sel:DWORD
	v_cmp_ne_u16_sdwa s[28:29], v2, v31 src0_sel:BYTE_1 src1_sel:DWORD
	v_lshrrev_b32_e32 v54, 18, v53
	v_cndmask_b32_e64 v55, 0, -1, s[28:29]
	v_cndmask_b32_e64 v57, 0, -1, s[20:21]
	v_bfe_i32 v2, v53, 0, 1
	v_lshlrev_b16_e32 v55, 8, v55
	v_bfe_i32 v54, v54, 0, 1
	v_lshlrev_b16_e32 v57, 8, v57
	v_or_b32_sdwa v56, v2, v55 dst_sel:DWORD dst_unused:UNUSED_PAD src0_sel:BYTE_0 src1_sel:DWORD
	v_or_b32_sdwa v58, v54, v57 dst_sel:WORD_1 dst_unused:UNUSED_PAD src0_sel:BYTE_0 src1_sel:DWORD
	v_or_b32_sdwa v56, v56, v58 dst_sel:DWORD dst_unused:UNUSED_PAD src0_sel:WORD_0 src1_sel:DWORD
	v_lshlrev_b16_e32 v2, 8, v2
	v_lshlrev_b16_e32 v54, 8, v54
	s_waitcnt vmcnt(0)
	v_xor_b32_e32 v50, v50, v56
	v_and_b32_e32 v56, 0xffffff00, v50
	v_sub_i16 v55, v56, v55 clamp
	v_lshlrev_b16_e32 v56, 8, v50
	v_sub_i16 v2, v56, v2 clamp
	v_perm_b32 v2, v2, v55, s27
	v_and_b32_sdwa v55, v50, s26 dst_sel:DWORD dst_unused:UNUSED_PAD src0_sel:WORD_1 src1_sel:DWORD
	v_lshlrev_b16_sdwa v50, v35, v50 dst_sel:DWORD dst_unused:UNUSED_PAD src0_sel:DWORD src1_sel:WORD_1
	v_sub_i16 v55, v55, v57 clamp
	v_sub_i16 v50, v50, v54 clamp
	v_perm_b32 v50, v50, v55, s27
	v_lshl_or_b32 v2, v50, 16, v2
	v_dot4_i32_i8 v50, v2, v3, v52
	v_and_b32_e32 v3, 0x80402010, v53
	v_cmp_ne_u16_sdwa s[20:21], v3, v31 src0_sel:BYTE_3 src1_sel:DWORD
	v_cmp_ne_u16_sdwa s[28:29], v3, v31 src0_sel:BYTE_1 src1_sel:DWORD
	v_lshrrev_b32_e32 v52, 22, v53
	v_lshrrev_b16_e32 v3, 4, v3
	v_cndmask_b32_e64 v53, 0, -1, s[28:29]
	v_cndmask_b32_e64 v55, 0, -1, s[20:21]
	v_bfe_i32 v3, v3, 0, 1
	v_lshlrev_b16_e32 v53, 8, v53
	v_bfe_i32 v52, v52, 0, 1
	v_lshlrev_b16_e32 v55, 8, v55
	v_or_b32_sdwa v54, v3, v53 dst_sel:DWORD dst_unused:UNUSED_PAD src0_sel:BYTE_0 src1_sel:DWORD
	v_or_b32_sdwa v56, v52, v55 dst_sel:WORD_1 dst_unused:UNUSED_PAD src0_sel:BYTE_0 src1_sel:DWORD
	v_or_b32_sdwa v54, v54, v56 dst_sel:DWORD dst_unused:UNUSED_PAD src0_sel:WORD_0 src1_sel:DWORD
	v_xor_b32_e32 v51, v51, v54
	v_and_b32_e32 v54, 0xffffff00, v51
	v_sub_i16 v53, v54, v53 clamp
	v_lshlrev_b16_e32 v54, 8, v51
	v_lshlrev_b16_e32 v3, 8, v3
	v_sub_i16 v3, v54, v3 clamp
	v_perm_b32 v3, v3, v53, s27
	v_and_b32_sdwa v53, v51, s26 dst_sel:DWORD dst_unused:UNUSED_PAD src0_sel:WORD_1 src1_sel:DWORD
	v_lshlrev_b16_sdwa v51, v35, v51 dst_sel:DWORD dst_unused:UNUSED_PAD src0_sel:DWORD src1_sel:WORD_1
	v_lshlrev_b16_e32 v52, 8, v52
	v_sub_i16 v53, v53, v55 clamp
	v_sub_i16 v51, v51, v52 clamp
	v_perm_b32 v51, v51, v53, s27
	v_lshl_or_b32 v3, v51, 16, v3
	v_dot4_i32_i8 v52, v3, v4, v50
	v_lshlrev_b32_sdwa v4, v34, v48 dst_sel:DWORD dst_unused:UNUSED_PAD src0_sel:DWORD src1_sel:BYTE_3
	global_load_dwordx2 v[50:51], v4, s[16:17]
	v_bfe_u32 v4, v49, 21, 8
	v_bcnt_u32_b32 v48, v4, 0
	v_and_b32_e32 v48, 1, v48
	v_lshlrev_b32_e32 v48, 7, v48
	v_xor_b32_e32 v4, v48, v4
	v_mul_lo_u32 v48, v4, s23
	v_and_b32_e32 v4, 0x8040201, v48
	v_cmp_ne_u16_sdwa s[16:17], v4, v31 src0_sel:BYTE_3 src1_sel:DWORD
	v_cmp_ne_u16_sdwa s[20:21], v4, v31 src0_sel:BYTE_1 src1_sel:DWORD
	v_lshrrev_b32_e32 v53, 18, v48
	v_cndmask_b32_e64 v54, 0, -1, s[20:21]
	v_cndmask_b32_e64 v56, 0, -1, s[16:17]
	v_bfe_i32 v4, v48, 0, 1
	v_lshlrev_b16_e32 v54, 8, v54
	v_bfe_i32 v53, v53, 0, 1
	v_lshlrev_b16_e32 v56, 8, v56
	v_or_b32_sdwa v55, v4, v54 dst_sel:DWORD dst_unused:UNUSED_PAD src0_sel:BYTE_0 src1_sel:DWORD
	v_or_b32_sdwa v57, v53, v56 dst_sel:WORD_1 dst_unused:UNUSED_PAD src0_sel:BYTE_0 src1_sel:DWORD
	v_or_b32_sdwa v55, v55, v57 dst_sel:DWORD dst_unused:UNUSED_PAD src0_sel:WORD_0 src1_sel:DWORD
	v_lshlrev_b16_e32 v4, 8, v4
	v_lshlrev_b16_e32 v53, 8, v53
	s_waitcnt vmcnt(0)
	v_xor_b32_e32 v50, v50, v55
	v_and_b32_e32 v55, 0xffffff00, v50
	v_sub_i16 v54, v55, v54 clamp
	v_lshlrev_b16_e32 v55, 8, v50
	v_sub_i16 v4, v55, v4 clamp
	v_perm_b32 v4, v4, v54, s27
	v_and_b32_sdwa v54, v50, s26 dst_sel:DWORD dst_unused:UNUSED_PAD src0_sel:WORD_1 src1_sel:DWORD
	v_lshlrev_b16_sdwa v50, v35, v50 dst_sel:DWORD dst_unused:UNUSED_PAD src0_sel:DWORD src1_sel:WORD_1
	v_sub_i16 v54, v54, v56 clamp
	v_sub_i16 v50, v50, v53 clamp
	v_perm_b32 v50, v50, v54, s27
	v_lshl_or_b32 v4, v50, 16, v4
	v_dot4_i32_i8 v50, v4, v5, v52
	v_and_b32_e32 v5, 0x80402010, v48
	v_cmp_ne_u16_sdwa s[16:17], v5, v31 src0_sel:BYTE_3 src1_sel:DWORD
	v_cmp_ne_u16_sdwa s[20:21], v5, v31 src0_sel:BYTE_1 src1_sel:DWORD
	v_lshrrev_b32_e32 v48, 22, v48
	v_lshrrev_b16_e32 v5, 4, v5
	v_cndmask_b32_e64 v52, 0, -1, s[20:21]
	v_cndmask_b32_e64 v54, 0, -1, s[16:17]
	v_bfe_i32 v5, v5, 0, 1
	v_lshlrev_b16_e32 v52, 8, v52
	v_bfe_i32 v48, v48, 0, 1
	v_lshlrev_b16_e32 v54, 8, v54
	v_or_b32_sdwa v53, v5, v52 dst_sel:DWORD dst_unused:UNUSED_PAD src0_sel:BYTE_0 src1_sel:DWORD
	v_or_b32_sdwa v55, v48, v54 dst_sel:WORD_1 dst_unused:UNUSED_PAD src0_sel:BYTE_0 src1_sel:DWORD
	v_or_b32_sdwa v53, v53, v55 dst_sel:DWORD dst_unused:UNUSED_PAD src0_sel:WORD_0 src1_sel:DWORD
	v_xor_b32_e32 v51, v51, v53
	v_and_b32_e32 v53, 0xffffff00, v51
	v_sub_i16 v52, v53, v52 clamp
	v_lshlrev_b16_e32 v53, 8, v51
	v_lshlrev_b16_e32 v5, 8, v5
	v_sub_i16 v5, v53, v5 clamp
	v_perm_b32 v5, v5, v52, s27
	v_and_b32_sdwa v52, v51, s26 dst_sel:DWORD dst_unused:UNUSED_PAD src0_sel:WORD_1 src1_sel:DWORD
	v_lshlrev_b16_sdwa v51, v35, v51 dst_sel:DWORD dst_unused:UNUSED_PAD src0_sel:DWORD src1_sel:WORD_1
	v_lshlrev_b16_e32 v48, 8, v48
	v_sub_i16 v52, v52, v54 clamp
	v_sub_i16 v48, v51, v48 clamp
	v_perm_b32 v48, v48, v52, s27
	v_lshl_or_b32 v5, v48, 16, v5
	v_dot4_i32_i8 v48, v5, v46, v50
	v_lshrrev_b32_e32 v46, 27, v49
	v_or_b32_e32 v46, 1, v46
	v_mul_lo_u32 v48, v48, v46
	v_ashrrev_i32_e32 v49, 31, v48
	v_lshrrev_b32_e32 v49, 29, v49
	v_add_u32_e32 v48, v48, v49
	v_ashrrev_i32_e32 v48, 3, v48
	v_cvt_f32_i32_e32 v47, v48
	v_fmac_f32_e32 v28, v17, v47
	v_add_u32_e32 v17, s1, v32
	v_mad_u64_u32 v[55:56], s[16:17], v17, 36, v[10:11]
	global_load_dword v17, v[55:56], off offset:32
	global_load_dwordx4 v[47:50], v[55:56], off offset:16
	global_load_dwordx4 v[51:54], v[55:56], off
	s_waitcnt vmcnt(0)
	v_dot4_i32_i8 v55, v6, v52, 0
	v_dot4_i32_i8 v52, v45, v52, 0
	v_dot4_i32_i8 v55, v36, v53, v55
	v_dot4_i32_i8 v52, v7, v53, v52
	v_dot4_i32_i8 v55, v37, v54, v55
	v_dot4_i32_i8 v52, v8, v54, v52
	v_dot4_i32_i8 v55, v38, v47, v55
	v_dot4_i32_i8 v47, v9, v47, v52
	v_dot4_i32_i8 v55, v39, v48, v55
	v_dot4_i32_i8 v47, v2, v48, v47
	v_dot4_i32_i8 v55, v40, v49, v55
	v_dot4_i32_i8 v47, v3, v49, v47
	v_dot4_i32_i8 v55, v41, v50, v55
	v_dot4_i32_i8 v47, v4, v50, v47
	v_dot4_i32_i8 v55, v42, v17, v55
	v_dot4_i32_i8 v17, v5, v17, v47
	v_mul_lo_u32 v17, v17, v46
	v_mul_lo_u32 v55, v55, v43
	v_cvt_f32_f16_e32 v51, v51
	v_ashrrev_i32_e32 v47, 31, v17
	v_ashrrev_i32_e32 v56, 31, v55
	v_lshrrev_b32_e32 v47, 29, v47
	v_lshrrev_b32_e32 v56, 29, v56
	v_add_u32_e32 v17, v17, v47
	v_add_u32_e32 v55, v55, v56
	v_ashrrev_i32_e32 v17, 3, v17
	v_ashrrev_i32_e32 v55, 3, v55
	v_cvt_f32_i32_e32 v17, v17
	v_cvt_f32_i32_e32 v55, v55
	v_mul_f32_e32 v47, v16, v51
	v_mul_f32_e32 v56, v44, v51
	v_fmac_f32_e32 v26, v47, v17
	v_add_u32_e32 v17, s25, v32
	v_fmac_f32_e32 v27, v56, v55
	v_mad_u64_u32 v[55:56], s[16:17], v17, 36, v[10:11]
	global_load_dword v17, v[55:56], off offset:32
	global_load_dwordx4 v[47:50], v[55:56], off offset:16
	global_load_dwordx4 v[51:54], v[55:56], off
	s_waitcnt vmcnt(0)
	v_dot4_i32_i8 v55, v6, v52, 0
	v_dot4_i32_i8 v52, v45, v52, 0
	v_dot4_i32_i8 v55, v36, v53, v55
	v_dot4_i32_i8 v52, v7, v53, v52
	v_dot4_i32_i8 v55, v37, v54, v55
	v_dot4_i32_i8 v52, v8, v54, v52
	v_dot4_i32_i8 v55, v38, v47, v55
	v_dot4_i32_i8 v47, v9, v47, v52
	v_dot4_i32_i8 v55, v39, v48, v55
	v_dot4_i32_i8 v47, v2, v48, v47
	v_dot4_i32_i8 v55, v40, v49, v55
	v_dot4_i32_i8 v47, v3, v49, v47
	v_dot4_i32_i8 v55, v41, v50, v55
	v_dot4_i32_i8 v47, v4, v50, v47
	v_dot4_i32_i8 v55, v42, v17, v55
	v_dot4_i32_i8 v17, v5, v17, v47
	v_mul_lo_u32 v17, v17, v46
	v_mul_lo_u32 v55, v55, v43
	v_cvt_f32_f16_e32 v51, v51
	v_ashrrev_i32_e32 v47, 31, v17
	v_ashrrev_i32_e32 v56, 31, v55
	v_lshrrev_b32_e32 v47, 29, v47
	v_lshrrev_b32_e32 v56, 29, v56
	v_add_u32_e32 v17, v17, v47
	v_add_u32_e32 v55, v55, v56
	v_ashrrev_i32_e32 v17, 3, v17
	v_ashrrev_i32_e32 v55, 3, v55
	v_cvt_f32_i32_e32 v17, v17
	v_cvt_f32_i32_e32 v55, v55
	v_mul_f32_e32 v47, v16, v51
	v_mul_f32_e32 v56, v44, v51
	v_fmac_f32_e32 v24, v47, v17
	v_add_u32_e32 v17, s24, v32
	v_fmac_f32_e32 v25, v56, v55
	;; [unrolled: 39-line block ×4, first 2 shown]
	v_mad_u64_u32 v[55:56], s[16:17], v17, 36, v[10:11]
	global_load_dword v17, v[55:56], off offset:32
	global_load_dwordx4 v[47:50], v[55:56], off offset:16
	global_load_dwordx4 v[51:54], v[55:56], off
	v_add_u32_e32 v32, 64, v32
	s_waitcnt vmcnt(0)
	v_dot4_i32_i8 v6, v6, v52, 0
	v_dot4_i32_i8 v6, v36, v53, v6
	v_dot4_i32_i8 v6, v37, v54, v6
	v_dot4_i32_i8 v6, v38, v47, v6
	v_dot4_i32_i8 v6, v39, v48, v6
	v_dot4_i32_i8 v6, v40, v49, v6
	v_dot4_i32_i8 v6, v41, v50, v6
	v_dot4_i32_i8 v6, v42, v17, v6
	v_mul_lo_u32 v6, v6, v43
	v_cvt_f32_f16_e32 v51, v51
	v_ashrrev_i32_e32 v36, 31, v6
	v_lshrrev_b32_e32 v36, 29, v36
	v_add_u32_e32 v6, v6, v36
	v_ashrrev_i32_e32 v6, 3, v6
	v_cvt_f32_i32_e32 v6, v6
	v_mul_f32_e32 v36, v44, v51
	v_fmac_f32_e32 v19, v36, v6
	v_dot4_i32_i8 v6, v45, v52, 0
	v_dot4_i32_i8 v6, v7, v53, v6
	;; [unrolled: 1-line block ×8, first 2 shown]
	v_mul_lo_u32 v2, v2, v46
	v_ashrrev_i32_e32 v3, 31, v2
	v_lshrrev_b32_e32 v3, 29, v3
	v_add_u32_e32 v2, v2, v3
	v_ashrrev_i32_e32 v2, 3, v2
	v_cvt_f32_i32_e32 v2, v2
	v_mul_f32_e32 v3, v16, v51
	v_fmac_f32_e32 v18, v3, v2
	s_andn2_b64 exec, exec, s[12:13]
	s_cbranch_execnz .LBB165_2
; %bb.3:
	s_or_b64 exec, exec, s[12:13]
.LBB165_4:
	s_or_b64 exec, exec, s[10:11]
	s_mov_b32 s1, 0
	v_cmp_eq_u32_e32 vcc, 0, v1
	; wave barrier
	s_and_saveexec_b64 s[10:11], vcc
	s_cbranch_execz .LBB165_17
; %bb.5:
	v_mbcnt_lo_u32_b32 v1, -1, 0
	v_mbcnt_hi_u32_b32 v6, -1, v1
	v_and_b32_e32 v1, 64, v6
	v_add_u32_e32 v7, 64, v1
	v_xor_b32_e32 v1, 32, v6
	v_cmp_lt_i32_e32 vcc, v1, v7
	v_cndmask_b32_e32 v1, v6, v1, vcc
	v_lshlrev_b32_e32 v1, 2, v1
	ds_bpermute_b32 v5, v1, v29
	ds_bpermute_b32 v8, v1, v28
	v_xor_b32_e32 v2, 16, v6
	v_cmp_lt_i32_e32 vcc, v2, v7
	v_cndmask_b32_e32 v2, v6, v2, vcc
	v_lshlrev_b32_e32 v2, 2, v2
	s_waitcnt lgkmcnt(1)
	v_add_f32_e32 v5, v29, v5
	s_waitcnt lgkmcnt(0)
	v_add_f32_e32 v8, v28, v8
	ds_bpermute_b32 v10, v2, v5
	ds_bpermute_b32 v11, v2, v8
	v_xor_b32_e32 v3, 8, v6
	v_cmp_lt_i32_e32 vcc, v3, v7
	v_cndmask_b32_e32 v3, v6, v3, vcc
	v_lshlrev_b32_e32 v3, 2, v3
	s_waitcnt lgkmcnt(1)
	v_add_f32_e32 v10, v5, v10
	s_waitcnt lgkmcnt(0)
	v_add_f32_e32 v8, v8, v11
	;; [unrolled: 10-line block ×3, first 2 shown]
	ds_bpermute_b32 v12, v4, v10
	ds_bpermute_b32 v11, v4, v8
	v_xor_b32_e32 v9, 2, v6
	v_cmp_lt_i32_e32 vcc, v9, v7
	v_cndmask_b32_e32 v9, v6, v9, vcc
	v_lshlrev_b32_e32 v5, 2, v9
	v_xor_b32_e32 v9, 1, v6
	v_cmp_lt_i32_e32 vcc, v9, v7
	s_waitcnt lgkmcnt(1)
	v_add_f32_e32 v7, v10, v12
	s_waitcnt lgkmcnt(0)
	v_add_f32_e32 v10, v8, v11
	v_cndmask_b32_e32 v6, v6, v9, vcc
	ds_bpermute_b32 v9, v5, v7
	ds_bpermute_b32 v11, v5, v10
	s_load_dwordx2 s[4:5], s[4:5], 0x38
	s_mul_i32 s3, s14, s7
	v_lshlrev_b32_e32 v8, 2, v6
	s_waitcnt lgkmcnt(0)
	v_add_f32_e32 v6, v7, v9
	v_add_f32_e32 v9, v10, v11
	s_mul_i32 s0, s18, s8
	s_add_i32 s3, s3, s6
	ds_bpermute_b32 v7, v8, v6
	ds_bpermute_b32 v10, v8, v9
	s_add_i32 s0, s3, s0
	s_lshl_b64 s[0:1], s[0:1], 2
	s_add_u32 s4, s4, s0
	v_add_u32_e32 v11, s6, v0
	s_addc_u32 s5, s5, s1
	v_cmp_gt_u32_e32 vcc, 2, v0
	v_cmp_gt_u32_e64 s[0:1], s2, v11
	s_and_b64 s[0:1], vcc, s[0:1]
	s_waitcnt lgkmcnt(1)
	v_add_f32_e32 v6, v6, v7
	s_waitcnt lgkmcnt(0)
	v_add_f32_e32 v7, v9, v10
	s_and_saveexec_b64 s[6:7], s[0:1]
	s_cbranch_execz .LBB165_7
; %bb.6:
	v_cmp_eq_u32_e32 vcc, 1, v0
	v_cndmask_b32_e32 v9, v6, v7, vcc
	v_cmp_eq_u32_e32 vcc, 2, v0
	v_cndmask_b32_e32 v9, v9, v27, vcc
	;; [unrolled: 2-line block ×11, first 2 shown]
	v_lshlrev_b32_e32 v10, 2, v0
	global_store_dword v10, v9, s[4:5]
.LBB165_7:
	s_or_b64 exec, exec, s[6:7]
	ds_bpermute_b32 v9, v1, v27
	ds_bpermute_b32 v10, v1, v26
	s_waitcnt lgkmcnt(1)
	v_add_f32_e32 v9, v27, v9
	s_waitcnt lgkmcnt(0)
	v_add_f32_e32 v10, v26, v10
	ds_bpermute_b32 v11, v2, v9
	ds_bpermute_b32 v12, v2, v10
	s_waitcnt lgkmcnt(1)
	v_add_f32_e32 v9, v9, v11
	s_waitcnt lgkmcnt(0)
	v_add_f32_e32 v10, v10, v12
	;; [unrolled: 6-line block ×6, first 2 shown]
	s_and_saveexec_b64 s[6:7], s[0:1]
	s_cbranch_execz .LBB165_9
; %bb.8:
	v_add_u32_e32 v11, 2, v0
	v_cmp_eq_u32_e32 vcc, 1, v11
	v_cndmask_b32_e32 v12, v6, v7, vcc
	v_cmp_eq_u32_e32 vcc, 2, v11
	v_cndmask_b32_e32 v12, v12, v10, vcc
	;; [unrolled: 2-line block ×11, first 2 shown]
	v_add_u32_e32 v11, s2, v0
	v_mov_b32_e32 v12, 0
	v_lshlrev_b64 v[11:12], 2, v[11:12]
	v_mov_b32_e32 v14, s5
	v_add_co_u32_e32 v11, vcc, s4, v11
	v_addc_co_u32_e32 v12, vcc, v14, v12, vcc
	global_store_dword v[11:12], v13, off
.LBB165_9:
	s_or_b64 exec, exec, s[6:7]
	ds_bpermute_b32 v11, v1, v25
	ds_bpermute_b32 v12, v1, v24
	s_waitcnt lgkmcnt(1)
	v_add_f32_e32 v11, v25, v11
	s_waitcnt lgkmcnt(0)
	v_add_f32_e32 v12, v24, v12
	ds_bpermute_b32 v13, v2, v11
	ds_bpermute_b32 v14, v2, v12
	s_waitcnt lgkmcnt(1)
	v_add_f32_e32 v11, v11, v13
	s_waitcnt lgkmcnt(0)
	v_add_f32_e32 v12, v12, v14
	ds_bpermute_b32 v13, v3, v11
	ds_bpermute_b32 v14, v3, v12
	s_waitcnt lgkmcnt(1)
	v_add_f32_e32 v11, v11, v13
	s_waitcnt lgkmcnt(0)
	v_add_f32_e32 v12, v12, v14
	ds_bpermute_b32 v13, v4, v11
	ds_bpermute_b32 v14, v4, v12
	s_waitcnt lgkmcnt(1)
	v_add_f32_e32 v11, v11, v13
	s_waitcnt lgkmcnt(0)
	v_add_f32_e32 v12, v12, v14
	ds_bpermute_b32 v13, v5, v11
	ds_bpermute_b32 v14, v5, v12
	s_waitcnt lgkmcnt(1)
	v_add_f32_e32 v11, v11, v13
	s_waitcnt lgkmcnt(0)
	v_add_f32_e32 v13, v12, v14
	ds_bpermute_b32 v12, v8, v11
	ds_bpermute_b32 v14, v8, v13
	s_waitcnt lgkmcnt(1)
	v_add_f32_e32 v12, v11, v12
	s_waitcnt lgkmcnt(0)
	v_add_f32_e32 v11, v13, v14
	s_and_saveexec_b64 s[6:7], s[0:1]
	s_cbranch_execz .LBB165_11
; %bb.10:
	v_add_u32_e32 v13, 4, v0
	v_cmp_eq_u32_e32 vcc, 1, v13
	v_cndmask_b32_e32 v14, v6, v7, vcc
	v_cmp_eq_u32_e32 vcc, 2, v13
	v_cndmask_b32_e32 v14, v14, v10, vcc
	;; [unrolled: 2-line block ×11, first 2 shown]
	v_lshl_or_b32 v13, s2, 1, v0
	v_mov_b32_e32 v14, 0
	v_lshlrev_b64 v[13:14], 2, v[13:14]
	v_mov_b32_e32 v16, s5
	v_add_co_u32_e32 v13, vcc, s4, v13
	v_addc_co_u32_e32 v14, vcc, v16, v14, vcc
	global_store_dword v[13:14], v15, off
.LBB165_11:
	s_or_b64 exec, exec, s[6:7]
	ds_bpermute_b32 v13, v1, v23
	ds_bpermute_b32 v14, v1, v22
	s_waitcnt lgkmcnt(1)
	v_add_f32_e32 v13, v23, v13
	s_waitcnt lgkmcnt(0)
	v_add_f32_e32 v14, v22, v14
	ds_bpermute_b32 v15, v2, v13
	ds_bpermute_b32 v16, v2, v14
	s_waitcnt lgkmcnt(1)
	v_add_f32_e32 v13, v13, v15
	s_waitcnt lgkmcnt(0)
	v_add_f32_e32 v14, v14, v16
	;; [unrolled: 6-line block ×6, first 2 shown]
	s_and_saveexec_b64 s[6:7], s[0:1]
	s_cbranch_execz .LBB165_13
; %bb.12:
	v_add_u32_e32 v17, 6, v0
	v_cmp_eq_u32_e32 vcc, 1, v17
	v_cndmask_b32_e32 v15, v6, v7, vcc
	v_cmp_eq_u32_e32 vcc, 2, v17
	v_cndmask_b32_e32 v15, v15, v10, vcc
	;; [unrolled: 2-line block ×10, first 2 shown]
	v_mad_u64_u32 v[15:16], s[8:9], s2, 3, v[0:1]
	v_mov_b32_e32 v16, 0
	v_cmp_eq_u32_e32 vcc, 11, v17
	v_lshlrev_b64 v[15:16], 2, v[15:16]
	v_cndmask_b32_e32 v17, v22, v18, vcc
	v_mov_b32_e32 v22, s5
	v_add_co_u32_e32 v15, vcc, s4, v15
	v_addc_co_u32_e32 v16, vcc, v22, v16, vcc
	global_store_dword v[15:16], v17, off
.LBB165_13:
	s_or_b64 exec, exec, s[6:7]
	ds_bpermute_b32 v15, v1, v21
	ds_bpermute_b32 v16, v1, v20
	s_waitcnt lgkmcnt(1)
	v_add_f32_e32 v15, v21, v15
	s_waitcnt lgkmcnt(0)
	v_add_f32_e32 v16, v20, v16
	ds_bpermute_b32 v17, v2, v15
	ds_bpermute_b32 v20, v2, v16
	s_waitcnt lgkmcnt(1)
	v_add_f32_e32 v15, v15, v17
	s_waitcnt lgkmcnt(0)
	v_add_f32_e32 v16, v16, v20
	;; [unrolled: 6-line block ×6, first 2 shown]
	s_and_saveexec_b64 s[6:7], s[0:1]
	s_cbranch_execz .LBB165_15
; %bb.14:
	v_add_u32_e32 v17, 8, v0
	v_cmp_eq_u32_e32 vcc, 1, v17
	v_cndmask_b32_e32 v20, v6, v7, vcc
	v_cmp_eq_u32_e32 vcc, 2, v17
	v_cndmask_b32_e32 v20, v20, v10, vcc
	;; [unrolled: 2-line block ×11, first 2 shown]
	v_lshl_or_b32 v20, s2, 2, v0
	v_mov_b32_e32 v21, 0
	v_lshlrev_b64 v[20:21], 2, v[20:21]
	v_mov_b32_e32 v22, s5
	v_add_co_u32_e32 v20, vcc, s4, v20
	v_addc_co_u32_e32 v21, vcc, v22, v21, vcc
	global_store_dword v[20:21], v17, off
.LBB165_15:
	s_or_b64 exec, exec, s[6:7]
	ds_bpermute_b32 v17, v1, v19
	ds_bpermute_b32 v1, v1, v18
	s_waitcnt lgkmcnt(1)
	v_add_f32_e32 v17, v19, v17
	s_waitcnt lgkmcnt(0)
	v_add_f32_e32 v1, v18, v1
	ds_bpermute_b32 v18, v2, v17
	ds_bpermute_b32 v2, v2, v1
	s_waitcnt lgkmcnt(1)
	v_add_f32_e32 v17, v17, v18
	s_waitcnt lgkmcnt(0)
	v_add_f32_e32 v1, v1, v2
	ds_bpermute_b32 v2, v3, v17
	ds_bpermute_b32 v3, v3, v1
	s_waitcnt lgkmcnt(1)
	v_add_f32_e32 v2, v17, v2
	s_waitcnt lgkmcnt(0)
	v_add_f32_e32 v1, v1, v3
	ds_bpermute_b32 v3, v4, v2
	ds_bpermute_b32 v4, v4, v1
	s_waitcnt lgkmcnt(1)
	v_add_f32_e32 v2, v2, v3
	s_waitcnt lgkmcnt(0)
	v_add_f32_e32 v3, v1, v4
	ds_bpermute_b32 v1, v5, v2
	ds_bpermute_b32 v4, v5, v3
	s_waitcnt lgkmcnt(1)
	v_add_f32_e32 v1, v2, v1
	s_waitcnt lgkmcnt(0)
	v_add_f32_e32 v2, v3, v4
	ds_bpermute_b32 v3, v8, v1
	ds_bpermute_b32 v4, v8, v2
	s_and_b64 exec, exec, s[0:1]
	s_cbranch_execz .LBB165_17
; %bb.16:
	s_waitcnt lgkmcnt(1)
	v_add_f32_e32 v1, v1, v3
	v_add_u32_e32 v3, 10, v0
	v_cmp_eq_u32_e32 vcc, 1, v3
	s_waitcnt lgkmcnt(0)
	v_add_f32_e32 v2, v2, v4
	v_cndmask_b32_e32 v4, v6, v7, vcc
	v_cmp_eq_u32_e32 vcc, 2, v3
	v_cndmask_b32_e32 v4, v4, v10, vcc
	v_cmp_eq_u32_e32 vcc, 3, v3
	;; [unrolled: 2-line block ×9, first 2 shown]
	v_cndmask_b32_e32 v4, v4, v1, vcc
	v_mad_u64_u32 v[0:1], s[0:1], s2, 5, v[0:1]
	v_mov_b32_e32 v1, 0
	v_cmp_eq_u32_e32 vcc, 11, v3
	v_lshlrev_b64 v[0:1], 2, v[0:1]
	v_cndmask_b32_e32 v2, v4, v2, vcc
	v_mov_b32_e32 v3, s5
	v_add_co_u32_e32 v0, vcc, s4, v0
	v_addc_co_u32_e32 v1, vcc, v3, v1, vcc
	global_store_dword v[0:1], v2, off
.LBB165_17:
	s_endpgm
	.section	.rodata,"a",@progbits
	.p2align	6, 0x0
	.amdhsa_kernel _ZL13mul_mat_vec_qIL9ggml_type16ELi6ELb0ELb0EEvPKvS2_PKi31ggml_cuda_mm_fusion_args_devicePfj15HIP_vector_typeIjLj3EEjjjS8_jjjS8_jjjj
		.amdhsa_group_segment_fixed_size 0
		.amdhsa_private_segment_fixed_size 0
		.amdhsa_kernarg_size 144
		.amdhsa_user_sgpr_count 6
		.amdhsa_user_sgpr_private_segment_buffer 1
		.amdhsa_user_sgpr_dispatch_ptr 0
		.amdhsa_user_sgpr_queue_ptr 0
		.amdhsa_user_sgpr_kernarg_segment_ptr 1
		.amdhsa_user_sgpr_dispatch_id 0
		.amdhsa_user_sgpr_flat_scratch_init 0
		.amdhsa_user_sgpr_private_segment_size 0
		.amdhsa_uses_dynamic_stack 0
		.amdhsa_system_sgpr_private_segment_wavefront_offset 0
		.amdhsa_system_sgpr_workgroup_id_x 1
		.amdhsa_system_sgpr_workgroup_id_y 1
		.amdhsa_system_sgpr_workgroup_id_z 1
		.amdhsa_system_sgpr_workgroup_info 0
		.amdhsa_system_vgpr_workitem_id 1
		.amdhsa_next_free_vgpr 59
		.amdhsa_next_free_sgpr 30
		.amdhsa_reserve_vcc 1
		.amdhsa_reserve_flat_scratch 0
		.amdhsa_float_round_mode_32 0
		.amdhsa_float_round_mode_16_64 0
		.amdhsa_float_denorm_mode_32 3
		.amdhsa_float_denorm_mode_16_64 3
		.amdhsa_dx10_clamp 1
		.amdhsa_ieee_mode 1
		.amdhsa_fp16_overflow 0
		.amdhsa_exception_fp_ieee_invalid_op 0
		.amdhsa_exception_fp_denorm_src 0
		.amdhsa_exception_fp_ieee_div_zero 0
		.amdhsa_exception_fp_ieee_overflow 0
		.amdhsa_exception_fp_ieee_underflow 0
		.amdhsa_exception_fp_ieee_inexact 0
		.amdhsa_exception_int_div_zero 0
	.end_amdhsa_kernel
	.section	.text._ZL13mul_mat_vec_qIL9ggml_type16ELi6ELb0ELb0EEvPKvS2_PKi31ggml_cuda_mm_fusion_args_devicePfj15HIP_vector_typeIjLj3EEjjjS8_jjjS8_jjjj,"axG",@progbits,_ZL13mul_mat_vec_qIL9ggml_type16ELi6ELb0ELb0EEvPKvS2_PKi31ggml_cuda_mm_fusion_args_devicePfj15HIP_vector_typeIjLj3EEjjjS8_jjjS8_jjjj,comdat
.Lfunc_end165:
	.size	_ZL13mul_mat_vec_qIL9ggml_type16ELi6ELb0ELb0EEvPKvS2_PKi31ggml_cuda_mm_fusion_args_devicePfj15HIP_vector_typeIjLj3EEjjjS8_jjjS8_jjjj, .Lfunc_end165-_ZL13mul_mat_vec_qIL9ggml_type16ELi6ELb0ELb0EEvPKvS2_PKi31ggml_cuda_mm_fusion_args_devicePfj15HIP_vector_typeIjLj3EEjjjS8_jjjS8_jjjj
                                        ; -- End function
	.set _ZL13mul_mat_vec_qIL9ggml_type16ELi6ELb0ELb0EEvPKvS2_PKi31ggml_cuda_mm_fusion_args_devicePfj15HIP_vector_typeIjLj3EEjjjS8_jjjS8_jjjj.num_vgpr, 59
	.set _ZL13mul_mat_vec_qIL9ggml_type16ELi6ELb0ELb0EEvPKvS2_PKi31ggml_cuda_mm_fusion_args_devicePfj15HIP_vector_typeIjLj3EEjjjS8_jjjS8_jjjj.num_agpr, 0
	.set _ZL13mul_mat_vec_qIL9ggml_type16ELi6ELb0ELb0EEvPKvS2_PKi31ggml_cuda_mm_fusion_args_devicePfj15HIP_vector_typeIjLj3EEjjjS8_jjjS8_jjjj.numbered_sgpr, 30
	.set _ZL13mul_mat_vec_qIL9ggml_type16ELi6ELb0ELb0EEvPKvS2_PKi31ggml_cuda_mm_fusion_args_devicePfj15HIP_vector_typeIjLj3EEjjjS8_jjjS8_jjjj.num_named_barrier, 0
	.set _ZL13mul_mat_vec_qIL9ggml_type16ELi6ELb0ELb0EEvPKvS2_PKi31ggml_cuda_mm_fusion_args_devicePfj15HIP_vector_typeIjLj3EEjjjS8_jjjS8_jjjj.private_seg_size, 0
	.set _ZL13mul_mat_vec_qIL9ggml_type16ELi6ELb0ELb0EEvPKvS2_PKi31ggml_cuda_mm_fusion_args_devicePfj15HIP_vector_typeIjLj3EEjjjS8_jjjS8_jjjj.uses_vcc, 1
	.set _ZL13mul_mat_vec_qIL9ggml_type16ELi6ELb0ELb0EEvPKvS2_PKi31ggml_cuda_mm_fusion_args_devicePfj15HIP_vector_typeIjLj3EEjjjS8_jjjS8_jjjj.uses_flat_scratch, 0
	.set _ZL13mul_mat_vec_qIL9ggml_type16ELi6ELb0ELb0EEvPKvS2_PKi31ggml_cuda_mm_fusion_args_devicePfj15HIP_vector_typeIjLj3EEjjjS8_jjjS8_jjjj.has_dyn_sized_stack, 0
	.set _ZL13mul_mat_vec_qIL9ggml_type16ELi6ELb0ELb0EEvPKvS2_PKi31ggml_cuda_mm_fusion_args_devicePfj15HIP_vector_typeIjLj3EEjjjS8_jjjS8_jjjj.has_recursion, 0
	.set _ZL13mul_mat_vec_qIL9ggml_type16ELi6ELb0ELb0EEvPKvS2_PKi31ggml_cuda_mm_fusion_args_devicePfj15HIP_vector_typeIjLj3EEjjjS8_jjjS8_jjjj.has_indirect_call, 0
	.section	.AMDGPU.csdata,"",@progbits
; Kernel info:
; codeLenInByte = 7720
; TotalNumSgprs: 34
; NumVgprs: 59
; ScratchSize: 0
; MemoryBound: 0
; FloatMode: 240
; IeeeMode: 1
; LDSByteSize: 0 bytes/workgroup (compile time only)
; SGPRBlocks: 4
; VGPRBlocks: 14
; NumSGPRsForWavesPerEU: 34
; NumVGPRsForWavesPerEU: 59
; Occupancy: 4
; WaveLimiterHint : 0
; COMPUTE_PGM_RSRC2:SCRATCH_EN: 0
; COMPUTE_PGM_RSRC2:USER_SGPR: 6
; COMPUTE_PGM_RSRC2:TRAP_HANDLER: 0
; COMPUTE_PGM_RSRC2:TGID_X_EN: 1
; COMPUTE_PGM_RSRC2:TGID_Y_EN: 1
; COMPUTE_PGM_RSRC2:TGID_Z_EN: 1
; COMPUTE_PGM_RSRC2:TIDIG_COMP_CNT: 1
	.section	.text._ZL13mul_mat_vec_qIL9ggml_type16ELi7ELb0ELb0EEvPKvS2_PKi31ggml_cuda_mm_fusion_args_devicePfj15HIP_vector_typeIjLj3EEjjjS8_jjjS8_jjjj,"axG",@progbits,_ZL13mul_mat_vec_qIL9ggml_type16ELi7ELb0ELb0EEvPKvS2_PKi31ggml_cuda_mm_fusion_args_devicePfj15HIP_vector_typeIjLj3EEjjjS8_jjjS8_jjjj,comdat
	.globl	_ZL13mul_mat_vec_qIL9ggml_type16ELi7ELb0ELb0EEvPKvS2_PKi31ggml_cuda_mm_fusion_args_devicePfj15HIP_vector_typeIjLj3EEjjjS8_jjjS8_jjjj ; -- Begin function _ZL13mul_mat_vec_qIL9ggml_type16ELi7ELb0ELb0EEvPKvS2_PKi31ggml_cuda_mm_fusion_args_devicePfj15HIP_vector_typeIjLj3EEjjjS8_jjjS8_jjjj
	.p2align	8
	.type	_ZL13mul_mat_vec_qIL9ggml_type16ELi7ELb0ELb0EEvPKvS2_PKi31ggml_cuda_mm_fusion_args_devicePfj15HIP_vector_typeIjLj3EEjjjS8_jjjS8_jjjj,@function
_ZL13mul_mat_vec_qIL9ggml_type16ELi7ELb0ELb0EEvPKvS2_PKi31ggml_cuda_mm_fusion_args_devicePfj15HIP_vector_typeIjLj3EEjjjS8_jjjS8_jjjj: ; @_ZL13mul_mat_vec_qIL9ggml_type16ELi7ELb0ELb0EEvPKvS2_PKi31ggml_cuda_mm_fusion_args_devicePfj15HIP_vector_typeIjLj3EEjjjS8_jjjS8_jjjj
; %bb.0:
	s_load_dword s9, s[4:5], 0x40
	s_load_dwordx4 s[0:3], s[4:5], 0x50
	s_load_dword s25, s[4:5], 0x60
	s_load_dwordx4 s[12:15], s[4:5], 0x68
	;; [unrolled: 2-line block ×3, first 2 shown]
	v_lshl_or_b32 v2, v1, 6, v0
	s_waitcnt lgkmcnt(0)
	s_lshr_b32 s9, s9, 8
	v_lshrrev_b32_e32 v32, 3, v2
	s_lshl_b32 s6, s6, 1
	v_cmp_gt_u32_e32 vcc, s9, v32
	v_mov_b32_e32 v18, 0
	v_mov_b32_e32 v19, 0
	;; [unrolled: 1-line block ×14, first 2 shown]
	s_and_saveexec_b64 s[10:11], vcc
	s_cbranch_execz .LBB166_4
; %bb.1:
	s_mul_hi_u32 s3, s3, s7
	s_add_i32 s3, s7, s3
	s_load_dwordx4 s[20:23], s[4:5], 0x0
	s_lshr_b32 s3, s3, s25
	s_mul_i32 s3, s3, s12
	s_mul_hi_u32 s12, s15, s8
	s_add_i32 s12, s8, s12
	s_lshr_b32 s12, s12, s24
	s_mul_i32 s24, s17, s8
	s_mul_i32 s15, s12, s16
	;; [unrolled: 1-line block ×3, first 2 shown]
	s_mul_hi_u32 s12, s24, 36
	s_waitcnt lgkmcnt(0)
	s_add_u32 s16, s22, s16
	s_addc_u32 s17, s23, s12
	s_mul_i32 s12, s13, s7
	s_mul_hi_u32 s13, s12, 36
	s_mul_i32 s12, s12, 36
	s_add_u32 s16, s16, s12
	s_addc_u32 s17, s17, s13
	v_and_b32_e32 v5, 7, v0
	v_lshlrev_b32_e32 v2, 1, v0
	v_mad_u64_u32 v[10:11], s[16:17], v5, 36, s[16:17]
	v_and_b32_e32 v2, 14, v2
	s_add_i32 s16, s6, 1
	s_add_i32 s15, s15, s3
	v_lshlrev_b32_e32 v4, 1, v2
	s_mul_i32 s3, s6, s0
	s_mul_i32 s0, s0, s16
	v_mov_b32_e32 v2, s12
	s_add_i32 s3, s15, s3
	s_add_i32 s0, s15, s0
	s_movk_i32 s15, 0x120
	v_mov_b32_e32 v3, s13
	v_mad_u64_u32 v[2:3], s[12:13], v32, s15, v[2:3]
	v_mov_b32_e32 v14, s20
	v_mov_b32_e32 v33, 0
	v_mad_u64_u32 v[2:3], s[12:13], s24, 36, v[2:3]
	v_lshlrev_b32_e32 v34, 3, v32
	s_mul_i32 s15, s1, 6
	v_mad_u64_u32 v[2:3], s[12:13], v5, 36, v[2:3]
	v_mov_b32_e32 v5, s23
	s_mul_i32 s19, s1, 5
	v_add_co_u32_e32 v2, vcc, s22, v2
	v_addc_co_u32_e32 v3, vcc, v5, v3, vcc
	v_add_co_u32_e32 v12, vcc, 16, v2
	s_lshl_b32 s24, s1, 2
	s_mul_i32 s25, s1, 3
	s_lshl_b32 s26, s1, 1
	v_addc_co_u32_e32 v13, vcc, 0, v3, vcc
	s_mov_b64 s[12:13], 0
	s_movk_i32 s22, 0x42
	v_lshlrev_b32_e32 v35, 1, v4
	s_mov_b32 s23, 0x1010101
	s_movk_i32 s27, 0xff00
	s_mov_b32 s28, 0xc0c0105
	v_mov_b32_e32 v36, 3
	v_mov_b32_e32 v37, 8
	;; [unrolled: 1-line block ×17, first 2 shown]
.LBB166_2:                              ; =>This Inner Loop Header: Depth=1
	v_add_u32_e32 v16, s3, v32
	v_mad_i64_i32 v[16:17], s[16:17], v16, s22, v[14:15]
	global_load_dword v48, v[12:13], off offset:16
	global_load_dwordx4 v[2:5], v[12:13], off
	global_load_dwordx4 v[6:9], v[12:13], off offset:-16
	s_getpc_b64 s[16:17]
	s_add_u32 s16, s16, _ZL11iq2xxs_grid@rel32@lo+4
	s_addc_u32 s17, s17, _ZL11iq2xxs_grid@rel32@hi+12
	v_add_co_u32_e32 v38, vcc, v16, v35
	v_addc_co_u32_e32 v39, vcc, 0, v17, vcc
	global_load_dwordx2 v[44:45], v[38:39], off offset:2
	s_waitcnt vmcnt(1)
	v_cvt_f32_f16_e32 v49, v6
	global_load_ushort v16, v[16:17], off
	s_waitcnt vmcnt(1)
	v_lshlrev_b32_sdwa v6, v36, v44 dst_sel:DWORD dst_unused:UNUSED_PAD src0_sel:DWORD src1_sel:BYTE_0
	global_load_dwordx2 v[38:39], v6, s[16:17]
	v_and_b32_e32 v6, 0xff, v45
	v_bcnt_u32_b32 v40, v6, 0
	v_and_b32_e32 v40, 1, v40
	v_lshlrev_b32_e32 v40, 7, v40
	v_xor_b32_e32 v6, v40, v6
	v_mul_lo_u32 v40, v6, s23
	v_and_b32_e32 v6, 0x8040201, v40
	v_cmp_ne_u16_sdwa s[20:21], v6, v33 src0_sel:BYTE_3 src1_sel:DWORD
	v_cmp_ne_u16_sdwa s[30:31], v6, v33 src0_sel:BYTE_1 src1_sel:DWORD
	v_lshrrev_b32_e32 v41, 18, v40
	v_cndmask_b32_e64 v42, 0, -1, s[30:31]
	v_cndmask_b32_e64 v46, 0, -1, s[20:21]
	v_bfe_i32 v6, v40, 0, 1
	v_lshlrev_b16_e32 v42, 8, v42
	v_bfe_i32 v41, v41, 0, 1
	v_lshlrev_b16_e32 v46, 8, v46
	v_or_b32_sdwa v43, v6, v42 dst_sel:DWORD dst_unused:UNUSED_PAD src0_sel:BYTE_0 src1_sel:DWORD
	v_or_b32_sdwa v47, v41, v46 dst_sel:WORD_1 dst_unused:UNUSED_PAD src0_sel:BYTE_0 src1_sel:DWORD
	v_or_b32_sdwa v43, v43, v47 dst_sel:DWORD dst_unused:UNUSED_PAD src0_sel:WORD_0 src1_sel:DWORD
	v_lshlrev_b16_e32 v6, 8, v6
	v_lshlrev_b16_e32 v41, 8, v41
	s_waitcnt vmcnt(0)
	v_xor_b32_e32 v38, v38, v43
	v_and_b32_e32 v43, 0xffffff00, v38
	v_sub_i16 v42, v43, v42 clamp
	v_lshlrev_b16_e32 v43, 8, v38
	v_sub_i16 v6, v43, v6 clamp
	v_perm_b32 v6, v6, v42, s28
	v_and_b32_sdwa v42, v38, s27 dst_sel:DWORD dst_unused:UNUSED_PAD src0_sel:WORD_1 src1_sel:DWORD
	v_lshlrev_b16_sdwa v38, v37, v38 dst_sel:DWORD dst_unused:UNUSED_PAD src0_sel:DWORD src1_sel:WORD_1
	v_sub_i16 v42, v42, v46 clamp
	v_sub_i16 v38, v38, v41 clamp
	v_perm_b32 v38, v38, v42, s28
	v_lshl_or_b32 v6, v38, 16, v6
	v_and_b32_e32 v38, 0x80402010, v40
	v_cmp_ne_u16_sdwa s[20:21], v38, v33 src0_sel:BYTE_3 src1_sel:DWORD
	v_cmp_ne_u16_sdwa s[30:31], v38, v33 src0_sel:BYTE_1 src1_sel:DWORD
	v_lshrrev_b32_e32 v40, 22, v40
	v_lshrrev_b16_e32 v38, 4, v38
	v_cndmask_b32_e64 v42, 0, -1, s[30:31]
	v_cndmask_b32_e64 v46, 0, -1, s[20:21]
	v_bfe_i32 v38, v38, 0, 1
	v_lshlrev_b16_e32 v42, 8, v42
	v_bfe_i32 v40, v40, 0, 1
	v_lshlrev_b16_e32 v46, 8, v46
	v_or_b32_sdwa v43, v38, v42 dst_sel:DWORD dst_unused:UNUSED_PAD src0_sel:BYTE_0 src1_sel:DWORD
	v_or_b32_sdwa v47, v40, v46 dst_sel:WORD_1 dst_unused:UNUSED_PAD src0_sel:BYTE_0 src1_sel:DWORD
	v_or_b32_sdwa v43, v43, v47 dst_sel:DWORD dst_unused:UNUSED_PAD src0_sel:WORD_0 src1_sel:DWORD
	v_xor_b32_e32 v39, v39, v43
	v_and_b32_e32 v43, 0xffffff00, v39
	v_sub_i16 v42, v43, v42 clamp
	v_lshlrev_b16_e32 v43, 8, v39
	v_lshlrev_b16_e32 v38, 8, v38
	v_sub_i16 v38, v43, v38 clamp
	v_perm_b32 v38, v38, v42, s28
	v_and_b32_sdwa v42, v39, s27 dst_sel:DWORD dst_unused:UNUSED_PAD src0_sel:WORD_1 src1_sel:DWORD
	v_lshlrev_b16_sdwa v39, v37, v39 dst_sel:DWORD dst_unused:UNUSED_PAD src0_sel:DWORD src1_sel:WORD_1
	v_lshlrev_b16_e32 v40, 8, v40
	v_sub_i16 v42, v42, v46 clamp
	v_sub_i16 v39, v39, v40 clamp
	v_perm_b32 v39, v39, v42, s28
	v_lshl_or_b32 v38, v39, 16, v38
	v_lshlrev_b32_sdwa v39, v36, v44 dst_sel:DWORD dst_unused:UNUSED_PAD src0_sel:DWORD src1_sel:BYTE_1
	global_load_dwordx2 v[39:40], v39, s[16:17]
	v_bfe_u32 v42, v45, 7, 8
	v_bcnt_u32_b32 v43, v42, 0
	v_and_b32_e32 v43, 1, v43
	v_lshlrev_b32_e32 v43, 7, v43
	v_xor_b32_e32 v42, v43, v42
	v_mul_lo_u32 v42, v42, s23
	v_dot4_i32_i8 v41, v6, v7, 0
	v_dot4_i32_i8 v41, v38, v8, v41
	v_and_b32_e32 v43, 0x8040201, v42
	v_cmp_ne_u16_sdwa s[20:21], v43, v33 src0_sel:BYTE_3 src1_sel:DWORD
	v_cmp_ne_u16_sdwa s[30:31], v43, v33 src0_sel:BYTE_1 src1_sel:DWORD
	v_lshrrev_b32_e32 v46, 18, v42
	v_cndmask_b32_e64 v47, 0, -1, s[30:31]
	v_cndmask_b32_e64 v51, 0, -1, s[20:21]
	v_bfe_i32 v43, v42, 0, 1
	v_lshlrev_b16_e32 v47, 8, v47
	v_bfe_i32 v46, v46, 0, 1
	v_lshlrev_b16_e32 v51, 8, v51
	v_or_b32_sdwa v50, v43, v47 dst_sel:DWORD dst_unused:UNUSED_PAD src0_sel:BYTE_0 src1_sel:DWORD
	v_or_b32_sdwa v52, v46, v51 dst_sel:WORD_1 dst_unused:UNUSED_PAD src0_sel:BYTE_0 src1_sel:DWORD
	v_or_b32_sdwa v50, v50, v52 dst_sel:DWORD dst_unused:UNUSED_PAD src0_sel:WORD_0 src1_sel:DWORD
	v_lshlrev_b16_e32 v43, 8, v43
	v_lshlrev_b16_e32 v46, 8, v46
	s_waitcnt vmcnt(0)
	v_xor_b32_e32 v39, v39, v50
	v_and_b32_e32 v50, 0xffffff00, v39
	v_sub_i16 v47, v50, v47 clamp
	v_lshlrev_b16_e32 v50, 8, v39
	v_sub_i16 v43, v50, v43 clamp
	v_perm_b32 v43, v43, v47, s28
	v_and_b32_sdwa v47, v39, s27 dst_sel:DWORD dst_unused:UNUSED_PAD src0_sel:WORD_1 src1_sel:DWORD
	v_lshlrev_b16_sdwa v39, v37, v39 dst_sel:DWORD dst_unused:UNUSED_PAD src0_sel:DWORD src1_sel:WORD_1
	v_sub_i16 v47, v47, v51 clamp
	v_sub_i16 v39, v39, v46 clamp
	v_perm_b32 v39, v39, v47, s28
	v_lshl_or_b32 v39, v39, 16, v43
	v_and_b32_e32 v43, 0x80402010, v42
	v_cmp_ne_u16_sdwa s[20:21], v43, v33 src0_sel:BYTE_3 src1_sel:DWORD
	v_cmp_ne_u16_sdwa s[30:31], v43, v33 src0_sel:BYTE_1 src1_sel:DWORD
	v_lshrrev_b32_e32 v42, 22, v42
	v_lshrrev_b16_e32 v43, 4, v43
	v_cndmask_b32_e64 v46, 0, -1, s[30:31]
	v_cndmask_b32_e64 v50, 0, -1, s[20:21]
	v_bfe_i32 v43, v43, 0, 1
	v_lshlrev_b16_e32 v46, 8, v46
	v_bfe_i32 v42, v42, 0, 1
	v_lshlrev_b16_e32 v50, 8, v50
	v_or_b32_sdwa v47, v43, v46 dst_sel:DWORD dst_unused:UNUSED_PAD src0_sel:BYTE_0 src1_sel:DWORD
	v_or_b32_sdwa v51, v42, v50 dst_sel:WORD_1 dst_unused:UNUSED_PAD src0_sel:BYTE_0 src1_sel:DWORD
	v_or_b32_sdwa v47, v47, v51 dst_sel:DWORD dst_unused:UNUSED_PAD src0_sel:WORD_0 src1_sel:DWORD
	v_xor_b32_e32 v40, v40, v47
	v_and_b32_e32 v47, 0xffffff00, v40
	v_sub_i16 v46, v47, v46 clamp
	v_lshlrev_b16_e32 v47, 8, v40
	v_lshlrev_b16_e32 v43, 8, v43
	v_sub_i16 v43, v47, v43 clamp
	v_perm_b32 v43, v43, v46, s28
	v_and_b32_sdwa v46, v40, s27 dst_sel:DWORD dst_unused:UNUSED_PAD src0_sel:WORD_1 src1_sel:DWORD
	v_lshlrev_b16_sdwa v40, v37, v40 dst_sel:DWORD dst_unused:UNUSED_PAD src0_sel:DWORD src1_sel:WORD_1
	v_lshlrev_b16_e32 v42, 8, v42
	v_sub_i16 v46, v46, v50 clamp
	v_sub_i16 v40, v40, v42 clamp
	v_perm_b32 v40, v40, v46, s28
	v_dot4_i32_i8 v41, v39, v9, v41
	v_lshl_or_b32 v40, v40, 16, v43
	v_dot4_i32_i8 v43, v40, v2, v41
	v_lshlrev_b32_sdwa v41, v36, v44 dst_sel:DWORD dst_unused:UNUSED_PAD src0_sel:DWORD src1_sel:BYTE_2
	global_load_dwordx2 v[41:42], v41, s[16:17]
	v_bfe_u32 v46, v45, 14, 8
	v_bcnt_u32_b32 v47, v46, 0
	v_and_b32_e32 v47, 1, v47
	v_lshlrev_b32_e32 v47, 7, v47
	v_xor_b32_e32 v46, v47, v46
	v_mul_lo_u32 v46, v46, s23
	v_and_b32_e32 v47, 0x8040201, v46
	v_cmp_ne_u16_sdwa s[20:21], v47, v33 src0_sel:BYTE_3 src1_sel:DWORD
	v_cmp_ne_u16_sdwa s[30:31], v47, v33 src0_sel:BYTE_1 src1_sel:DWORD
	v_lshrrev_b32_e32 v50, 18, v46
	v_cndmask_b32_e64 v51, 0, -1, s[30:31]
	v_cndmask_b32_e64 v53, 0, -1, s[20:21]
	v_bfe_i32 v47, v46, 0, 1
	v_lshlrev_b16_e32 v51, 8, v51
	v_bfe_i32 v50, v50, 0, 1
	v_lshlrev_b16_e32 v53, 8, v53
	v_or_b32_sdwa v52, v47, v51 dst_sel:DWORD dst_unused:UNUSED_PAD src0_sel:BYTE_0 src1_sel:DWORD
	v_or_b32_sdwa v54, v50, v53 dst_sel:WORD_1 dst_unused:UNUSED_PAD src0_sel:BYTE_0 src1_sel:DWORD
	v_or_b32_sdwa v52, v52, v54 dst_sel:DWORD dst_unused:UNUSED_PAD src0_sel:WORD_0 src1_sel:DWORD
	v_lshlrev_b16_e32 v47, 8, v47
	v_lshlrev_b16_e32 v50, 8, v50
	s_waitcnt vmcnt(0)
	v_xor_b32_e32 v41, v41, v52
	v_and_b32_e32 v52, 0xffffff00, v41
	v_sub_i16 v51, v52, v51 clamp
	v_lshlrev_b16_e32 v52, 8, v41
	v_sub_i16 v47, v52, v47 clamp
	v_perm_b32 v47, v47, v51, s28
	v_and_b32_sdwa v51, v41, s27 dst_sel:DWORD dst_unused:UNUSED_PAD src0_sel:WORD_1 src1_sel:DWORD
	v_lshlrev_b16_sdwa v41, v37, v41 dst_sel:DWORD dst_unused:UNUSED_PAD src0_sel:DWORD src1_sel:WORD_1
	v_sub_i16 v51, v51, v53 clamp
	v_sub_i16 v41, v41, v50 clamp
	v_perm_b32 v41, v41, v51, s28
	v_lshl_or_b32 v41, v41, 16, v47
	v_and_b32_e32 v47, 0x80402010, v46
	v_cmp_ne_u16_sdwa s[20:21], v47, v33 src0_sel:BYTE_3 src1_sel:DWORD
	v_cmp_ne_u16_sdwa s[30:31], v47, v33 src0_sel:BYTE_1 src1_sel:DWORD
	v_lshrrev_b32_e32 v46, 22, v46
	v_lshrrev_b16_e32 v47, 4, v47
	v_cndmask_b32_e64 v50, 0, -1, s[30:31]
	v_cndmask_b32_e64 v52, 0, -1, s[20:21]
	v_bfe_i32 v47, v47, 0, 1
	v_lshlrev_b16_e32 v50, 8, v50
	v_bfe_i32 v46, v46, 0, 1
	v_lshlrev_b16_e32 v52, 8, v52
	v_or_b32_sdwa v51, v47, v50 dst_sel:DWORD dst_unused:UNUSED_PAD src0_sel:BYTE_0 src1_sel:DWORD
	v_or_b32_sdwa v53, v46, v52 dst_sel:WORD_1 dst_unused:UNUSED_PAD src0_sel:BYTE_0 src1_sel:DWORD
	v_or_b32_sdwa v51, v51, v53 dst_sel:DWORD dst_unused:UNUSED_PAD src0_sel:WORD_0 src1_sel:DWORD
	v_xor_b32_e32 v42, v42, v51
	v_and_b32_e32 v51, 0xffffff00, v42
	v_sub_i16 v50, v51, v50 clamp
	v_lshlrev_b16_e32 v51, 8, v42
	v_lshlrev_b16_e32 v47, 8, v47
	v_sub_i16 v47, v51, v47 clamp
	v_perm_b32 v47, v47, v50, s28
	v_and_b32_sdwa v50, v42, s27 dst_sel:DWORD dst_unused:UNUSED_PAD src0_sel:WORD_1 src1_sel:DWORD
	v_lshlrev_b16_sdwa v42, v37, v42 dst_sel:DWORD dst_unused:UNUSED_PAD src0_sel:DWORD src1_sel:WORD_1
	v_lshlrev_b16_e32 v46, 8, v46
	v_sub_i16 v50, v50, v52 clamp
	v_sub_i16 v42, v42, v46 clamp
	v_perm_b32 v42, v42, v50, s28
	v_dot4_i32_i8 v43, v41, v3, v43
	v_lshl_or_b32 v42, v42, 16, v47
	v_dot4_i32_i8 v46, v42, v4, v43
	v_lshlrev_b32_sdwa v43, v36, v44 dst_sel:DWORD dst_unused:UNUSED_PAD src0_sel:DWORD src1_sel:BYTE_3
	global_load_dwordx2 v[43:44], v43, s[16:17]
	v_bfe_u32 v47, v45, 21, 8
	v_bcnt_u32_b32 v50, v47, 0
	v_and_b32_e32 v50, 1, v50
	v_lshlrev_b32_e32 v50, 7, v50
	v_xor_b32_e32 v47, v50, v47
	v_mul_lo_u32 v47, v47, s23
	v_lshrrev_b32_e32 v45, 27, v45
	v_or_b32_e32 v45, 1, v45
	v_and_b32_e32 v50, 0x8040201, v47
	v_cmp_ne_u16_sdwa s[20:21], v50, v33 src0_sel:BYTE_3 src1_sel:DWORD
	v_cmp_ne_u16_sdwa s[30:31], v50, v33 src0_sel:BYTE_1 src1_sel:DWORD
	v_lshrrev_b32_e32 v51, 18, v47
	v_cndmask_b32_e64 v52, 0, -1, s[30:31]
	v_cndmask_b32_e64 v54, 0, -1, s[20:21]
	v_bfe_i32 v50, v47, 0, 1
	v_lshlrev_b16_e32 v52, 8, v52
	v_bfe_i32 v51, v51, 0, 1
	v_lshlrev_b16_e32 v54, 8, v54
	v_or_b32_sdwa v53, v50, v52 dst_sel:DWORD dst_unused:UNUSED_PAD src0_sel:BYTE_0 src1_sel:DWORD
	v_or_b32_sdwa v55, v51, v54 dst_sel:WORD_1 dst_unused:UNUSED_PAD src0_sel:BYTE_0 src1_sel:DWORD
	v_or_b32_sdwa v53, v53, v55 dst_sel:DWORD dst_unused:UNUSED_PAD src0_sel:WORD_0 src1_sel:DWORD
	v_lshlrev_b16_e32 v50, 8, v50
	v_lshlrev_b16_e32 v51, 8, v51
	s_waitcnt vmcnt(0)
	v_xor_b32_e32 v43, v43, v53
	v_and_b32_e32 v53, 0xffffff00, v43
	v_sub_i16 v52, v53, v52 clamp
	v_lshlrev_b16_e32 v53, 8, v43
	v_sub_i16 v50, v53, v50 clamp
	v_perm_b32 v50, v50, v52, s28
	v_and_b32_sdwa v52, v43, s27 dst_sel:DWORD dst_unused:UNUSED_PAD src0_sel:WORD_1 src1_sel:DWORD
	v_lshlrev_b16_sdwa v43, v37, v43 dst_sel:DWORD dst_unused:UNUSED_PAD src0_sel:DWORD src1_sel:WORD_1
	v_sub_i16 v52, v52, v54 clamp
	v_sub_i16 v43, v43, v51 clamp
	v_perm_b32 v43, v43, v52, s28
	v_lshl_or_b32 v43, v43, 16, v50
	v_and_b32_e32 v50, 0x80402010, v47
	v_cmp_ne_u16_sdwa s[20:21], v50, v33 src0_sel:BYTE_3 src1_sel:DWORD
	v_cmp_ne_u16_sdwa s[30:31], v50, v33 src0_sel:BYTE_1 src1_sel:DWORD
	v_lshrrev_b32_e32 v47, 22, v47
	v_lshrrev_b16_e32 v50, 4, v50
	v_cndmask_b32_e64 v51, 0, -1, s[30:31]
	v_cndmask_b32_e64 v53, 0, -1, s[20:21]
	v_bfe_i32 v50, v50, 0, 1
	v_lshlrev_b16_e32 v51, 8, v51
	v_bfe_i32 v47, v47, 0, 1
	v_lshlrev_b16_e32 v53, 8, v53
	v_or_b32_sdwa v52, v50, v51 dst_sel:DWORD dst_unused:UNUSED_PAD src0_sel:BYTE_0 src1_sel:DWORD
	v_or_b32_sdwa v54, v47, v53 dst_sel:WORD_1 dst_unused:UNUSED_PAD src0_sel:BYTE_0 src1_sel:DWORD
	v_or_b32_sdwa v52, v52, v54 dst_sel:DWORD dst_unused:UNUSED_PAD src0_sel:WORD_0 src1_sel:DWORD
	v_xor_b32_e32 v44, v44, v52
	v_and_b32_e32 v52, 0xffffff00, v44
	v_sub_i16 v51, v52, v51 clamp
	v_lshlrev_b16_e32 v52, 8, v44
	v_lshlrev_b16_e32 v50, 8, v50
	v_sub_i16 v50, v52, v50 clamp
	v_perm_b32 v50, v50, v51, s28
	v_and_b32_sdwa v51, v44, s27 dst_sel:DWORD dst_unused:UNUSED_PAD src0_sel:WORD_1 src1_sel:DWORD
	v_lshlrev_b16_sdwa v44, v37, v44 dst_sel:DWORD dst_unused:UNUSED_PAD src0_sel:DWORD src1_sel:WORD_1
	v_lshlrev_b16_e32 v47, 8, v47
	v_sub_i16 v51, v51, v53 clamp
	v_sub_i16 v44, v44, v47 clamp
	v_perm_b32 v44, v44, v51, s28
	v_dot4_i32_i8 v46, v43, v5, v46
	v_lshl_or_b32 v44, v44, 16, v50
	v_dot4_i32_i8 v46, v44, v48, v46
	v_mul_lo_u32 v46, v46, v45
	v_ashrrev_i32_e32 v47, 31, v46
	v_lshrrev_b32_e32 v47, 29, v47
	v_add_u32_e32 v46, v46, v47
	v_ashrrev_i32_e32 v47, 3, v46
	v_cvt_f32_f16_e32 v46, v16
	v_cvt_f32_i32_e32 v17, v47
	v_mul_f32_e32 v16, v46, v49
	v_fmac_f32_e32 v31, v16, v17
	v_add_u32_e32 v16, s0, v32
	v_mad_i64_i32 v[16:17], s[20:21], v16, s22, v[14:15]
	v_add_u32_e32 v32, 8, v32
	v_add_co_u32_e32 v50, vcc, v16, v35
	v_addc_co_u32_e32 v51, vcc, 0, v17, vcc
	global_load_dwordx2 v[50:51], v[50:51], off offset:2
	v_add_co_u32_e32 v12, vcc, 0x900, v12
	global_load_ushort v16, v[16:17], off
	v_addc_co_u32_e32 v13, vcc, 0, v13, vcc
	v_cmp_le_u32_e32 vcc, s9, v32
	s_or_b64 s[12:13], vcc, s[12:13]
	s_waitcnt vmcnt(1)
	v_lshlrev_b32_sdwa v47, v36, v50 dst_sel:DWORD dst_unused:UNUSED_PAD src0_sel:DWORD src1_sel:BYTE_0
	global_load_dwordx2 v[52:53], v47, s[16:17]
	v_and_b32_e32 v47, 0xff, v51
	v_bcnt_u32_b32 v54, v47, 0
	v_and_b32_e32 v54, 1, v54
	v_lshlrev_b32_e32 v54, 7, v54
	v_xor_b32_e32 v47, v54, v47
	v_mul_lo_u32 v54, v47, s23
	s_waitcnt vmcnt(1)
	v_cvt_f32_f16_e32 v16, v16
	v_and_b32_e32 v47, 0x8040201, v54
	v_cmp_ne_u16_sdwa s[20:21], v47, v33 src0_sel:BYTE_3 src1_sel:DWORD
	v_cmp_ne_u16_sdwa s[30:31], v47, v33 src0_sel:BYTE_1 src1_sel:DWORD
	v_lshrrev_b32_e32 v55, 18, v54
	v_cndmask_b32_e64 v56, 0, -1, s[30:31]
	v_cndmask_b32_e64 v58, 0, -1, s[20:21]
	v_bfe_i32 v47, v54, 0, 1
	v_lshlrev_b16_e32 v56, 8, v56
	v_bfe_i32 v55, v55, 0, 1
	v_lshlrev_b16_e32 v58, 8, v58
	v_or_b32_sdwa v57, v47, v56 dst_sel:DWORD dst_unused:UNUSED_PAD src0_sel:BYTE_0 src1_sel:DWORD
	v_or_b32_sdwa v59, v55, v58 dst_sel:WORD_1 dst_unused:UNUSED_PAD src0_sel:BYTE_0 src1_sel:DWORD
	v_or_b32_sdwa v57, v57, v59 dst_sel:DWORD dst_unused:UNUSED_PAD src0_sel:WORD_0 src1_sel:DWORD
	v_lshlrev_b16_e32 v47, 8, v47
	v_lshlrev_b16_e32 v55, 8, v55
	v_mul_f32_e32 v17, v16, v49
	s_waitcnt vmcnt(0)
	v_xor_b32_e32 v52, v52, v57
	v_and_b32_e32 v57, 0xffffff00, v52
	v_sub_i16 v56, v57, v56 clamp
	v_lshlrev_b16_e32 v57, 8, v52
	v_sub_i16 v47, v57, v47 clamp
	v_perm_b32 v47, v47, v56, s28
	v_and_b32_sdwa v56, v52, s27 dst_sel:DWORD dst_unused:UNUSED_PAD src0_sel:WORD_1 src1_sel:DWORD
	v_lshlrev_b16_sdwa v52, v37, v52 dst_sel:DWORD dst_unused:UNUSED_PAD src0_sel:DWORD src1_sel:WORD_1
	v_sub_i16 v56, v56, v58 clamp
	v_sub_i16 v52, v52, v55 clamp
	v_perm_b32 v52, v52, v56, s28
	v_lshl_or_b32 v47, v52, 16, v47
	v_dot4_i32_i8 v52, v47, v7, 0
	v_and_b32_e32 v7, 0x80402010, v54
	v_cmp_ne_u16_sdwa s[20:21], v7, v33 src0_sel:BYTE_3 src1_sel:DWORD
	v_cmp_ne_u16_sdwa s[30:31], v7, v33 src0_sel:BYTE_1 src1_sel:DWORD
	v_lshrrev_b32_e32 v54, 22, v54
	v_lshrrev_b16_e32 v7, 4, v7
	v_cndmask_b32_e64 v55, 0, -1, s[30:31]
	v_cndmask_b32_e64 v57, 0, -1, s[20:21]
	v_bfe_i32 v7, v7, 0, 1
	v_lshlrev_b16_e32 v55, 8, v55
	v_bfe_i32 v54, v54, 0, 1
	v_lshlrev_b16_e32 v57, 8, v57
	v_or_b32_sdwa v56, v7, v55 dst_sel:DWORD dst_unused:UNUSED_PAD src0_sel:BYTE_0 src1_sel:DWORD
	v_or_b32_sdwa v58, v54, v57 dst_sel:WORD_1 dst_unused:UNUSED_PAD src0_sel:BYTE_0 src1_sel:DWORD
	v_or_b32_sdwa v56, v56, v58 dst_sel:DWORD dst_unused:UNUSED_PAD src0_sel:WORD_0 src1_sel:DWORD
	v_xor_b32_e32 v53, v53, v56
	v_and_b32_e32 v56, 0xffffff00, v53
	v_sub_i16 v55, v56, v55 clamp
	v_lshlrev_b16_e32 v56, 8, v53
	v_lshlrev_b16_e32 v7, 8, v7
	v_sub_i16 v7, v56, v7 clamp
	v_perm_b32 v7, v7, v55, s28
	v_and_b32_sdwa v55, v53, s27 dst_sel:DWORD dst_unused:UNUSED_PAD src0_sel:WORD_1 src1_sel:DWORD
	v_lshlrev_b16_sdwa v53, v37, v53 dst_sel:DWORD dst_unused:UNUSED_PAD src0_sel:DWORD src1_sel:WORD_1
	v_lshlrev_b16_e32 v54, 8, v54
	v_sub_i16 v55, v55, v57 clamp
	v_sub_i16 v53, v53, v54 clamp
	v_perm_b32 v53, v53, v55, s28
	v_lshl_or_b32 v7, v53, 16, v7
	v_dot4_i32_i8 v54, v7, v8, v52
	v_lshlrev_b32_sdwa v8, v36, v50 dst_sel:DWORD dst_unused:UNUSED_PAD src0_sel:DWORD src1_sel:BYTE_1
	global_load_dwordx2 v[52:53], v8, s[16:17]
	v_bfe_u32 v8, v51, 7, 8
	v_bcnt_u32_b32 v55, v8, 0
	v_and_b32_e32 v55, 1, v55
	v_lshlrev_b32_e32 v55, 7, v55
	v_xor_b32_e32 v8, v55, v8
	v_mul_lo_u32 v55, v8, s23
	v_and_b32_e32 v8, 0x8040201, v55
	v_cmp_ne_u16_sdwa s[20:21], v8, v33 src0_sel:BYTE_3 src1_sel:DWORD
	v_cmp_ne_u16_sdwa s[30:31], v8, v33 src0_sel:BYTE_1 src1_sel:DWORD
	v_lshrrev_b32_e32 v56, 18, v55
	v_cndmask_b32_e64 v57, 0, -1, s[30:31]
	v_cndmask_b32_e64 v59, 0, -1, s[20:21]
	v_bfe_i32 v8, v55, 0, 1
	v_lshlrev_b16_e32 v57, 8, v57
	v_bfe_i32 v56, v56, 0, 1
	v_lshlrev_b16_e32 v59, 8, v59
	v_or_b32_sdwa v58, v8, v57 dst_sel:DWORD dst_unused:UNUSED_PAD src0_sel:BYTE_0 src1_sel:DWORD
	v_or_b32_sdwa v60, v56, v59 dst_sel:WORD_1 dst_unused:UNUSED_PAD src0_sel:BYTE_0 src1_sel:DWORD
	v_or_b32_sdwa v58, v58, v60 dst_sel:DWORD dst_unused:UNUSED_PAD src0_sel:WORD_0 src1_sel:DWORD
	v_lshlrev_b16_e32 v8, 8, v8
	v_lshlrev_b16_e32 v56, 8, v56
	s_waitcnt vmcnt(0)
	v_xor_b32_e32 v52, v52, v58
	v_and_b32_e32 v58, 0xffffff00, v52
	v_sub_i16 v57, v58, v57 clamp
	v_lshlrev_b16_e32 v58, 8, v52
	v_sub_i16 v8, v58, v8 clamp
	v_perm_b32 v8, v8, v57, s28
	v_and_b32_sdwa v57, v52, s27 dst_sel:DWORD dst_unused:UNUSED_PAD src0_sel:WORD_1 src1_sel:DWORD
	v_lshlrev_b16_sdwa v52, v37, v52 dst_sel:DWORD dst_unused:UNUSED_PAD src0_sel:DWORD src1_sel:WORD_1
	v_sub_i16 v57, v57, v59 clamp
	v_sub_i16 v52, v52, v56 clamp
	v_perm_b32 v52, v52, v57, s28
	v_lshl_or_b32 v8, v52, 16, v8
	v_dot4_i32_i8 v52, v8, v9, v54
	v_and_b32_e32 v9, 0x80402010, v55
	v_cmp_ne_u16_sdwa s[20:21], v9, v33 src0_sel:BYTE_3 src1_sel:DWORD
	v_cmp_ne_u16_sdwa s[30:31], v9, v33 src0_sel:BYTE_1 src1_sel:DWORD
	v_lshrrev_b32_e32 v54, 22, v55
	v_lshrrev_b16_e32 v9, 4, v9
	v_cndmask_b32_e64 v55, 0, -1, s[30:31]
	v_cndmask_b32_e64 v57, 0, -1, s[20:21]
	v_bfe_i32 v9, v9, 0, 1
	v_lshlrev_b16_e32 v55, 8, v55
	v_bfe_i32 v54, v54, 0, 1
	v_lshlrev_b16_e32 v57, 8, v57
	v_or_b32_sdwa v56, v9, v55 dst_sel:DWORD dst_unused:UNUSED_PAD src0_sel:BYTE_0 src1_sel:DWORD
	v_or_b32_sdwa v58, v54, v57 dst_sel:WORD_1 dst_unused:UNUSED_PAD src0_sel:BYTE_0 src1_sel:DWORD
	v_or_b32_sdwa v56, v56, v58 dst_sel:DWORD dst_unused:UNUSED_PAD src0_sel:WORD_0 src1_sel:DWORD
	v_xor_b32_e32 v53, v53, v56
	v_and_b32_e32 v56, 0xffffff00, v53
	v_sub_i16 v55, v56, v55 clamp
	v_lshlrev_b16_e32 v56, 8, v53
	v_lshlrev_b16_e32 v9, 8, v9
	v_sub_i16 v9, v56, v9 clamp
	v_perm_b32 v9, v9, v55, s28
	v_and_b32_sdwa v55, v53, s27 dst_sel:DWORD dst_unused:UNUSED_PAD src0_sel:WORD_1 src1_sel:DWORD
	v_lshlrev_b16_sdwa v53, v37, v53 dst_sel:DWORD dst_unused:UNUSED_PAD src0_sel:DWORD src1_sel:WORD_1
	v_lshlrev_b16_e32 v54, 8, v54
	v_sub_i16 v55, v55, v57 clamp
	v_sub_i16 v53, v53, v54 clamp
	v_perm_b32 v53, v53, v55, s28
	v_lshl_or_b32 v9, v53, 16, v9
	v_dot4_i32_i8 v54, v9, v2, v52
	v_lshlrev_b32_sdwa v2, v36, v50 dst_sel:DWORD dst_unused:UNUSED_PAD src0_sel:DWORD src1_sel:BYTE_2
	global_load_dwordx2 v[52:53], v2, s[16:17]
	v_bfe_u32 v2, v51, 14, 8
	v_bcnt_u32_b32 v55, v2, 0
	v_and_b32_e32 v55, 1, v55
	v_lshlrev_b32_e32 v55, 7, v55
	v_xor_b32_e32 v2, v55, v2
	v_mul_lo_u32 v55, v2, s23
	v_and_b32_e32 v2, 0x8040201, v55
	v_cmp_ne_u16_sdwa s[20:21], v2, v33 src0_sel:BYTE_3 src1_sel:DWORD
	v_cmp_ne_u16_sdwa s[30:31], v2, v33 src0_sel:BYTE_1 src1_sel:DWORD
	v_lshrrev_b32_e32 v56, 18, v55
	v_cndmask_b32_e64 v57, 0, -1, s[30:31]
	v_cndmask_b32_e64 v59, 0, -1, s[20:21]
	v_bfe_i32 v2, v55, 0, 1
	v_lshlrev_b16_e32 v57, 8, v57
	v_bfe_i32 v56, v56, 0, 1
	v_lshlrev_b16_e32 v59, 8, v59
	v_or_b32_sdwa v58, v2, v57 dst_sel:DWORD dst_unused:UNUSED_PAD src0_sel:BYTE_0 src1_sel:DWORD
	v_or_b32_sdwa v60, v56, v59 dst_sel:WORD_1 dst_unused:UNUSED_PAD src0_sel:BYTE_0 src1_sel:DWORD
	v_or_b32_sdwa v58, v58, v60 dst_sel:DWORD dst_unused:UNUSED_PAD src0_sel:WORD_0 src1_sel:DWORD
	v_lshlrev_b16_e32 v2, 8, v2
	v_lshlrev_b16_e32 v56, 8, v56
	s_waitcnt vmcnt(0)
	v_xor_b32_e32 v52, v52, v58
	v_and_b32_e32 v58, 0xffffff00, v52
	v_sub_i16 v57, v58, v57 clamp
	v_lshlrev_b16_e32 v58, 8, v52
	v_sub_i16 v2, v58, v2 clamp
	v_perm_b32 v2, v2, v57, s28
	v_and_b32_sdwa v57, v52, s27 dst_sel:DWORD dst_unused:UNUSED_PAD src0_sel:WORD_1 src1_sel:DWORD
	v_lshlrev_b16_sdwa v52, v37, v52 dst_sel:DWORD dst_unused:UNUSED_PAD src0_sel:DWORD src1_sel:WORD_1
	v_sub_i16 v57, v57, v59 clamp
	v_sub_i16 v52, v52, v56 clamp
	v_perm_b32 v52, v52, v57, s28
	v_lshl_or_b32 v2, v52, 16, v2
	v_dot4_i32_i8 v52, v2, v3, v54
	v_and_b32_e32 v3, 0x80402010, v55
	v_cmp_ne_u16_sdwa s[20:21], v3, v33 src0_sel:BYTE_3 src1_sel:DWORD
	v_cmp_ne_u16_sdwa s[30:31], v3, v33 src0_sel:BYTE_1 src1_sel:DWORD
	v_lshrrev_b32_e32 v54, 22, v55
	v_lshrrev_b16_e32 v3, 4, v3
	v_cndmask_b32_e64 v55, 0, -1, s[30:31]
	v_cndmask_b32_e64 v57, 0, -1, s[20:21]
	v_bfe_i32 v3, v3, 0, 1
	v_lshlrev_b16_e32 v55, 8, v55
	v_bfe_i32 v54, v54, 0, 1
	v_lshlrev_b16_e32 v57, 8, v57
	v_or_b32_sdwa v56, v3, v55 dst_sel:DWORD dst_unused:UNUSED_PAD src0_sel:BYTE_0 src1_sel:DWORD
	v_or_b32_sdwa v58, v54, v57 dst_sel:WORD_1 dst_unused:UNUSED_PAD src0_sel:BYTE_0 src1_sel:DWORD
	v_or_b32_sdwa v56, v56, v58 dst_sel:DWORD dst_unused:UNUSED_PAD src0_sel:WORD_0 src1_sel:DWORD
	v_xor_b32_e32 v53, v53, v56
	v_and_b32_e32 v56, 0xffffff00, v53
	v_sub_i16 v55, v56, v55 clamp
	v_lshlrev_b16_e32 v56, 8, v53
	v_lshlrev_b16_e32 v3, 8, v3
	v_sub_i16 v3, v56, v3 clamp
	v_perm_b32 v3, v3, v55, s28
	v_and_b32_sdwa v55, v53, s27 dst_sel:DWORD dst_unused:UNUSED_PAD src0_sel:WORD_1 src1_sel:DWORD
	v_lshlrev_b16_sdwa v53, v37, v53 dst_sel:DWORD dst_unused:UNUSED_PAD src0_sel:DWORD src1_sel:WORD_1
	v_lshlrev_b16_e32 v54, 8, v54
	v_sub_i16 v55, v55, v57 clamp
	v_sub_i16 v53, v53, v54 clamp
	v_perm_b32 v53, v53, v55, s28
	v_lshl_or_b32 v3, v53, 16, v3
	v_dot4_i32_i8 v54, v3, v4, v52
	v_lshlrev_b32_sdwa v4, v36, v50 dst_sel:DWORD dst_unused:UNUSED_PAD src0_sel:DWORD src1_sel:BYTE_3
	global_load_dwordx2 v[52:53], v4, s[16:17]
	v_bfe_u32 v4, v51, 21, 8
	v_bcnt_u32_b32 v50, v4, 0
	v_and_b32_e32 v50, 1, v50
	v_lshlrev_b32_e32 v50, 7, v50
	v_xor_b32_e32 v4, v50, v4
	v_mul_lo_u32 v50, v4, s23
	v_and_b32_e32 v4, 0x8040201, v50
	v_cmp_ne_u16_sdwa s[16:17], v4, v33 src0_sel:BYTE_3 src1_sel:DWORD
	v_cmp_ne_u16_sdwa s[20:21], v4, v33 src0_sel:BYTE_1 src1_sel:DWORD
	v_lshrrev_b32_e32 v55, 18, v50
	v_cndmask_b32_e64 v56, 0, -1, s[20:21]
	v_cndmask_b32_e64 v58, 0, -1, s[16:17]
	v_bfe_i32 v4, v50, 0, 1
	v_lshlrev_b16_e32 v56, 8, v56
	v_bfe_i32 v55, v55, 0, 1
	v_lshlrev_b16_e32 v58, 8, v58
	v_or_b32_sdwa v57, v4, v56 dst_sel:DWORD dst_unused:UNUSED_PAD src0_sel:BYTE_0 src1_sel:DWORD
	v_or_b32_sdwa v59, v55, v58 dst_sel:WORD_1 dst_unused:UNUSED_PAD src0_sel:BYTE_0 src1_sel:DWORD
	v_or_b32_sdwa v57, v57, v59 dst_sel:DWORD dst_unused:UNUSED_PAD src0_sel:WORD_0 src1_sel:DWORD
	v_lshlrev_b16_e32 v4, 8, v4
	v_lshlrev_b16_e32 v55, 8, v55
	s_waitcnt vmcnt(0)
	v_xor_b32_e32 v52, v52, v57
	v_and_b32_e32 v57, 0xffffff00, v52
	v_sub_i16 v56, v57, v56 clamp
	v_lshlrev_b16_e32 v57, 8, v52
	v_sub_i16 v4, v57, v4 clamp
	v_perm_b32 v4, v4, v56, s28
	v_and_b32_sdwa v56, v52, s27 dst_sel:DWORD dst_unused:UNUSED_PAD src0_sel:WORD_1 src1_sel:DWORD
	v_lshlrev_b16_sdwa v52, v37, v52 dst_sel:DWORD dst_unused:UNUSED_PAD src0_sel:DWORD src1_sel:WORD_1
	v_sub_i16 v56, v56, v58 clamp
	v_sub_i16 v52, v52, v55 clamp
	v_perm_b32 v52, v52, v56, s28
	v_lshl_or_b32 v4, v52, 16, v4
	v_dot4_i32_i8 v52, v4, v5, v54
	v_and_b32_e32 v5, 0x80402010, v50
	v_cmp_ne_u16_sdwa s[16:17], v5, v33 src0_sel:BYTE_3 src1_sel:DWORD
	v_cmp_ne_u16_sdwa s[20:21], v5, v33 src0_sel:BYTE_1 src1_sel:DWORD
	v_lshrrev_b32_e32 v50, 22, v50
	v_lshrrev_b16_e32 v5, 4, v5
	v_cndmask_b32_e64 v54, 0, -1, s[20:21]
	v_cndmask_b32_e64 v56, 0, -1, s[16:17]
	v_bfe_i32 v5, v5, 0, 1
	v_lshlrev_b16_e32 v54, 8, v54
	v_bfe_i32 v50, v50, 0, 1
	v_lshlrev_b16_e32 v56, 8, v56
	v_or_b32_sdwa v55, v5, v54 dst_sel:DWORD dst_unused:UNUSED_PAD src0_sel:BYTE_0 src1_sel:DWORD
	v_or_b32_sdwa v57, v50, v56 dst_sel:WORD_1 dst_unused:UNUSED_PAD src0_sel:BYTE_0 src1_sel:DWORD
	v_or_b32_sdwa v55, v55, v57 dst_sel:DWORD dst_unused:UNUSED_PAD src0_sel:WORD_0 src1_sel:DWORD
	v_xor_b32_e32 v53, v53, v55
	v_and_b32_e32 v55, 0xffffff00, v53
	v_sub_i16 v54, v55, v54 clamp
	v_lshlrev_b16_e32 v55, 8, v53
	v_lshlrev_b16_e32 v5, 8, v5
	v_sub_i16 v5, v55, v5 clamp
	v_perm_b32 v5, v5, v54, s28
	v_and_b32_sdwa v54, v53, s27 dst_sel:DWORD dst_unused:UNUSED_PAD src0_sel:WORD_1 src1_sel:DWORD
	v_lshlrev_b16_sdwa v53, v37, v53 dst_sel:DWORD dst_unused:UNUSED_PAD src0_sel:DWORD src1_sel:WORD_1
	v_lshlrev_b16_e32 v50, 8, v50
	v_sub_i16 v54, v54, v56 clamp
	v_sub_i16 v50, v53, v50 clamp
	v_perm_b32 v50, v50, v54, s28
	v_lshl_or_b32 v5, v50, 16, v5
	v_dot4_i32_i8 v50, v5, v48, v52
	v_lshrrev_b32_e32 v48, 27, v51
	v_or_b32_e32 v48, 1, v48
	v_mul_lo_u32 v50, v50, v48
	v_ashrrev_i32_e32 v51, 31, v50
	v_lshrrev_b32_e32 v51, 29, v51
	v_add_u32_e32 v50, v50, v51
	v_ashrrev_i32_e32 v50, 3, v50
	v_cvt_f32_i32_e32 v49, v50
	v_fmac_f32_e32 v30, v17, v49
	v_add_u32_e32 v17, s1, v34
	v_mad_u64_u32 v[57:58], s[16:17], v17, 36, v[10:11]
	global_load_dword v17, v[57:58], off offset:32
	global_load_dwordx4 v[49:52], v[57:58], off offset:16
	global_load_dwordx4 v[53:56], v[57:58], off
	s_waitcnt vmcnt(0)
	v_dot4_i32_i8 v57, v6, v54, 0
	v_dot4_i32_i8 v54, v47, v54, 0
	v_dot4_i32_i8 v57, v38, v55, v57
	v_dot4_i32_i8 v54, v7, v55, v54
	v_dot4_i32_i8 v57, v39, v56, v57
	v_dot4_i32_i8 v54, v8, v56, v54
	v_dot4_i32_i8 v57, v40, v49, v57
	v_dot4_i32_i8 v49, v9, v49, v54
	v_dot4_i32_i8 v57, v41, v50, v57
	v_dot4_i32_i8 v49, v2, v50, v49
	v_dot4_i32_i8 v57, v42, v51, v57
	v_dot4_i32_i8 v49, v3, v51, v49
	v_dot4_i32_i8 v57, v43, v52, v57
	v_dot4_i32_i8 v49, v4, v52, v49
	v_dot4_i32_i8 v57, v44, v17, v57
	v_dot4_i32_i8 v17, v5, v17, v49
	v_mul_lo_u32 v17, v17, v48
	v_mul_lo_u32 v57, v57, v45
	v_cvt_f32_f16_e32 v53, v53
	v_ashrrev_i32_e32 v49, 31, v17
	v_ashrrev_i32_e32 v58, 31, v57
	v_lshrrev_b32_e32 v49, 29, v49
	v_lshrrev_b32_e32 v58, 29, v58
	v_add_u32_e32 v17, v17, v49
	v_add_u32_e32 v57, v57, v58
	v_ashrrev_i32_e32 v17, 3, v17
	v_ashrrev_i32_e32 v57, 3, v57
	v_cvt_f32_i32_e32 v17, v17
	v_cvt_f32_i32_e32 v57, v57
	v_mul_f32_e32 v49, v16, v53
	v_mul_f32_e32 v58, v46, v53
	v_fmac_f32_e32 v28, v49, v17
	v_add_u32_e32 v17, s26, v34
	v_fmac_f32_e32 v29, v58, v57
	v_mad_u64_u32 v[57:58], s[16:17], v17, 36, v[10:11]
	global_load_dword v17, v[57:58], off offset:32
	global_load_dwordx4 v[49:52], v[57:58], off offset:16
	global_load_dwordx4 v[53:56], v[57:58], off
	s_waitcnt vmcnt(0)
	v_dot4_i32_i8 v57, v6, v54, 0
	v_dot4_i32_i8 v54, v47, v54, 0
	v_dot4_i32_i8 v57, v38, v55, v57
	v_dot4_i32_i8 v54, v7, v55, v54
	v_dot4_i32_i8 v57, v39, v56, v57
	v_dot4_i32_i8 v54, v8, v56, v54
	v_dot4_i32_i8 v57, v40, v49, v57
	v_dot4_i32_i8 v49, v9, v49, v54
	v_dot4_i32_i8 v57, v41, v50, v57
	v_dot4_i32_i8 v49, v2, v50, v49
	v_dot4_i32_i8 v57, v42, v51, v57
	v_dot4_i32_i8 v49, v3, v51, v49
	v_dot4_i32_i8 v57, v43, v52, v57
	v_dot4_i32_i8 v49, v4, v52, v49
	v_dot4_i32_i8 v57, v44, v17, v57
	v_dot4_i32_i8 v17, v5, v17, v49
	v_mul_lo_u32 v17, v17, v48
	v_mul_lo_u32 v57, v57, v45
	v_cvt_f32_f16_e32 v53, v53
	v_ashrrev_i32_e32 v49, 31, v17
	v_ashrrev_i32_e32 v58, 31, v57
	v_lshrrev_b32_e32 v49, 29, v49
	v_lshrrev_b32_e32 v58, 29, v58
	v_add_u32_e32 v17, v17, v49
	v_add_u32_e32 v57, v57, v58
	v_ashrrev_i32_e32 v17, 3, v17
	v_ashrrev_i32_e32 v57, 3, v57
	v_cvt_f32_i32_e32 v17, v17
	v_cvt_f32_i32_e32 v57, v57
	v_mul_f32_e32 v49, v16, v53
	v_mul_f32_e32 v58, v46, v53
	v_fmac_f32_e32 v26, v49, v17
	v_add_u32_e32 v17, s25, v34
	v_fmac_f32_e32 v27, v58, v57
	;; [unrolled: 39-line block ×5, first 2 shown]
	v_mad_u64_u32 v[57:58], s[16:17], v17, 36, v[10:11]
	global_load_dword v59, v[57:58], off offset:32
	global_load_dwordx4 v[49:52], v[57:58], off offset:16
	global_load_dwordx4 v[53:56], v[57:58], off
	v_add_u32_e32 v34, 64, v34
	s_waitcnt vmcnt(0)
	v_dot4_i32_i8 v6, v6, v54, 0
	v_dot4_i32_i8 v6, v38, v55, v6
	;; [unrolled: 1-line block ×8, first 2 shown]
	v_mul_lo_u32 v6, v6, v45
	v_cvt_f32_f16_e32 v17, v53
	v_ashrrev_i32_e32 v38, 31, v6
	v_lshrrev_b32_e32 v38, 29, v38
	v_add_u32_e32 v6, v6, v38
	v_ashrrev_i32_e32 v6, 3, v6
	v_cvt_f32_i32_e32 v6, v6
	v_mul_f32_e32 v38, v46, v17
	v_fmac_f32_e32 v19, v38, v6
	v_dot4_i32_i8 v6, v47, v54, 0
	v_dot4_i32_i8 v6, v7, v55, v6
	;; [unrolled: 1-line block ×8, first 2 shown]
	v_mul_lo_u32 v2, v2, v48
	v_ashrrev_i32_e32 v3, 31, v2
	v_lshrrev_b32_e32 v3, 29, v3
	v_add_u32_e32 v2, v2, v3
	v_ashrrev_i32_e32 v2, 3, v2
	v_cvt_f32_i32_e32 v2, v2
	v_mul_f32_e32 v3, v16, v17
	v_fmac_f32_e32 v18, v3, v2
	s_andn2_b64 exec, exec, s[12:13]
	s_cbranch_execnz .LBB166_2
; %bb.3:
	s_or_b64 exec, exec, s[12:13]
.LBB166_4:
	s_or_b64 exec, exec, s[10:11]
	s_mov_b32 s1, 0
	v_cmp_eq_u32_e32 vcc, 0, v1
	; wave barrier
	s_and_saveexec_b64 s[10:11], vcc
	s_cbranch_execz .LBB166_19
; %bb.5:
	v_mbcnt_lo_u32_b32 v1, -1, 0
	v_mbcnt_hi_u32_b32 v6, -1, v1
	v_and_b32_e32 v1, 64, v6
	v_add_u32_e32 v7, 64, v1
	v_xor_b32_e32 v1, 32, v6
	v_cmp_lt_i32_e32 vcc, v1, v7
	v_cndmask_b32_e32 v1, v6, v1, vcc
	v_lshlrev_b32_e32 v1, 2, v1
	ds_bpermute_b32 v5, v1, v31
	ds_bpermute_b32 v8, v1, v30
	v_xor_b32_e32 v2, 16, v6
	v_cmp_lt_i32_e32 vcc, v2, v7
	v_cndmask_b32_e32 v2, v6, v2, vcc
	v_lshlrev_b32_e32 v2, 2, v2
	s_waitcnt lgkmcnt(1)
	v_add_f32_e32 v5, v31, v5
	s_waitcnt lgkmcnt(0)
	v_add_f32_e32 v8, v30, v8
	ds_bpermute_b32 v10, v2, v5
	ds_bpermute_b32 v11, v2, v8
	v_xor_b32_e32 v3, 8, v6
	v_cmp_lt_i32_e32 vcc, v3, v7
	v_cndmask_b32_e32 v3, v6, v3, vcc
	v_lshlrev_b32_e32 v3, 2, v3
	s_waitcnt lgkmcnt(1)
	v_add_f32_e32 v10, v5, v10
	s_waitcnt lgkmcnt(0)
	v_add_f32_e32 v8, v8, v11
	;; [unrolled: 10-line block ×3, first 2 shown]
	ds_bpermute_b32 v12, v4, v10
	ds_bpermute_b32 v11, v4, v8
	v_xor_b32_e32 v9, 2, v6
	v_cmp_lt_i32_e32 vcc, v9, v7
	v_cndmask_b32_e32 v9, v6, v9, vcc
	v_lshlrev_b32_e32 v5, 2, v9
	v_xor_b32_e32 v9, 1, v6
	v_cmp_lt_i32_e32 vcc, v9, v7
	s_waitcnt lgkmcnt(1)
	v_add_f32_e32 v7, v10, v12
	s_waitcnt lgkmcnt(0)
	v_add_f32_e32 v10, v8, v11
	v_cndmask_b32_e32 v6, v6, v9, vcc
	ds_bpermute_b32 v9, v5, v7
	ds_bpermute_b32 v11, v5, v10
	s_load_dwordx2 s[4:5], s[4:5], 0x38
	s_mul_i32 s3, s14, s7
	v_lshlrev_b32_e32 v8, 2, v6
	s_waitcnt lgkmcnt(0)
	v_add_f32_e32 v6, v7, v9
	v_add_f32_e32 v9, v10, v11
	s_mul_i32 s0, s18, s8
	s_add_i32 s3, s3, s6
	ds_bpermute_b32 v7, v8, v6
	ds_bpermute_b32 v10, v8, v9
	s_add_i32 s0, s3, s0
	s_lshl_b64 s[0:1], s[0:1], 2
	s_add_u32 s4, s4, s0
	v_add_u32_e32 v11, s6, v0
	s_addc_u32 s5, s5, s1
	v_cmp_gt_u32_e32 vcc, 2, v0
	v_cmp_gt_u32_e64 s[0:1], s2, v11
	s_and_b64 s[0:1], vcc, s[0:1]
	s_waitcnt lgkmcnt(1)
	v_add_f32_e32 v6, v6, v7
	s_waitcnt lgkmcnt(0)
	v_add_f32_e32 v7, v9, v10
	s_and_saveexec_b64 s[6:7], s[0:1]
	s_cbranch_execz .LBB166_7
; %bb.6:
	v_cmp_eq_u32_e32 vcc, 1, v0
	v_cndmask_b32_e32 v9, v6, v7, vcc
	v_cmp_eq_u32_e32 vcc, 2, v0
	v_cndmask_b32_e32 v9, v9, v29, vcc
	;; [unrolled: 2-line block ×13, first 2 shown]
	v_lshlrev_b32_e32 v10, 2, v0
	global_store_dword v10, v9, s[4:5]
.LBB166_7:
	s_or_b64 exec, exec, s[6:7]
	ds_bpermute_b32 v9, v1, v29
	ds_bpermute_b32 v10, v1, v28
	s_waitcnt lgkmcnt(1)
	v_add_f32_e32 v9, v29, v9
	s_waitcnt lgkmcnt(0)
	v_add_f32_e32 v10, v28, v10
	ds_bpermute_b32 v11, v2, v9
	ds_bpermute_b32 v12, v2, v10
	s_waitcnt lgkmcnt(1)
	v_add_f32_e32 v9, v9, v11
	s_waitcnt lgkmcnt(0)
	v_add_f32_e32 v10, v10, v12
	;; [unrolled: 6-line block ×6, first 2 shown]
	s_and_saveexec_b64 s[6:7], s[0:1]
	s_cbranch_execz .LBB166_9
; %bb.8:
	v_add_u32_e32 v11, 2, v0
	v_cmp_eq_u32_e32 vcc, 1, v11
	v_cndmask_b32_e32 v12, v6, v7, vcc
	v_cmp_eq_u32_e32 vcc, 2, v11
	v_cndmask_b32_e32 v12, v12, v10, vcc
	;; [unrolled: 2-line block ×13, first 2 shown]
	v_add_u32_e32 v11, s2, v0
	v_mov_b32_e32 v12, 0
	v_lshlrev_b64 v[11:12], 2, v[11:12]
	v_mov_b32_e32 v14, s5
	v_add_co_u32_e32 v11, vcc, s4, v11
	v_addc_co_u32_e32 v12, vcc, v14, v12, vcc
	global_store_dword v[11:12], v13, off
.LBB166_9:
	s_or_b64 exec, exec, s[6:7]
	ds_bpermute_b32 v11, v1, v27
	ds_bpermute_b32 v12, v1, v26
	s_waitcnt lgkmcnt(1)
	v_add_f32_e32 v11, v27, v11
	s_waitcnt lgkmcnt(0)
	v_add_f32_e32 v12, v26, v12
	ds_bpermute_b32 v13, v2, v11
	ds_bpermute_b32 v14, v2, v12
	s_waitcnt lgkmcnt(1)
	v_add_f32_e32 v11, v11, v13
	s_waitcnt lgkmcnt(0)
	v_add_f32_e32 v12, v12, v14
	;; [unrolled: 6-line block ×6, first 2 shown]
	s_and_saveexec_b64 s[6:7], s[0:1]
	s_cbranch_execz .LBB166_11
; %bb.10:
	v_add_u32_e32 v13, 4, v0
	v_cmp_eq_u32_e32 vcc, 1, v13
	v_cndmask_b32_e32 v14, v6, v7, vcc
	v_cmp_eq_u32_e32 vcc, 2, v13
	v_cndmask_b32_e32 v14, v14, v10, vcc
	;; [unrolled: 2-line block ×13, first 2 shown]
	v_lshl_or_b32 v13, s2, 1, v0
	v_mov_b32_e32 v14, 0
	v_lshlrev_b64 v[13:14], 2, v[13:14]
	v_mov_b32_e32 v16, s5
	v_add_co_u32_e32 v13, vcc, s4, v13
	v_addc_co_u32_e32 v14, vcc, v16, v14, vcc
	global_store_dword v[13:14], v15, off
.LBB166_11:
	s_or_b64 exec, exec, s[6:7]
	ds_bpermute_b32 v13, v1, v25
	ds_bpermute_b32 v14, v1, v24
	s_waitcnt lgkmcnt(1)
	v_add_f32_e32 v13, v25, v13
	s_waitcnt lgkmcnt(0)
	v_add_f32_e32 v14, v24, v14
	ds_bpermute_b32 v15, v2, v13
	ds_bpermute_b32 v16, v2, v14
	s_waitcnt lgkmcnt(1)
	v_add_f32_e32 v13, v13, v15
	s_waitcnt lgkmcnt(0)
	v_add_f32_e32 v14, v14, v16
	;; [unrolled: 6-line block ×6, first 2 shown]
	s_and_saveexec_b64 s[6:7], s[0:1]
	s_cbranch_execz .LBB166_13
; %bb.12:
	v_add_u32_e32 v17, 6, v0
	v_cmp_eq_u32_e32 vcc, 1, v17
	v_cndmask_b32_e32 v15, v6, v7, vcc
	v_cmp_eq_u32_e32 vcc, 2, v17
	v_cndmask_b32_e32 v15, v15, v10, vcc
	;; [unrolled: 2-line block ×12, first 2 shown]
	v_mad_u64_u32 v[15:16], s[8:9], s2, 3, v[0:1]
	v_mov_b32_e32 v16, 0
	v_cmp_eq_u32_e32 vcc, 13, v17
	v_lshlrev_b64 v[15:16], 2, v[15:16]
	v_cndmask_b32_e32 v17, v24, v18, vcc
	v_mov_b32_e32 v24, s5
	v_add_co_u32_e32 v15, vcc, s4, v15
	v_addc_co_u32_e32 v16, vcc, v24, v16, vcc
	global_store_dword v[15:16], v17, off
.LBB166_13:
	s_or_b64 exec, exec, s[6:7]
	ds_bpermute_b32 v15, v1, v23
	ds_bpermute_b32 v16, v1, v22
	s_waitcnt lgkmcnt(1)
	v_add_f32_e32 v15, v23, v15
	s_waitcnt lgkmcnt(0)
	v_add_f32_e32 v16, v22, v16
	ds_bpermute_b32 v17, v2, v15
	ds_bpermute_b32 v22, v2, v16
	s_waitcnt lgkmcnt(1)
	v_add_f32_e32 v15, v15, v17
	s_waitcnt lgkmcnt(0)
	v_add_f32_e32 v16, v16, v22
	;; [unrolled: 6-line block ×6, first 2 shown]
	s_and_saveexec_b64 s[6:7], s[0:1]
	s_cbranch_execz .LBB166_15
; %bb.14:
	v_add_u32_e32 v17, 8, v0
	v_cmp_eq_u32_e32 vcc, 1, v17
	v_cndmask_b32_e32 v22, v6, v7, vcc
	v_cmp_eq_u32_e32 vcc, 2, v17
	v_cndmask_b32_e32 v22, v22, v10, vcc
	;; [unrolled: 2-line block ×13, first 2 shown]
	v_lshl_or_b32 v22, s2, 2, v0
	v_mov_b32_e32 v23, 0
	v_lshlrev_b64 v[22:23], 2, v[22:23]
	v_mov_b32_e32 v24, s5
	v_add_co_u32_e32 v22, vcc, s4, v22
	v_addc_co_u32_e32 v23, vcc, v24, v23, vcc
	global_store_dword v[22:23], v17, off
.LBB166_15:
	s_or_b64 exec, exec, s[6:7]
	ds_bpermute_b32 v17, v1, v21
	ds_bpermute_b32 v22, v1, v20
	s_waitcnt lgkmcnt(1)
	v_add_f32_e32 v17, v21, v17
	s_waitcnt lgkmcnt(0)
	v_add_f32_e32 v20, v20, v22
	ds_bpermute_b32 v21, v2, v17
	ds_bpermute_b32 v22, v2, v20
	s_waitcnt lgkmcnt(1)
	v_add_f32_e32 v17, v17, v21
	s_waitcnt lgkmcnt(0)
	v_add_f32_e32 v20, v20, v22
	;; [unrolled: 6-line block ×6, first 2 shown]
	s_and_saveexec_b64 s[6:7], s[0:1]
	s_cbranch_execz .LBB166_17
; %bb.16:
	v_add_u32_e32 v23, 10, v0
	v_cmp_eq_u32_e32 vcc, 1, v23
	v_cndmask_b32_e32 v21, v6, v7, vcc
	v_cmp_eq_u32_e32 vcc, 2, v23
	v_cndmask_b32_e32 v21, v21, v10, vcc
	;; [unrolled: 2-line block ×12, first 2 shown]
	v_mad_u64_u32 v[21:22], s[8:9], s2, 5, v[0:1]
	v_mov_b32_e32 v22, 0
	v_cmp_eq_u32_e32 vcc, 13, v23
	v_lshlrev_b64 v[21:22], 2, v[21:22]
	v_cndmask_b32_e32 v23, v24, v18, vcc
	v_mov_b32_e32 v24, s5
	v_add_co_u32_e32 v21, vcc, s4, v21
	v_addc_co_u32_e32 v22, vcc, v24, v22, vcc
	global_store_dword v[21:22], v23, off
.LBB166_17:
	s_or_b64 exec, exec, s[6:7]
	ds_bpermute_b32 v21, v1, v19
	ds_bpermute_b32 v1, v1, v18
	s_waitcnt lgkmcnt(1)
	v_add_f32_e32 v19, v19, v21
	s_waitcnt lgkmcnt(0)
	v_add_f32_e32 v1, v18, v1
	ds_bpermute_b32 v18, v2, v19
	ds_bpermute_b32 v2, v2, v1
	s_waitcnt lgkmcnt(1)
	v_add_f32_e32 v18, v19, v18
	s_waitcnt lgkmcnt(0)
	v_add_f32_e32 v1, v1, v2
	;; [unrolled: 6-line block ×5, first 2 shown]
	ds_bpermute_b32 v3, v8, v1
	ds_bpermute_b32 v4, v8, v2
	s_and_b64 exec, exec, s[0:1]
	s_cbranch_execz .LBB166_19
; %bb.18:
	s_waitcnt lgkmcnt(1)
	v_add_f32_e32 v1, v1, v3
	v_add_u32_e32 v3, 12, v0
	v_cmp_eq_u32_e32 vcc, 1, v3
	s_waitcnt lgkmcnt(0)
	v_add_f32_e32 v2, v2, v4
	v_cndmask_b32_e32 v4, v6, v7, vcc
	v_cmp_eq_u32_e32 vcc, 2, v3
	v_cndmask_b32_e32 v4, v4, v10, vcc
	v_cmp_eq_u32_e32 vcc, 3, v3
	;; [unrolled: 2-line block ×12, first 2 shown]
	s_mul_i32 s0, s2, 6
	v_cndmask_b32_e32 v2, v1, v2, vcc
	v_or_b32_e32 v0, s0, v0
	v_mov_b32_e32 v1, 0
	v_lshlrev_b64 v[0:1], 2, v[0:1]
	v_mov_b32_e32 v3, s5
	v_add_co_u32_e32 v0, vcc, s4, v0
	v_addc_co_u32_e32 v1, vcc, v3, v1, vcc
	global_store_dword v[0:1], v2, off
.LBB166_19:
	s_endpgm
	.section	.rodata,"a",@progbits
	.p2align	6, 0x0
	.amdhsa_kernel _ZL13mul_mat_vec_qIL9ggml_type16ELi7ELb0ELb0EEvPKvS2_PKi31ggml_cuda_mm_fusion_args_devicePfj15HIP_vector_typeIjLj3EEjjjS8_jjjS8_jjjj
		.amdhsa_group_segment_fixed_size 0
		.amdhsa_private_segment_fixed_size 0
		.amdhsa_kernarg_size 144
		.amdhsa_user_sgpr_count 6
		.amdhsa_user_sgpr_private_segment_buffer 1
		.amdhsa_user_sgpr_dispatch_ptr 0
		.amdhsa_user_sgpr_queue_ptr 0
		.amdhsa_user_sgpr_kernarg_segment_ptr 1
		.amdhsa_user_sgpr_dispatch_id 0
		.amdhsa_user_sgpr_flat_scratch_init 0
		.amdhsa_user_sgpr_private_segment_size 0
		.amdhsa_uses_dynamic_stack 0
		.amdhsa_system_sgpr_private_segment_wavefront_offset 0
		.amdhsa_system_sgpr_workgroup_id_x 1
		.amdhsa_system_sgpr_workgroup_id_y 1
		.amdhsa_system_sgpr_workgroup_id_z 1
		.amdhsa_system_sgpr_workgroup_info 0
		.amdhsa_system_vgpr_workitem_id 1
		.amdhsa_next_free_vgpr 61
		.amdhsa_next_free_sgpr 32
		.amdhsa_reserve_vcc 1
		.amdhsa_reserve_flat_scratch 0
		.amdhsa_float_round_mode_32 0
		.amdhsa_float_round_mode_16_64 0
		.amdhsa_float_denorm_mode_32 3
		.amdhsa_float_denorm_mode_16_64 3
		.amdhsa_dx10_clamp 1
		.amdhsa_ieee_mode 1
		.amdhsa_fp16_overflow 0
		.amdhsa_exception_fp_ieee_invalid_op 0
		.amdhsa_exception_fp_denorm_src 0
		.amdhsa_exception_fp_ieee_div_zero 0
		.amdhsa_exception_fp_ieee_overflow 0
		.amdhsa_exception_fp_ieee_underflow 0
		.amdhsa_exception_fp_ieee_inexact 0
		.amdhsa_exception_int_div_zero 0
	.end_amdhsa_kernel
	.section	.text._ZL13mul_mat_vec_qIL9ggml_type16ELi7ELb0ELb0EEvPKvS2_PKi31ggml_cuda_mm_fusion_args_devicePfj15HIP_vector_typeIjLj3EEjjjS8_jjjS8_jjjj,"axG",@progbits,_ZL13mul_mat_vec_qIL9ggml_type16ELi7ELb0ELb0EEvPKvS2_PKi31ggml_cuda_mm_fusion_args_devicePfj15HIP_vector_typeIjLj3EEjjjS8_jjjS8_jjjj,comdat
.Lfunc_end166:
	.size	_ZL13mul_mat_vec_qIL9ggml_type16ELi7ELb0ELb0EEvPKvS2_PKi31ggml_cuda_mm_fusion_args_devicePfj15HIP_vector_typeIjLj3EEjjjS8_jjjS8_jjjj, .Lfunc_end166-_ZL13mul_mat_vec_qIL9ggml_type16ELi7ELb0ELb0EEvPKvS2_PKi31ggml_cuda_mm_fusion_args_devicePfj15HIP_vector_typeIjLj3EEjjjS8_jjjS8_jjjj
                                        ; -- End function
	.set _ZL13mul_mat_vec_qIL9ggml_type16ELi7ELb0ELb0EEvPKvS2_PKi31ggml_cuda_mm_fusion_args_devicePfj15HIP_vector_typeIjLj3EEjjjS8_jjjS8_jjjj.num_vgpr, 61
	.set _ZL13mul_mat_vec_qIL9ggml_type16ELi7ELb0ELb0EEvPKvS2_PKi31ggml_cuda_mm_fusion_args_devicePfj15HIP_vector_typeIjLj3EEjjjS8_jjjS8_jjjj.num_agpr, 0
	.set _ZL13mul_mat_vec_qIL9ggml_type16ELi7ELb0ELb0EEvPKvS2_PKi31ggml_cuda_mm_fusion_args_devicePfj15HIP_vector_typeIjLj3EEjjjS8_jjjS8_jjjj.numbered_sgpr, 32
	.set _ZL13mul_mat_vec_qIL9ggml_type16ELi7ELb0ELb0EEvPKvS2_PKi31ggml_cuda_mm_fusion_args_devicePfj15HIP_vector_typeIjLj3EEjjjS8_jjjS8_jjjj.num_named_barrier, 0
	.set _ZL13mul_mat_vec_qIL9ggml_type16ELi7ELb0ELb0EEvPKvS2_PKi31ggml_cuda_mm_fusion_args_devicePfj15HIP_vector_typeIjLj3EEjjjS8_jjjS8_jjjj.private_seg_size, 0
	.set _ZL13mul_mat_vec_qIL9ggml_type16ELi7ELb0ELb0EEvPKvS2_PKi31ggml_cuda_mm_fusion_args_devicePfj15HIP_vector_typeIjLj3EEjjjS8_jjjS8_jjjj.uses_vcc, 1
	.set _ZL13mul_mat_vec_qIL9ggml_type16ELi7ELb0ELb0EEvPKvS2_PKi31ggml_cuda_mm_fusion_args_devicePfj15HIP_vector_typeIjLj3EEjjjS8_jjjS8_jjjj.uses_flat_scratch, 0
	.set _ZL13mul_mat_vec_qIL9ggml_type16ELi7ELb0ELb0EEvPKvS2_PKi31ggml_cuda_mm_fusion_args_devicePfj15HIP_vector_typeIjLj3EEjjjS8_jjjS8_jjjj.has_dyn_sized_stack, 0
	.set _ZL13mul_mat_vec_qIL9ggml_type16ELi7ELb0ELb0EEvPKvS2_PKi31ggml_cuda_mm_fusion_args_devicePfj15HIP_vector_typeIjLj3EEjjjS8_jjjS8_jjjj.has_recursion, 0
	.set _ZL13mul_mat_vec_qIL9ggml_type16ELi7ELb0ELb0EEvPKvS2_PKi31ggml_cuda_mm_fusion_args_devicePfj15HIP_vector_typeIjLj3EEjjjS8_jjjS8_jjjj.has_indirect_call, 0
	.section	.AMDGPU.csdata,"",@progbits
; Kernel info:
; codeLenInByte = 8432
; TotalNumSgprs: 36
; NumVgprs: 61
; ScratchSize: 0
; MemoryBound: 0
; FloatMode: 240
; IeeeMode: 1
; LDSByteSize: 0 bytes/workgroup (compile time only)
; SGPRBlocks: 4
; VGPRBlocks: 15
; NumSGPRsForWavesPerEU: 36
; NumVGPRsForWavesPerEU: 61
; Occupancy: 4
; WaveLimiterHint : 0
; COMPUTE_PGM_RSRC2:SCRATCH_EN: 0
; COMPUTE_PGM_RSRC2:USER_SGPR: 6
; COMPUTE_PGM_RSRC2:TRAP_HANDLER: 0
; COMPUTE_PGM_RSRC2:TGID_X_EN: 1
; COMPUTE_PGM_RSRC2:TGID_Y_EN: 1
; COMPUTE_PGM_RSRC2:TGID_Z_EN: 1
; COMPUTE_PGM_RSRC2:TIDIG_COMP_CNT: 1
	.section	.text._ZL13mul_mat_vec_qIL9ggml_type16ELi8ELb0ELb0EEvPKvS2_PKi31ggml_cuda_mm_fusion_args_devicePfj15HIP_vector_typeIjLj3EEjjjS8_jjjS8_jjjj,"axG",@progbits,_ZL13mul_mat_vec_qIL9ggml_type16ELi8ELb0ELb0EEvPKvS2_PKi31ggml_cuda_mm_fusion_args_devicePfj15HIP_vector_typeIjLj3EEjjjS8_jjjS8_jjjj,comdat
	.globl	_ZL13mul_mat_vec_qIL9ggml_type16ELi8ELb0ELb0EEvPKvS2_PKi31ggml_cuda_mm_fusion_args_devicePfj15HIP_vector_typeIjLj3EEjjjS8_jjjS8_jjjj ; -- Begin function _ZL13mul_mat_vec_qIL9ggml_type16ELi8ELb0ELb0EEvPKvS2_PKi31ggml_cuda_mm_fusion_args_devicePfj15HIP_vector_typeIjLj3EEjjjS8_jjjS8_jjjj
	.p2align	8
	.type	_ZL13mul_mat_vec_qIL9ggml_type16ELi8ELb0ELb0EEvPKvS2_PKi31ggml_cuda_mm_fusion_args_devicePfj15HIP_vector_typeIjLj3EEjjjS8_jjjS8_jjjj,@function
_ZL13mul_mat_vec_qIL9ggml_type16ELi8ELb0ELb0EEvPKvS2_PKi31ggml_cuda_mm_fusion_args_devicePfj15HIP_vector_typeIjLj3EEjjjS8_jjjS8_jjjj: ; @_ZL13mul_mat_vec_qIL9ggml_type16ELi8ELb0ELb0EEvPKvS2_PKi31ggml_cuda_mm_fusion_args_devicePfj15HIP_vector_typeIjLj3EEjjjS8_jjjS8_jjjj
; %bb.0:
	s_load_dword s9, s[4:5], 0x40
	s_load_dwordx4 s[0:3], s[4:5], 0x50
	s_load_dword s25, s[4:5], 0x60
	s_load_dwordx4 s[12:15], s[4:5], 0x68
	;; [unrolled: 2-line block ×3, first 2 shown]
	v_lshl_or_b32 v2, v1, 6, v0
	s_waitcnt lgkmcnt(0)
	s_lshr_b32 s9, s9, 8
	v_lshrrev_b32_e32 v34, 3, v2
	v_mov_b32_e32 v18, 0
	s_lshl_b32 s6, s6, 1
	v_cmp_gt_u32_e32 vcc, s9, v34
	v_mov_b32_e32 v19, v18
	v_mov_b32_e32 v20, v18
	;; [unrolled: 1-line block ×15, first 2 shown]
	s_and_saveexec_b64 s[10:11], vcc
	s_cbranch_execz .LBB167_4
; %bb.1:
	s_mul_hi_u32 s3, s3, s7
	s_add_i32 s3, s7, s3
	s_load_dwordx4 s[20:23], s[4:5], 0x0
	s_lshr_b32 s3, s3, s25
	s_mul_i32 s3, s3, s12
	s_mul_hi_u32 s12, s15, s8
	s_add_i32 s12, s8, s12
	s_lshr_b32 s12, s12, s24
	s_mul_i32 s25, s17, s8
	s_mul_i32 s15, s12, s16
	;; [unrolled: 1-line block ×3, first 2 shown]
	s_mul_hi_u32 s12, s25, 36
	s_waitcnt lgkmcnt(0)
	s_add_u32 s16, s22, s16
	s_addc_u32 s17, s23, s12
	s_mul_i32 s12, s13, s7
	s_mul_hi_u32 s13, s12, 36
	s_mul_i32 s12, s12, 36
	s_add_u32 s16, s16, s12
	s_addc_u32 s17, s17, s13
	v_lshlrev_b32_e32 v2, 1, v0
	v_and_b32_e32 v5, 7, v0
	v_and_b32_e32 v2, 14, v2
	v_mad_u64_u32 v[10:11], s[16:17], v5, 36, s[16:17]
	v_lshlrev_b32_e32 v4, 1, v2
	s_add_i32 s16, s6, 1
	v_mov_b32_e32 v2, s12
	s_add_i32 s15, s15, s3
	s_mul_i32 s3, s6, s0
	s_mul_i32 s0, s0, s16
	s_movk_i32 s16, 0x120
	v_mov_b32_e32 v3, s13
	v_mad_u64_u32 v[2:3], s[12:13], v34, s16, v[2:3]
	v_mov_b32_e32 v14, s20
	v_mov_b32_e32 v35, 0
	v_mad_u64_u32 v[2:3], s[12:13], s25, 36, v[2:3]
	s_add_i32 s3, s15, s3
	s_add_i32 s0, s15, s0
	v_mad_u64_u32 v[2:3], s[12:13], v5, 36, v[2:3]
	v_mov_b32_e32 v5, s23
	v_lshlrev_b32_e32 v36, 3, v34
	v_add_co_u32_e32 v2, vcc, s22, v2
	v_addc_co_u32_e32 v3, vcc, v5, v3, vcc
	v_add_co_u32_e32 v12, vcc, 16, v2
	s_mul_i32 s15, s1, 7
	s_mul_i32 s19, s1, 6
	;; [unrolled: 1-line block ×3, first 2 shown]
	s_lshl_b32 s25, s1, 2
	s_mul_i32 s26, s1, 3
	s_lshl_b32 s27, s1, 1
	v_addc_co_u32_e32 v13, vcc, 0, v3, vcc
	s_mov_b64 s[12:13], 0
	s_movk_i32 s22, 0x42
	v_lshlrev_b32_e32 v37, 1, v4
	s_mov_b32 s23, 0x1010101
	s_movk_i32 s28, 0xff00
	s_mov_b32 s29, 0xc0c0105
	v_mov_b32_e32 v38, 3
	v_mov_b32_e32 v39, 8
	;; [unrolled: 1-line block ×19, first 2 shown]
.LBB167_2:                              ; =>This Inner Loop Header: Depth=1
	v_add_u32_e32 v16, s3, v34
	v_mad_i64_i32 v[16:17], s[16:17], v16, s22, v[14:15]
	global_load_dword v53, v[12:13], off offset:16
	global_load_dwordx4 v[2:5], v[12:13], off
	global_load_dwordx4 v[6:9], v[12:13], off offset:-16
	s_getpc_b64 s[16:17]
	s_add_u32 s16, s16, _ZL11iq2xxs_grid@rel32@lo+4
	s_addc_u32 s17, s17, _ZL11iq2xxs_grid@rel32@hi+12
	v_add_co_u32_e32 v40, vcc, v16, v37
	v_addc_co_u32_e32 v41, vcc, 0, v17, vcc
	global_load_dwordx2 v[46:47], v[40:41], off offset:2
	s_waitcnt vmcnt(1)
	v_cvt_f32_f16_e32 v52, v6
	global_load_ushort v16, v[16:17], off
	s_waitcnt vmcnt(1)
	v_lshlrev_b32_sdwa v6, v38, v46 dst_sel:DWORD dst_unused:UNUSED_PAD src0_sel:DWORD src1_sel:BYTE_0
	global_load_dwordx2 v[40:41], v6, s[16:17]
	v_and_b32_e32 v6, 0xff, v47
	v_bcnt_u32_b32 v42, v6, 0
	v_and_b32_e32 v42, 1, v42
	v_lshlrev_b32_e32 v42, 7, v42
	v_xor_b32_e32 v6, v42, v6
	v_mul_lo_u32 v42, v6, s23
	v_and_b32_e32 v6, 0x8040201, v42
	v_cmp_ne_u16_sdwa s[20:21], v6, v35 src0_sel:BYTE_3 src1_sel:DWORD
	v_cmp_ne_u16_sdwa s[30:31], v6, v35 src0_sel:BYTE_1 src1_sel:DWORD
	v_lshrrev_b32_e32 v43, 18, v42
	v_cndmask_b32_e64 v44, 0, -1, s[30:31]
	v_cndmask_b32_e64 v48, 0, -1, s[20:21]
	v_bfe_i32 v6, v42, 0, 1
	v_lshlrev_b16_e32 v44, 8, v44
	v_bfe_i32 v43, v43, 0, 1
	v_lshlrev_b16_e32 v48, 8, v48
	v_or_b32_sdwa v45, v6, v44 dst_sel:DWORD dst_unused:UNUSED_PAD src0_sel:BYTE_0 src1_sel:DWORD
	v_or_b32_sdwa v49, v43, v48 dst_sel:WORD_1 dst_unused:UNUSED_PAD src0_sel:BYTE_0 src1_sel:DWORD
	v_or_b32_sdwa v45, v45, v49 dst_sel:DWORD dst_unused:UNUSED_PAD src0_sel:WORD_0 src1_sel:DWORD
	v_lshlrev_b16_e32 v6, 8, v6
	v_lshlrev_b16_e32 v43, 8, v43
	s_waitcnt vmcnt(0)
	v_xor_b32_e32 v40, v40, v45
	v_and_b32_e32 v45, 0xffffff00, v40
	v_sub_i16 v44, v45, v44 clamp
	v_lshlrev_b16_e32 v45, 8, v40
	v_sub_i16 v6, v45, v6 clamp
	v_perm_b32 v6, v6, v44, s29
	v_and_b32_sdwa v44, v40, s28 dst_sel:DWORD dst_unused:UNUSED_PAD src0_sel:WORD_1 src1_sel:DWORD
	v_lshlrev_b16_sdwa v40, v39, v40 dst_sel:DWORD dst_unused:UNUSED_PAD src0_sel:DWORD src1_sel:WORD_1
	v_sub_i16 v44, v44, v48 clamp
	v_sub_i16 v40, v40, v43 clamp
	v_perm_b32 v40, v40, v44, s29
	v_lshl_or_b32 v6, v40, 16, v6
	v_and_b32_e32 v40, 0x80402010, v42
	v_cmp_ne_u16_sdwa s[20:21], v40, v35 src0_sel:BYTE_3 src1_sel:DWORD
	v_cmp_ne_u16_sdwa s[30:31], v40, v35 src0_sel:BYTE_1 src1_sel:DWORD
	v_lshrrev_b32_e32 v42, 22, v42
	v_lshrrev_b16_e32 v40, 4, v40
	v_cndmask_b32_e64 v44, 0, -1, s[30:31]
	v_cndmask_b32_e64 v48, 0, -1, s[20:21]
	v_bfe_i32 v40, v40, 0, 1
	v_lshlrev_b16_e32 v44, 8, v44
	v_bfe_i32 v42, v42, 0, 1
	v_lshlrev_b16_e32 v48, 8, v48
	v_or_b32_sdwa v45, v40, v44 dst_sel:DWORD dst_unused:UNUSED_PAD src0_sel:BYTE_0 src1_sel:DWORD
	v_or_b32_sdwa v49, v42, v48 dst_sel:WORD_1 dst_unused:UNUSED_PAD src0_sel:BYTE_0 src1_sel:DWORD
	v_or_b32_sdwa v45, v45, v49 dst_sel:DWORD dst_unused:UNUSED_PAD src0_sel:WORD_0 src1_sel:DWORD
	v_xor_b32_e32 v41, v41, v45
	v_and_b32_e32 v45, 0xffffff00, v41
	v_sub_i16 v44, v45, v44 clamp
	v_lshlrev_b16_e32 v45, 8, v41
	v_lshlrev_b16_e32 v40, 8, v40
	v_sub_i16 v40, v45, v40 clamp
	v_perm_b32 v40, v40, v44, s29
	v_and_b32_sdwa v44, v41, s28 dst_sel:DWORD dst_unused:UNUSED_PAD src0_sel:WORD_1 src1_sel:DWORD
	v_lshlrev_b16_sdwa v41, v39, v41 dst_sel:DWORD dst_unused:UNUSED_PAD src0_sel:DWORD src1_sel:WORD_1
	v_lshlrev_b16_e32 v42, 8, v42
	v_sub_i16 v44, v44, v48 clamp
	v_sub_i16 v41, v41, v42 clamp
	v_perm_b32 v41, v41, v44, s29
	v_lshl_or_b32 v40, v41, 16, v40
	v_lshlrev_b32_sdwa v41, v38, v46 dst_sel:DWORD dst_unused:UNUSED_PAD src0_sel:DWORD src1_sel:BYTE_1
	global_load_dwordx2 v[41:42], v41, s[16:17]
	v_bfe_u32 v44, v47, 7, 8
	v_bcnt_u32_b32 v45, v44, 0
	v_and_b32_e32 v45, 1, v45
	v_lshlrev_b32_e32 v45, 7, v45
	v_xor_b32_e32 v44, v45, v44
	v_mul_lo_u32 v44, v44, s23
	v_dot4_i32_i8 v43, v6, v7, 0
	v_dot4_i32_i8 v43, v40, v8, v43
	v_and_b32_e32 v45, 0x8040201, v44
	v_cmp_ne_u16_sdwa s[20:21], v45, v35 src0_sel:BYTE_3 src1_sel:DWORD
	v_cmp_ne_u16_sdwa s[30:31], v45, v35 src0_sel:BYTE_1 src1_sel:DWORD
	v_lshrrev_b32_e32 v48, 18, v44
	v_cndmask_b32_e64 v49, 0, -1, s[30:31]
	v_cndmask_b32_e64 v51, 0, -1, s[20:21]
	v_bfe_i32 v45, v44, 0, 1
	v_lshlrev_b16_e32 v49, 8, v49
	v_bfe_i32 v48, v48, 0, 1
	v_lshlrev_b16_e32 v51, 8, v51
	v_or_b32_sdwa v50, v45, v49 dst_sel:DWORD dst_unused:UNUSED_PAD src0_sel:BYTE_0 src1_sel:DWORD
	v_or_b32_sdwa v54, v48, v51 dst_sel:WORD_1 dst_unused:UNUSED_PAD src0_sel:BYTE_0 src1_sel:DWORD
	v_or_b32_sdwa v50, v50, v54 dst_sel:DWORD dst_unused:UNUSED_PAD src0_sel:WORD_0 src1_sel:DWORD
	v_lshlrev_b16_e32 v45, 8, v45
	v_lshlrev_b16_e32 v48, 8, v48
	s_waitcnt vmcnt(0)
	v_xor_b32_e32 v41, v41, v50
	v_and_b32_e32 v50, 0xffffff00, v41
	v_sub_i16 v49, v50, v49 clamp
	v_lshlrev_b16_e32 v50, 8, v41
	v_sub_i16 v45, v50, v45 clamp
	v_perm_b32 v45, v45, v49, s29
	v_and_b32_sdwa v49, v41, s28 dst_sel:DWORD dst_unused:UNUSED_PAD src0_sel:WORD_1 src1_sel:DWORD
	v_lshlrev_b16_sdwa v41, v39, v41 dst_sel:DWORD dst_unused:UNUSED_PAD src0_sel:DWORD src1_sel:WORD_1
	v_sub_i16 v49, v49, v51 clamp
	v_sub_i16 v41, v41, v48 clamp
	v_perm_b32 v41, v41, v49, s29
	v_lshl_or_b32 v41, v41, 16, v45
	v_and_b32_e32 v45, 0x80402010, v44
	v_cmp_ne_u16_sdwa s[20:21], v45, v35 src0_sel:BYTE_3 src1_sel:DWORD
	v_cmp_ne_u16_sdwa s[30:31], v45, v35 src0_sel:BYTE_1 src1_sel:DWORD
	v_lshrrev_b32_e32 v44, 22, v44
	v_lshrrev_b16_e32 v45, 4, v45
	v_cndmask_b32_e64 v48, 0, -1, s[30:31]
	v_cndmask_b32_e64 v50, 0, -1, s[20:21]
	v_bfe_i32 v45, v45, 0, 1
	v_lshlrev_b16_e32 v48, 8, v48
	v_bfe_i32 v44, v44, 0, 1
	v_lshlrev_b16_e32 v50, 8, v50
	v_or_b32_sdwa v49, v45, v48 dst_sel:DWORD dst_unused:UNUSED_PAD src0_sel:BYTE_0 src1_sel:DWORD
	v_or_b32_sdwa v51, v44, v50 dst_sel:WORD_1 dst_unused:UNUSED_PAD src0_sel:BYTE_0 src1_sel:DWORD
	v_or_b32_sdwa v49, v49, v51 dst_sel:DWORD dst_unused:UNUSED_PAD src0_sel:WORD_0 src1_sel:DWORD
	v_xor_b32_e32 v42, v42, v49
	v_and_b32_e32 v49, 0xffffff00, v42
	v_sub_i16 v48, v49, v48 clamp
	v_lshlrev_b16_e32 v49, 8, v42
	v_lshlrev_b16_e32 v45, 8, v45
	v_sub_i16 v45, v49, v45 clamp
	v_perm_b32 v45, v45, v48, s29
	v_and_b32_sdwa v48, v42, s28 dst_sel:DWORD dst_unused:UNUSED_PAD src0_sel:WORD_1 src1_sel:DWORD
	v_lshlrev_b16_sdwa v42, v39, v42 dst_sel:DWORD dst_unused:UNUSED_PAD src0_sel:DWORD src1_sel:WORD_1
	v_lshlrev_b16_e32 v44, 8, v44
	v_sub_i16 v48, v48, v50 clamp
	v_sub_i16 v42, v42, v44 clamp
	v_perm_b32 v42, v42, v48, s29
	v_dot4_i32_i8 v43, v41, v9, v43
	v_lshl_or_b32 v42, v42, 16, v45
	v_dot4_i32_i8 v45, v42, v2, v43
	v_lshlrev_b32_sdwa v43, v38, v46 dst_sel:DWORD dst_unused:UNUSED_PAD src0_sel:DWORD src1_sel:BYTE_2
	global_load_dwordx2 v[43:44], v43, s[16:17]
	v_bfe_u32 v48, v47, 14, 8
	v_bcnt_u32_b32 v49, v48, 0
	v_and_b32_e32 v49, 1, v49
	v_lshlrev_b32_e32 v49, 7, v49
	v_xor_b32_e32 v48, v49, v48
	v_mul_lo_u32 v48, v48, s23
	v_and_b32_e32 v49, 0x8040201, v48
	v_cmp_ne_u16_sdwa s[20:21], v49, v35 src0_sel:BYTE_3 src1_sel:DWORD
	v_cmp_ne_u16_sdwa s[30:31], v49, v35 src0_sel:BYTE_1 src1_sel:DWORD
	v_lshrrev_b32_e32 v50, 18, v48
	v_cndmask_b32_e64 v51, 0, -1, s[30:31]
	v_cndmask_b32_e64 v55, 0, -1, s[20:21]
	v_bfe_i32 v49, v48, 0, 1
	v_lshlrev_b16_e32 v51, 8, v51
	v_bfe_i32 v50, v50, 0, 1
	v_lshlrev_b16_e32 v55, 8, v55
	v_or_b32_sdwa v54, v49, v51 dst_sel:DWORD dst_unused:UNUSED_PAD src0_sel:BYTE_0 src1_sel:DWORD
	v_or_b32_sdwa v56, v50, v55 dst_sel:WORD_1 dst_unused:UNUSED_PAD src0_sel:BYTE_0 src1_sel:DWORD
	v_or_b32_sdwa v54, v54, v56 dst_sel:DWORD dst_unused:UNUSED_PAD src0_sel:WORD_0 src1_sel:DWORD
	v_lshlrev_b16_e32 v49, 8, v49
	v_lshlrev_b16_e32 v50, 8, v50
	s_waitcnt vmcnt(0)
	v_xor_b32_e32 v43, v43, v54
	v_and_b32_e32 v54, 0xffffff00, v43
	v_sub_i16 v51, v54, v51 clamp
	v_lshlrev_b16_e32 v54, 8, v43
	v_sub_i16 v49, v54, v49 clamp
	v_perm_b32 v49, v49, v51, s29
	v_and_b32_sdwa v51, v43, s28 dst_sel:DWORD dst_unused:UNUSED_PAD src0_sel:WORD_1 src1_sel:DWORD
	v_lshlrev_b16_sdwa v43, v39, v43 dst_sel:DWORD dst_unused:UNUSED_PAD src0_sel:DWORD src1_sel:WORD_1
	v_sub_i16 v51, v51, v55 clamp
	v_sub_i16 v43, v43, v50 clamp
	v_perm_b32 v43, v43, v51, s29
	v_lshl_or_b32 v43, v43, 16, v49
	v_and_b32_e32 v49, 0x80402010, v48
	v_cmp_ne_u16_sdwa s[20:21], v49, v35 src0_sel:BYTE_3 src1_sel:DWORD
	v_cmp_ne_u16_sdwa s[30:31], v49, v35 src0_sel:BYTE_1 src1_sel:DWORD
	v_lshrrev_b32_e32 v48, 22, v48
	v_lshrrev_b16_e32 v49, 4, v49
	v_cndmask_b32_e64 v50, 0, -1, s[30:31]
	v_cndmask_b32_e64 v54, 0, -1, s[20:21]
	v_bfe_i32 v49, v49, 0, 1
	v_lshlrev_b16_e32 v50, 8, v50
	v_bfe_i32 v48, v48, 0, 1
	v_lshlrev_b16_e32 v54, 8, v54
	v_or_b32_sdwa v51, v49, v50 dst_sel:DWORD dst_unused:UNUSED_PAD src0_sel:BYTE_0 src1_sel:DWORD
	v_or_b32_sdwa v55, v48, v54 dst_sel:WORD_1 dst_unused:UNUSED_PAD src0_sel:BYTE_0 src1_sel:DWORD
	v_or_b32_sdwa v51, v51, v55 dst_sel:DWORD dst_unused:UNUSED_PAD src0_sel:WORD_0 src1_sel:DWORD
	v_xor_b32_e32 v44, v44, v51
	v_and_b32_e32 v51, 0xffffff00, v44
	v_sub_i16 v50, v51, v50 clamp
	v_lshlrev_b16_e32 v51, 8, v44
	v_lshlrev_b16_e32 v49, 8, v49
	v_sub_i16 v49, v51, v49 clamp
	v_perm_b32 v49, v49, v50, s29
	v_and_b32_sdwa v50, v44, s28 dst_sel:DWORD dst_unused:UNUSED_PAD src0_sel:WORD_1 src1_sel:DWORD
	v_lshlrev_b16_sdwa v44, v39, v44 dst_sel:DWORD dst_unused:UNUSED_PAD src0_sel:DWORD src1_sel:WORD_1
	v_lshlrev_b16_e32 v48, 8, v48
	v_sub_i16 v50, v50, v54 clamp
	v_sub_i16 v44, v44, v48 clamp
	v_perm_b32 v44, v44, v50, s29
	v_dot4_i32_i8 v45, v43, v3, v45
	v_lshl_or_b32 v44, v44, 16, v49
	v_dot4_i32_i8 v48, v44, v4, v45
	v_lshlrev_b32_sdwa v45, v38, v46 dst_sel:DWORD dst_unused:UNUSED_PAD src0_sel:DWORD src1_sel:BYTE_3
	global_load_dwordx2 v[45:46], v45, s[16:17]
	v_bfe_u32 v49, v47, 21, 8
	v_bcnt_u32_b32 v50, v49, 0
	v_and_b32_e32 v50, 1, v50
	v_lshlrev_b32_e32 v50, 7, v50
	v_xor_b32_e32 v49, v50, v49
	v_mul_lo_u32 v49, v49, s23
	v_lshrrev_b32_e32 v47, 27, v47
	v_or_b32_e32 v47, 1, v47
	v_and_b32_e32 v50, 0x8040201, v49
	v_cmp_ne_u16_sdwa s[20:21], v50, v35 src0_sel:BYTE_3 src1_sel:DWORD
	v_cmp_ne_u16_sdwa s[30:31], v50, v35 src0_sel:BYTE_1 src1_sel:DWORD
	v_lshrrev_b32_e32 v51, 18, v49
	v_cndmask_b32_e64 v54, 0, -1, s[30:31]
	v_cndmask_b32_e64 v56, 0, -1, s[20:21]
	v_bfe_i32 v50, v49, 0, 1
	v_lshlrev_b16_e32 v54, 8, v54
	v_bfe_i32 v51, v51, 0, 1
	v_lshlrev_b16_e32 v56, 8, v56
	v_or_b32_sdwa v55, v50, v54 dst_sel:DWORD dst_unused:UNUSED_PAD src0_sel:BYTE_0 src1_sel:DWORD
	v_or_b32_sdwa v57, v51, v56 dst_sel:WORD_1 dst_unused:UNUSED_PAD src0_sel:BYTE_0 src1_sel:DWORD
	v_or_b32_sdwa v55, v55, v57 dst_sel:DWORD dst_unused:UNUSED_PAD src0_sel:WORD_0 src1_sel:DWORD
	v_lshlrev_b16_e32 v50, 8, v50
	v_lshlrev_b16_e32 v51, 8, v51
	s_waitcnt vmcnt(0)
	v_xor_b32_e32 v45, v45, v55
	v_and_b32_e32 v55, 0xffffff00, v45
	v_sub_i16 v54, v55, v54 clamp
	v_lshlrev_b16_e32 v55, 8, v45
	v_sub_i16 v50, v55, v50 clamp
	v_perm_b32 v50, v50, v54, s29
	v_and_b32_sdwa v54, v45, s28 dst_sel:DWORD dst_unused:UNUSED_PAD src0_sel:WORD_1 src1_sel:DWORD
	v_lshlrev_b16_sdwa v45, v39, v45 dst_sel:DWORD dst_unused:UNUSED_PAD src0_sel:DWORD src1_sel:WORD_1
	v_sub_i16 v54, v54, v56 clamp
	v_sub_i16 v45, v45, v51 clamp
	v_perm_b32 v45, v45, v54, s29
	v_lshl_or_b32 v45, v45, 16, v50
	v_and_b32_e32 v50, 0x80402010, v49
	v_cmp_ne_u16_sdwa s[20:21], v50, v35 src0_sel:BYTE_3 src1_sel:DWORD
	v_cmp_ne_u16_sdwa s[30:31], v50, v35 src0_sel:BYTE_1 src1_sel:DWORD
	v_lshrrev_b32_e32 v49, 22, v49
	v_lshrrev_b16_e32 v50, 4, v50
	v_cndmask_b32_e64 v51, 0, -1, s[30:31]
	v_cndmask_b32_e64 v55, 0, -1, s[20:21]
	v_bfe_i32 v50, v50, 0, 1
	v_lshlrev_b16_e32 v51, 8, v51
	v_bfe_i32 v49, v49, 0, 1
	v_lshlrev_b16_e32 v55, 8, v55
	v_or_b32_sdwa v54, v50, v51 dst_sel:DWORD dst_unused:UNUSED_PAD src0_sel:BYTE_0 src1_sel:DWORD
	v_or_b32_sdwa v56, v49, v55 dst_sel:WORD_1 dst_unused:UNUSED_PAD src0_sel:BYTE_0 src1_sel:DWORD
	v_or_b32_sdwa v54, v54, v56 dst_sel:DWORD dst_unused:UNUSED_PAD src0_sel:WORD_0 src1_sel:DWORD
	v_xor_b32_e32 v46, v46, v54
	v_and_b32_e32 v54, 0xffffff00, v46
	v_sub_i16 v51, v54, v51 clamp
	v_lshlrev_b16_e32 v54, 8, v46
	v_lshlrev_b16_e32 v50, 8, v50
	v_sub_i16 v50, v54, v50 clamp
	v_perm_b32 v50, v50, v51, s29
	v_and_b32_sdwa v51, v46, s28 dst_sel:DWORD dst_unused:UNUSED_PAD src0_sel:WORD_1 src1_sel:DWORD
	v_lshlrev_b16_sdwa v46, v39, v46 dst_sel:DWORD dst_unused:UNUSED_PAD src0_sel:DWORD src1_sel:WORD_1
	v_lshlrev_b16_e32 v49, 8, v49
	v_sub_i16 v51, v51, v55 clamp
	v_sub_i16 v46, v46, v49 clamp
	v_perm_b32 v46, v46, v51, s29
	v_dot4_i32_i8 v48, v45, v5, v48
	v_lshl_or_b32 v46, v46, 16, v50
	v_dot4_i32_i8 v48, v46, v53, v48
	v_mul_lo_u32 v48, v48, v47
	v_ashrrev_i32_e32 v49, 31, v48
	v_lshrrev_b32_e32 v49, 29, v49
	v_add_u32_e32 v48, v48, v49
	v_ashrrev_i32_e32 v49, 3, v48
	v_cvt_f32_f16_e32 v48, v16
	v_cvt_f32_i32_e32 v17, v49
	v_mul_f32_e32 v16, v48, v52
	v_fmac_f32_e32 v33, v16, v17
	v_add_u32_e32 v16, s0, v34
	v_mad_i64_i32 v[16:17], s[20:21], v16, s22, v[14:15]
	v_add_u32_e32 v34, 8, v34
	v_add_co_u32_e32 v49, vcc, v16, v37
	v_addc_co_u32_e32 v50, vcc, 0, v17, vcc
	global_load_dwordx2 v[54:55], v[49:50], off offset:2
	v_add_co_u32_e32 v12, vcc, 0x900, v12
	v_addc_co_u32_e32 v13, vcc, 0, v13, vcc
	v_cmp_le_u32_e32 vcc, s9, v34
	s_or_b64 s[12:13], vcc, s[12:13]
	s_waitcnt vmcnt(0)
	v_lshlrev_b32_sdwa v49, v38, v54 dst_sel:DWORD dst_unused:UNUSED_PAD src0_sel:DWORD src1_sel:BYTE_0
	global_load_dwordx2 v[49:50], v49, s[16:17]
	v_and_b32_e32 v51, 0xff, v55
	v_bcnt_u32_b32 v56, v51, 0
	v_and_b32_e32 v56, 1, v56
	v_lshlrev_b32_e32 v56, 7, v56
	v_xor_b32_e32 v51, v56, v51
	v_mul_lo_u32 v51, v51, s23
	v_and_b32_e32 v56, 0x8040201, v51
	v_cmp_ne_u16_sdwa s[20:21], v56, v35 src0_sel:BYTE_3 src1_sel:DWORD
	v_cmp_ne_u16_sdwa s[30:31], v56, v35 src0_sel:BYTE_1 src1_sel:DWORD
	v_lshrrev_b32_e32 v57, 18, v51
	v_cndmask_b32_e64 v58, 0, -1, s[30:31]
	v_cndmask_b32_e64 v60, 0, -1, s[20:21]
	v_bfe_i32 v56, v51, 0, 1
	v_lshlrev_b16_e32 v58, 8, v58
	v_bfe_i32 v57, v57, 0, 1
	v_lshlrev_b16_e32 v60, 8, v60
	v_or_b32_sdwa v59, v56, v58 dst_sel:DWORD dst_unused:UNUSED_PAD src0_sel:BYTE_0 src1_sel:DWORD
	v_or_b32_sdwa v61, v57, v60 dst_sel:WORD_1 dst_unused:UNUSED_PAD src0_sel:BYTE_0 src1_sel:DWORD
	v_or_b32_sdwa v59, v59, v61 dst_sel:DWORD dst_unused:UNUSED_PAD src0_sel:WORD_0 src1_sel:DWORD
	v_lshlrev_b16_e32 v56, 8, v56
	v_lshlrev_b16_e32 v57, 8, v57
	s_waitcnt vmcnt(0)
	v_xor_b32_e32 v49, v49, v59
	v_and_b32_e32 v59, 0xffffff00, v49
	v_sub_i16 v58, v59, v58 clamp
	v_lshlrev_b16_e32 v59, 8, v49
	v_sub_i16 v56, v59, v56 clamp
	v_perm_b32 v56, v56, v58, s29
	v_and_b32_sdwa v58, v49, s28 dst_sel:DWORD dst_unused:UNUSED_PAD src0_sel:WORD_1 src1_sel:DWORD
	v_lshlrev_b16_sdwa v49, v39, v49 dst_sel:DWORD dst_unused:UNUSED_PAD src0_sel:DWORD src1_sel:WORD_1
	v_sub_i16 v58, v58, v60 clamp
	v_sub_i16 v49, v49, v57 clamp
	v_perm_b32 v49, v49, v58, s29
	v_lshl_or_b32 v49, v49, 16, v56
	v_dot4_i32_i8 v56, v49, v7, 0
	v_and_b32_e32 v7, 0x80402010, v51
	v_cmp_ne_u16_sdwa s[20:21], v7, v35 src0_sel:BYTE_3 src1_sel:DWORD
	v_cmp_ne_u16_sdwa s[30:31], v7, v35 src0_sel:BYTE_1 src1_sel:DWORD
	v_lshrrev_b32_e32 v51, 22, v51
	v_lshrrev_b16_e32 v7, 4, v7
	v_cndmask_b32_e64 v57, 0, -1, s[30:31]
	v_cndmask_b32_e64 v59, 0, -1, s[20:21]
	v_bfe_i32 v7, v7, 0, 1
	v_lshlrev_b16_e32 v57, 8, v57
	v_bfe_i32 v51, v51, 0, 1
	v_lshlrev_b16_e32 v59, 8, v59
	v_or_b32_sdwa v58, v7, v57 dst_sel:DWORD dst_unused:UNUSED_PAD src0_sel:BYTE_0 src1_sel:DWORD
	v_or_b32_sdwa v60, v51, v59 dst_sel:WORD_1 dst_unused:UNUSED_PAD src0_sel:BYTE_0 src1_sel:DWORD
	v_or_b32_sdwa v58, v58, v60 dst_sel:DWORD dst_unused:UNUSED_PAD src0_sel:WORD_0 src1_sel:DWORD
	v_xor_b32_e32 v50, v50, v58
	v_and_b32_e32 v58, 0xffffff00, v50
	v_sub_i16 v57, v58, v57 clamp
	v_lshlrev_b16_e32 v58, 8, v50
	v_lshlrev_b16_e32 v7, 8, v7
	v_sub_i16 v7, v58, v7 clamp
	v_perm_b32 v7, v7, v57, s29
	v_and_b32_sdwa v57, v50, s28 dst_sel:DWORD dst_unused:UNUSED_PAD src0_sel:WORD_1 src1_sel:DWORD
	v_lshlrev_b16_sdwa v50, v39, v50 dst_sel:DWORD dst_unused:UNUSED_PAD src0_sel:DWORD src1_sel:WORD_1
	v_lshlrev_b16_e32 v51, 8, v51
	v_sub_i16 v57, v57, v59 clamp
	v_sub_i16 v50, v50, v51 clamp
	v_perm_b32 v50, v50, v57, s29
	v_lshl_or_b32 v7, v50, 16, v7
	v_dot4_i32_i8 v56, v7, v8, v56
	v_lshlrev_b32_sdwa v8, v38, v54 dst_sel:DWORD dst_unused:UNUSED_PAD src0_sel:DWORD src1_sel:BYTE_1
	global_load_dwordx2 v[50:51], v8, s[16:17]
	v_bfe_u32 v8, v55, 7, 8
	v_bcnt_u32_b32 v57, v8, 0
	v_and_b32_e32 v57, 1, v57
	v_lshlrev_b32_e32 v57, 7, v57
	v_xor_b32_e32 v8, v57, v8
	v_mul_lo_u32 v57, v8, s23
	v_and_b32_e32 v8, 0x8040201, v57
	v_cmp_ne_u16_sdwa s[20:21], v8, v35 src0_sel:BYTE_3 src1_sel:DWORD
	v_cmp_ne_u16_sdwa s[30:31], v8, v35 src0_sel:BYTE_1 src1_sel:DWORD
	v_lshrrev_b32_e32 v58, 18, v57
	v_cndmask_b32_e64 v59, 0, -1, s[30:31]
	v_cndmask_b32_e64 v61, 0, -1, s[20:21]
	v_bfe_i32 v8, v57, 0, 1
	v_lshlrev_b16_e32 v59, 8, v59
	v_bfe_i32 v58, v58, 0, 1
	v_lshlrev_b16_e32 v61, 8, v61
	v_or_b32_sdwa v60, v8, v59 dst_sel:DWORD dst_unused:UNUSED_PAD src0_sel:BYTE_0 src1_sel:DWORD
	v_or_b32_sdwa v62, v58, v61 dst_sel:WORD_1 dst_unused:UNUSED_PAD src0_sel:BYTE_0 src1_sel:DWORD
	v_or_b32_sdwa v60, v60, v62 dst_sel:DWORD dst_unused:UNUSED_PAD src0_sel:WORD_0 src1_sel:DWORD
	v_lshlrev_b16_e32 v8, 8, v8
	v_lshlrev_b16_e32 v58, 8, v58
	s_waitcnt vmcnt(0)
	v_xor_b32_e32 v50, v50, v60
	v_and_b32_e32 v60, 0xffffff00, v50
	v_sub_i16 v59, v60, v59 clamp
	v_lshlrev_b16_e32 v60, 8, v50
	v_sub_i16 v8, v60, v8 clamp
	v_perm_b32 v8, v8, v59, s29
	v_and_b32_sdwa v59, v50, s28 dst_sel:DWORD dst_unused:UNUSED_PAD src0_sel:WORD_1 src1_sel:DWORD
	v_lshlrev_b16_sdwa v50, v39, v50 dst_sel:DWORD dst_unused:UNUSED_PAD src0_sel:DWORD src1_sel:WORD_1
	v_sub_i16 v59, v59, v61 clamp
	v_sub_i16 v50, v50, v58 clamp
	v_perm_b32 v50, v50, v59, s29
	v_lshl_or_b32 v8, v50, 16, v8
	v_dot4_i32_i8 v50, v8, v9, v56
	v_and_b32_e32 v9, 0x80402010, v57
	v_cmp_ne_u16_sdwa s[20:21], v9, v35 src0_sel:BYTE_3 src1_sel:DWORD
	v_cmp_ne_u16_sdwa s[30:31], v9, v35 src0_sel:BYTE_1 src1_sel:DWORD
	v_lshrrev_b32_e32 v56, 22, v57
	v_lshrrev_b16_e32 v9, 4, v9
	v_cndmask_b32_e64 v57, 0, -1, s[30:31]
	v_cndmask_b32_e64 v59, 0, -1, s[20:21]
	v_bfe_i32 v9, v9, 0, 1
	v_lshlrev_b16_e32 v57, 8, v57
	v_bfe_i32 v56, v56, 0, 1
	v_lshlrev_b16_e32 v59, 8, v59
	v_or_b32_sdwa v58, v9, v57 dst_sel:DWORD dst_unused:UNUSED_PAD src0_sel:BYTE_0 src1_sel:DWORD
	v_or_b32_sdwa v60, v56, v59 dst_sel:WORD_1 dst_unused:UNUSED_PAD src0_sel:BYTE_0 src1_sel:DWORD
	v_or_b32_sdwa v58, v58, v60 dst_sel:DWORD dst_unused:UNUSED_PAD src0_sel:WORD_0 src1_sel:DWORD
	v_xor_b32_e32 v51, v51, v58
	v_and_b32_e32 v58, 0xffffff00, v51
	v_sub_i16 v57, v58, v57 clamp
	v_lshlrev_b16_e32 v58, 8, v51
	v_lshlrev_b16_e32 v9, 8, v9
	v_sub_i16 v9, v58, v9 clamp
	v_perm_b32 v9, v9, v57, s29
	v_and_b32_sdwa v57, v51, s28 dst_sel:DWORD dst_unused:UNUSED_PAD src0_sel:WORD_1 src1_sel:DWORD
	v_lshlrev_b16_sdwa v51, v39, v51 dst_sel:DWORD dst_unused:UNUSED_PAD src0_sel:DWORD src1_sel:WORD_1
	v_lshlrev_b16_e32 v56, 8, v56
	v_sub_i16 v57, v57, v59 clamp
	v_sub_i16 v51, v51, v56 clamp
	v_perm_b32 v51, v51, v57, s29
	v_lshl_or_b32 v9, v51, 16, v9
	v_dot4_i32_i8 v2, v9, v2, v50
	v_lshlrev_b32_sdwa v50, v38, v54 dst_sel:DWORD dst_unused:UNUSED_PAD src0_sel:DWORD src1_sel:BYTE_2
	global_load_dwordx2 v[50:51], v50, s[16:17]
	v_bfe_u32 v56, v55, 14, 8
	v_bcnt_u32_b32 v57, v56, 0
	v_and_b32_e32 v57, 1, v57
	v_lshlrev_b32_e32 v57, 7, v57
	v_xor_b32_e32 v56, v57, v56
	v_mul_lo_u32 v56, v56, s23
	v_and_b32_e32 v57, 0x8040201, v56
	v_cmp_ne_u16_sdwa s[20:21], v57, v35 src0_sel:BYTE_3 src1_sel:DWORD
	v_cmp_ne_u16_sdwa s[30:31], v57, v35 src0_sel:BYTE_1 src1_sel:DWORD
	v_lshrrev_b32_e32 v58, 18, v56
	v_cndmask_b32_e64 v59, 0, -1, s[30:31]
	v_cndmask_b32_e64 v61, 0, -1, s[20:21]
	v_bfe_i32 v57, v56, 0, 1
	v_lshlrev_b16_e32 v59, 8, v59
	v_bfe_i32 v58, v58, 0, 1
	v_lshlrev_b16_e32 v61, 8, v61
	v_or_b32_sdwa v60, v57, v59 dst_sel:DWORD dst_unused:UNUSED_PAD src0_sel:BYTE_0 src1_sel:DWORD
	v_or_b32_sdwa v62, v58, v61 dst_sel:WORD_1 dst_unused:UNUSED_PAD src0_sel:BYTE_0 src1_sel:DWORD
	v_or_b32_sdwa v60, v60, v62 dst_sel:DWORD dst_unused:UNUSED_PAD src0_sel:WORD_0 src1_sel:DWORD
	v_lshlrev_b16_e32 v57, 8, v57
	v_lshlrev_b16_e32 v58, 8, v58
	s_waitcnt vmcnt(0)
	v_xor_b32_e32 v50, v50, v60
	v_and_b32_e32 v60, 0xffffff00, v50
	v_sub_i16 v59, v60, v59 clamp
	v_lshlrev_b16_e32 v60, 8, v50
	v_sub_i16 v57, v60, v57 clamp
	v_perm_b32 v57, v57, v59, s29
	v_and_b32_sdwa v59, v50, s28 dst_sel:DWORD dst_unused:UNUSED_PAD src0_sel:WORD_1 src1_sel:DWORD
	v_lshlrev_b16_sdwa v50, v39, v50 dst_sel:DWORD dst_unused:UNUSED_PAD src0_sel:DWORD src1_sel:WORD_1
	v_sub_i16 v59, v59, v61 clamp
	v_sub_i16 v50, v50, v58 clamp
	v_perm_b32 v50, v50, v59, s29
	v_lshl_or_b32 v50, v50, 16, v57
	v_dot4_i32_i8 v2, v50, v3, v2
	v_and_b32_e32 v3, 0x80402010, v56
	v_cmp_ne_u16_sdwa s[20:21], v3, v35 src0_sel:BYTE_3 src1_sel:DWORD
	v_cmp_ne_u16_sdwa s[30:31], v3, v35 src0_sel:BYTE_1 src1_sel:DWORD
	v_lshrrev_b32_e32 v56, 22, v56
	v_lshrrev_b16_e32 v3, 4, v3
	v_cndmask_b32_e64 v57, 0, -1, s[30:31]
	v_cndmask_b32_e64 v59, 0, -1, s[20:21]
	v_bfe_i32 v3, v3, 0, 1
	v_lshlrev_b16_e32 v57, 8, v57
	v_bfe_i32 v56, v56, 0, 1
	v_lshlrev_b16_e32 v59, 8, v59
	v_or_b32_sdwa v58, v3, v57 dst_sel:DWORD dst_unused:UNUSED_PAD src0_sel:BYTE_0 src1_sel:DWORD
	v_or_b32_sdwa v60, v56, v59 dst_sel:WORD_1 dst_unused:UNUSED_PAD src0_sel:BYTE_0 src1_sel:DWORD
	v_or_b32_sdwa v58, v58, v60 dst_sel:DWORD dst_unused:UNUSED_PAD src0_sel:WORD_0 src1_sel:DWORD
	v_xor_b32_e32 v51, v51, v58
	v_and_b32_e32 v58, 0xffffff00, v51
	v_sub_i16 v57, v58, v57 clamp
	v_lshlrev_b16_e32 v58, 8, v51
	v_lshlrev_b16_e32 v3, 8, v3
	v_sub_i16 v3, v58, v3 clamp
	v_perm_b32 v3, v3, v57, s29
	v_and_b32_sdwa v57, v51, s28 dst_sel:DWORD dst_unused:UNUSED_PAD src0_sel:WORD_1 src1_sel:DWORD
	v_lshlrev_b16_sdwa v51, v39, v51 dst_sel:DWORD dst_unused:UNUSED_PAD src0_sel:DWORD src1_sel:WORD_1
	v_lshlrev_b16_e32 v56, 8, v56
	v_sub_i16 v57, v57, v59 clamp
	v_sub_i16 v51, v51, v56 clamp
	v_perm_b32 v51, v51, v57, s29
	v_lshl_or_b32 v51, v51, 16, v3
	v_dot4_i32_i8 v56, v51, v4, v2
	v_lshlrev_b32_sdwa v2, v38, v54 dst_sel:DWORD dst_unused:UNUSED_PAD src0_sel:DWORD src1_sel:BYTE_3
	global_load_dwordx2 v[2:3], v2, s[16:17]
	v_bfe_u32 v4, v55, 21, 8
	v_bcnt_u32_b32 v54, v4, 0
	v_and_b32_e32 v54, 1, v54
	v_lshlrev_b32_e32 v54, 7, v54
	v_xor_b32_e32 v4, v54, v4
	v_mul_lo_u32 v54, v4, s23
	v_and_b32_e32 v4, 0x8040201, v54
	v_cmp_ne_u16_sdwa s[16:17], v4, v35 src0_sel:BYTE_3 src1_sel:DWORD
	v_cmp_ne_u16_sdwa s[20:21], v4, v35 src0_sel:BYTE_1 src1_sel:DWORD
	v_lshrrev_b32_e32 v57, 18, v54
	v_cndmask_b32_e64 v58, 0, -1, s[20:21]
	v_cndmask_b32_e64 v60, 0, -1, s[16:17]
	v_bfe_i32 v4, v54, 0, 1
	v_lshlrev_b16_e32 v58, 8, v58
	v_bfe_i32 v57, v57, 0, 1
	v_lshlrev_b16_e32 v60, 8, v60
	v_or_b32_sdwa v59, v4, v58 dst_sel:DWORD dst_unused:UNUSED_PAD src0_sel:BYTE_0 src1_sel:DWORD
	v_or_b32_sdwa v61, v57, v60 dst_sel:WORD_1 dst_unused:UNUSED_PAD src0_sel:BYTE_0 src1_sel:DWORD
	v_or_b32_sdwa v59, v59, v61 dst_sel:DWORD dst_unused:UNUSED_PAD src0_sel:WORD_0 src1_sel:DWORD
	v_lshlrev_b16_e32 v4, 8, v4
	v_lshlrev_b16_e32 v57, 8, v57
	s_waitcnt vmcnt(0)
	v_xor_b32_e32 v2, v2, v59
	v_and_b32_e32 v59, 0xffffff00, v2
	v_sub_i16 v58, v59, v58 clamp
	v_lshlrev_b16_e32 v59, 8, v2
	v_sub_i16 v4, v59, v4 clamp
	v_perm_b32 v4, v4, v58, s29
	v_and_b32_sdwa v58, v2, s28 dst_sel:DWORD dst_unused:UNUSED_PAD src0_sel:WORD_1 src1_sel:DWORD
	v_lshlrev_b16_sdwa v2, v39, v2 dst_sel:DWORD dst_unused:UNUSED_PAD src0_sel:DWORD src1_sel:WORD_1
	v_sub_i16 v58, v58, v60 clamp
	v_sub_i16 v2, v2, v57 clamp
	v_perm_b32 v2, v2, v58, s29
	v_lshl_or_b32 v4, v2, 16, v4
	v_and_b32_e32 v2, 0x80402010, v54
	v_cmp_ne_u16_sdwa s[16:17], v2, v35 src0_sel:BYTE_3 src1_sel:DWORD
	v_cmp_ne_u16_sdwa s[20:21], v2, v35 src0_sel:BYTE_1 src1_sel:DWORD
	v_dot4_i32_i8 v5, v4, v5, v56
	v_lshrrev_b32_e32 v54, 22, v54
	v_lshrrev_b16_e32 v2, 4, v2
	v_cndmask_b32_e64 v56, 0, -1, s[20:21]
	v_cndmask_b32_e64 v58, 0, -1, s[16:17]
	v_bfe_i32 v2, v2, 0, 1
	v_lshlrev_b16_e32 v56, 8, v56
	v_bfe_i32 v54, v54, 0, 1
	v_lshlrev_b16_e32 v58, 8, v58
	v_or_b32_sdwa v57, v2, v56 dst_sel:DWORD dst_unused:UNUSED_PAD src0_sel:BYTE_0 src1_sel:DWORD
	v_or_b32_sdwa v59, v54, v58 dst_sel:WORD_1 dst_unused:UNUSED_PAD src0_sel:BYTE_0 src1_sel:DWORD
	v_or_b32_sdwa v57, v57, v59 dst_sel:DWORD dst_unused:UNUSED_PAD src0_sel:WORD_0 src1_sel:DWORD
	v_xor_b32_e32 v3, v3, v57
	v_and_b32_e32 v57, 0xffffff00, v3
	v_sub_i16 v56, v57, v56 clamp
	v_lshlrev_b16_e32 v57, 8, v3
	v_lshlrev_b16_e32 v2, 8, v2
	v_sub_i16 v2, v57, v2 clamp
	v_perm_b32 v2, v2, v56, s29
	v_and_b32_sdwa v56, v3, s28 dst_sel:DWORD dst_unused:UNUSED_PAD src0_sel:WORD_1 src1_sel:DWORD
	v_lshlrev_b16_sdwa v3, v39, v3 dst_sel:DWORD dst_unused:UNUSED_PAD src0_sel:DWORD src1_sel:WORD_1
	v_lshlrev_b16_e32 v54, 8, v54
	v_sub_i16 v56, v56, v58 clamp
	v_sub_i16 v3, v3, v54 clamp
	v_perm_b32 v3, v3, v56, s29
	v_lshl_or_b32 v2, v3, 16, v2
	v_lshrrev_b32_e32 v3, 27, v55
	v_dot4_i32_i8 v5, v2, v53, v5
	v_or_b32_e32 v3, 1, v3
	v_mul_lo_u32 v5, v5, v3
	v_ashrrev_i32_e32 v53, 31, v5
	v_lshrrev_b32_e32 v53, 29, v53
	v_add_u32_e32 v5, v5, v53
	v_ashrrev_i32_e32 v53, 3, v5
	global_load_ushort v5, v[16:17], off
	v_cvt_f32_i32_e32 v17, v53
	s_waitcnt vmcnt(0)
	v_cvt_f32_f16_e32 v5, v5
	v_mul_f32_e32 v16, v5, v52
	v_fmac_f32_e32 v32, v16, v17
	v_add_u32_e32 v16, s1, v36
	v_mad_u64_u32 v[16:17], s[16:17], v16, 36, v[10:11]
	global_load_dword v60, v[16:17], off offset:32
	global_load_dwordx4 v[52:55], v[16:17], off offset:16
	global_load_dwordx4 v[56:59], v[16:17], off
	s_waitcnt vmcnt(0)
	v_dot4_i32_i8 v17, v6, v57, 0
	v_dot4_i32_i8 v17, v40, v58, v17
	v_dot4_i32_i8 v17, v41, v59, v17
	v_dot4_i32_i8 v17, v42, v52, v17
	v_dot4_i32_i8 v17, v43, v53, v17
	v_dot4_i32_i8 v17, v44, v54, v17
	v_dot4_i32_i8 v17, v45, v55, v17
	v_dot4_i32_i8 v17, v46, v60, v17
	v_mul_lo_u32 v17, v17, v47
	v_cvt_f32_f16_e32 v16, v56
	v_ashrrev_i32_e32 v56, 31, v17
	v_lshrrev_b32_e32 v56, 29, v56
	v_add_u32_e32 v17, v17, v56
	v_ashrrev_i32_e32 v17, 3, v17
	v_cvt_f32_i32_e32 v17, v17
	v_mul_f32_e32 v56, v48, v16
	v_mul_f32_e32 v16, v5, v16
	v_fmac_f32_e32 v31, v56, v17
	v_dot4_i32_i8 v17, v49, v57, 0
	v_dot4_i32_i8 v17, v7, v58, v17
	v_dot4_i32_i8 v17, v8, v59, v17
	v_dot4_i32_i8 v17, v9, v52, v17
	v_dot4_i32_i8 v17, v50, v53, v17
	v_dot4_i32_i8 v17, v51, v54, v17
	v_dot4_i32_i8 v17, v4, v55, v17
	v_dot4_i32_i8 v17, v2, v60, v17
	v_mul_lo_u32 v17, v17, v3
	v_ashrrev_i32_e32 v52, 31, v17
	v_lshrrev_b32_e32 v52, 29, v52
	v_add_u32_e32 v17, v17, v52
	v_ashrrev_i32_e32 v17, 3, v17
	v_cvt_f32_i32_e32 v17, v17
	v_fmac_f32_e32 v30, v16, v17
	v_add_u32_e32 v16, s27, v36
	v_mad_u64_u32 v[16:17], s[16:17], v16, 36, v[10:11]
	global_load_dword v60, v[16:17], off offset:32
	global_load_dwordx4 v[52:55], v[16:17], off offset:16
	global_load_dwordx4 v[56:59], v[16:17], off
	s_waitcnt vmcnt(0)
	v_dot4_i32_i8 v17, v6, v57, 0
	v_dot4_i32_i8 v17, v40, v58, v17
	v_dot4_i32_i8 v17, v41, v59, v17
	v_dot4_i32_i8 v17, v42, v52, v17
	v_dot4_i32_i8 v17, v43, v53, v17
	v_dot4_i32_i8 v17, v44, v54, v17
	v_dot4_i32_i8 v17, v45, v55, v17
	v_dot4_i32_i8 v17, v46, v60, v17
	v_mul_lo_u32 v17, v17, v47
	v_cvt_f32_f16_e32 v16, v56
	v_ashrrev_i32_e32 v56, 31, v17
	v_lshrrev_b32_e32 v56, 29, v56
	v_add_u32_e32 v17, v17, v56
	v_ashrrev_i32_e32 v17, 3, v17
	v_cvt_f32_i32_e32 v17, v17
	v_mul_f32_e32 v56, v48, v16
	v_mul_f32_e32 v16, v5, v16
	v_fmac_f32_e32 v29, v56, v17
	v_dot4_i32_i8 v17, v49, v57, 0
	v_dot4_i32_i8 v17, v7, v58, v17
	v_dot4_i32_i8 v17, v8, v59, v17
	v_dot4_i32_i8 v17, v9, v52, v17
	v_dot4_i32_i8 v17, v50, v53, v17
	v_dot4_i32_i8 v17, v51, v54, v17
	v_dot4_i32_i8 v17, v4, v55, v17
	v_dot4_i32_i8 v17, v2, v60, v17
	v_mul_lo_u32 v17, v17, v3
	v_ashrrev_i32_e32 v52, 31, v17
	v_lshrrev_b32_e32 v52, 29, v52
	v_add_u32_e32 v17, v17, v52
	v_ashrrev_i32_e32 v17, 3, v17
	v_cvt_f32_i32_e32 v17, v17
	;; [unrolled: 39-line block ×6, first 2 shown]
	v_fmac_f32_e32 v20, v16, v17
	v_add_u32_e32 v16, s15, v36
	v_mad_u64_u32 v[16:17], s[16:17], v16, 36, v[10:11]
	global_load_dword v60, v[16:17], off offset:32
	global_load_dwordx4 v[52:55], v[16:17], off offset:16
	global_load_dwordx4 v[56:59], v[16:17], off
	v_add_u32_e32 v36, 64, v36
	s_waitcnt vmcnt(0)
	v_dot4_i32_i8 v6, v6, v57, 0
	v_dot4_i32_i8 v6, v40, v58, v6
	;; [unrolled: 1-line block ×8, first 2 shown]
	v_mul_lo_u32 v6, v6, v47
	v_cvt_f32_f16_e32 v16, v56
	v_ashrrev_i32_e32 v17, 31, v6
	v_lshrrev_b32_e32 v17, 29, v17
	v_add_u32_e32 v6, v6, v17
	v_ashrrev_i32_e32 v6, 3, v6
	v_cvt_f32_i32_e32 v6, v6
	v_mul_f32_e32 v17, v48, v16
	v_fmac_f32_e32 v19, v17, v6
	v_dot4_i32_i8 v6, v49, v57, 0
	v_dot4_i32_i8 v6, v7, v58, v6
	;; [unrolled: 1-line block ×8, first 2 shown]
	v_mul_lo_u32 v2, v2, v3
	v_ashrrev_i32_e32 v3, 31, v2
	v_lshrrev_b32_e32 v3, 29, v3
	v_add_u32_e32 v2, v2, v3
	v_ashrrev_i32_e32 v2, 3, v2
	v_cvt_f32_i32_e32 v2, v2
	v_mul_f32_e32 v3, v5, v16
	v_fmac_f32_e32 v18, v3, v2
	s_andn2_b64 exec, exec, s[12:13]
	s_cbranch_execnz .LBB167_2
; %bb.3:
	s_or_b64 exec, exec, s[12:13]
.LBB167_4:
	s_or_b64 exec, exec, s[10:11]
	s_mov_b32 s1, 0
	v_cmp_eq_u32_e32 vcc, 0, v1
	; wave barrier
	s_and_saveexec_b64 s[10:11], vcc
	s_cbranch_execz .LBB167_21
; %bb.5:
	v_mbcnt_lo_u32_b32 v1, -1, 0
	v_mbcnt_hi_u32_b32 v6, -1, v1
	v_and_b32_e32 v1, 64, v6
	v_add_u32_e32 v7, 64, v1
	v_xor_b32_e32 v1, 32, v6
	v_cmp_lt_i32_e32 vcc, v1, v7
	v_cndmask_b32_e32 v1, v6, v1, vcc
	v_lshlrev_b32_e32 v1, 2, v1
	ds_bpermute_b32 v5, v1, v33
	ds_bpermute_b32 v8, v1, v32
	v_xor_b32_e32 v2, 16, v6
	v_cmp_lt_i32_e32 vcc, v2, v7
	v_cndmask_b32_e32 v2, v6, v2, vcc
	v_lshlrev_b32_e32 v2, 2, v2
	s_waitcnt lgkmcnt(1)
	v_add_f32_e32 v5, v33, v5
	s_waitcnt lgkmcnt(0)
	v_add_f32_e32 v8, v32, v8
	ds_bpermute_b32 v10, v2, v5
	ds_bpermute_b32 v11, v2, v8
	v_xor_b32_e32 v3, 8, v6
	v_cmp_lt_i32_e32 vcc, v3, v7
	v_cndmask_b32_e32 v3, v6, v3, vcc
	v_lshlrev_b32_e32 v3, 2, v3
	s_waitcnt lgkmcnt(1)
	v_add_f32_e32 v10, v5, v10
	s_waitcnt lgkmcnt(0)
	v_add_f32_e32 v8, v8, v11
	;; [unrolled: 10-line block ×3, first 2 shown]
	ds_bpermute_b32 v12, v4, v10
	ds_bpermute_b32 v11, v4, v8
	v_xor_b32_e32 v9, 2, v6
	v_cmp_lt_i32_e32 vcc, v9, v7
	v_cndmask_b32_e32 v9, v6, v9, vcc
	v_lshlrev_b32_e32 v5, 2, v9
	v_xor_b32_e32 v9, 1, v6
	v_cmp_lt_i32_e32 vcc, v9, v7
	s_waitcnt lgkmcnt(1)
	v_add_f32_e32 v7, v10, v12
	s_waitcnt lgkmcnt(0)
	v_add_f32_e32 v10, v8, v11
	v_cndmask_b32_e32 v6, v6, v9, vcc
	ds_bpermute_b32 v9, v5, v7
	ds_bpermute_b32 v11, v5, v10
	s_load_dwordx2 s[4:5], s[4:5], 0x38
	s_mul_i32 s3, s14, s7
	v_lshlrev_b32_e32 v8, 2, v6
	s_waitcnt lgkmcnt(0)
	v_add_f32_e32 v6, v7, v9
	v_add_f32_e32 v9, v10, v11
	s_mul_i32 s0, s18, s8
	s_add_i32 s3, s3, s6
	ds_bpermute_b32 v7, v8, v6
	ds_bpermute_b32 v10, v8, v9
	s_add_i32 s0, s3, s0
	s_lshl_b64 s[0:1], s[0:1], 2
	s_add_u32 s4, s4, s0
	v_add_u32_e32 v11, s6, v0
	s_addc_u32 s5, s5, s1
	v_cmp_gt_u32_e32 vcc, 2, v0
	v_cmp_gt_u32_e64 s[0:1], s2, v11
	s_and_b64 s[0:1], vcc, s[0:1]
	s_waitcnt lgkmcnt(1)
	v_add_f32_e32 v6, v6, v7
	s_waitcnt lgkmcnt(0)
	v_add_f32_e32 v7, v9, v10
	s_and_saveexec_b64 s[6:7], s[0:1]
	s_cbranch_execz .LBB167_7
; %bb.6:
	v_cmp_eq_u32_e32 vcc, 1, v0
	v_cndmask_b32_e32 v9, v6, v7, vcc
	v_cmp_eq_u32_e32 vcc, 2, v0
	v_cndmask_b32_e32 v9, v9, v31, vcc
	v_cmp_eq_u32_e32 vcc, 3, v0
	v_cndmask_b32_e32 v9, v9, v30, vcc
	v_cmp_eq_u32_e32 vcc, 4, v0
	v_cndmask_b32_e32 v9, v9, v29, vcc
	v_cmp_eq_u32_e32 vcc, 5, v0
	v_cndmask_b32_e32 v9, v9, v28, vcc
	v_cmp_eq_u32_e32 vcc, 6, v0
	v_cndmask_b32_e32 v9, v9, v27, vcc
	v_cmp_eq_u32_e32 vcc, 7, v0
	v_cndmask_b32_e32 v9, v9, v26, vcc
	v_cmp_eq_u32_e32 vcc, 8, v0
	v_cndmask_b32_e32 v9, v9, v25, vcc
	v_cmp_eq_u32_e32 vcc, 9, v0
	v_cndmask_b32_e32 v9, v9, v24, vcc
	v_cmp_eq_u32_e32 vcc, 10, v0
	v_cndmask_b32_e32 v9, v9, v23, vcc
	v_cmp_eq_u32_e32 vcc, 11, v0
	v_cndmask_b32_e32 v9, v9, v22, vcc
	v_cmp_eq_u32_e32 vcc, 12, v0
	v_cndmask_b32_e32 v9, v9, v21, vcc
	v_cmp_eq_u32_e32 vcc, 13, v0
	v_cndmask_b32_e32 v9, v9, v20, vcc
	v_cmp_eq_u32_e32 vcc, 14, v0
	v_cndmask_b32_e32 v9, v9, v19, vcc
	v_cmp_eq_u32_e32 vcc, 15, v0
	v_cndmask_b32_e32 v9, v9, v18, vcc
	v_lshlrev_b32_e32 v10, 2, v0
	global_store_dword v10, v9, s[4:5]
.LBB167_7:
	s_or_b64 exec, exec, s[6:7]
	ds_bpermute_b32 v9, v1, v31
	ds_bpermute_b32 v10, v1, v30
	s_waitcnt lgkmcnt(1)
	v_add_f32_e32 v9, v31, v9
	s_waitcnt lgkmcnt(0)
	v_add_f32_e32 v10, v30, v10
	ds_bpermute_b32 v11, v2, v9
	ds_bpermute_b32 v12, v2, v10
	s_waitcnt lgkmcnt(1)
	v_add_f32_e32 v9, v9, v11
	s_waitcnt lgkmcnt(0)
	v_add_f32_e32 v10, v10, v12
	ds_bpermute_b32 v11, v3, v9
	ds_bpermute_b32 v12, v3, v10
	s_waitcnt lgkmcnt(1)
	v_add_f32_e32 v9, v9, v11
	s_waitcnt lgkmcnt(0)
	v_add_f32_e32 v10, v10, v12
	ds_bpermute_b32 v11, v4, v9
	ds_bpermute_b32 v12, v4, v10
	s_waitcnt lgkmcnt(1)
	v_add_f32_e32 v9, v9, v11
	s_waitcnt lgkmcnt(0)
	v_add_f32_e32 v10, v10, v12
	ds_bpermute_b32 v11, v5, v9
	ds_bpermute_b32 v12, v5, v10
	s_waitcnt lgkmcnt(1)
	v_add_f32_e32 v9, v9, v11
	s_waitcnt lgkmcnt(0)
	v_add_f32_e32 v11, v10, v12
	ds_bpermute_b32 v10, v8, v9
	ds_bpermute_b32 v12, v8, v11
	s_waitcnt lgkmcnt(1)
	v_add_f32_e32 v10, v9, v10
	s_waitcnt lgkmcnt(0)
	v_add_f32_e32 v9, v11, v12
	s_and_saveexec_b64 s[6:7], s[0:1]
	s_cbranch_execz .LBB167_9
; %bb.8:
	v_add_u32_e32 v11, 2, v0
	v_cmp_eq_u32_e32 vcc, 1, v11
	v_cndmask_b32_e32 v12, v6, v7, vcc
	v_cmp_eq_u32_e32 vcc, 2, v11
	v_cndmask_b32_e32 v12, v12, v10, vcc
	;; [unrolled: 2-line block ×15, first 2 shown]
	v_add_u32_e32 v11, s2, v0
	v_mov_b32_e32 v12, 0
	v_lshlrev_b64 v[11:12], 2, v[11:12]
	v_mov_b32_e32 v14, s5
	v_add_co_u32_e32 v11, vcc, s4, v11
	v_addc_co_u32_e32 v12, vcc, v14, v12, vcc
	global_store_dword v[11:12], v13, off
.LBB167_9:
	s_or_b64 exec, exec, s[6:7]
	ds_bpermute_b32 v11, v1, v29
	ds_bpermute_b32 v12, v1, v28
	s_waitcnt lgkmcnt(1)
	v_add_f32_e32 v11, v29, v11
	s_waitcnt lgkmcnt(0)
	v_add_f32_e32 v12, v28, v12
	ds_bpermute_b32 v13, v2, v11
	ds_bpermute_b32 v14, v2, v12
	s_waitcnt lgkmcnt(1)
	v_add_f32_e32 v11, v11, v13
	s_waitcnt lgkmcnt(0)
	v_add_f32_e32 v12, v12, v14
	;; [unrolled: 6-line block ×6, first 2 shown]
	s_and_saveexec_b64 s[6:7], s[0:1]
	s_cbranch_execz .LBB167_11
; %bb.10:
	v_add_u32_e32 v13, 4, v0
	v_cmp_eq_u32_e32 vcc, 1, v13
	v_cndmask_b32_e32 v14, v6, v7, vcc
	v_cmp_eq_u32_e32 vcc, 2, v13
	v_cndmask_b32_e32 v14, v14, v10, vcc
	;; [unrolled: 2-line block ×15, first 2 shown]
	v_lshl_or_b32 v13, s2, 1, v0
	v_mov_b32_e32 v14, 0
	v_lshlrev_b64 v[13:14], 2, v[13:14]
	v_mov_b32_e32 v16, s5
	v_add_co_u32_e32 v13, vcc, s4, v13
	v_addc_co_u32_e32 v14, vcc, v16, v14, vcc
	global_store_dword v[13:14], v15, off
.LBB167_11:
	s_or_b64 exec, exec, s[6:7]
	ds_bpermute_b32 v13, v1, v27
	ds_bpermute_b32 v14, v1, v26
	s_waitcnt lgkmcnt(1)
	v_add_f32_e32 v13, v27, v13
	s_waitcnt lgkmcnt(0)
	v_add_f32_e32 v14, v26, v14
	ds_bpermute_b32 v15, v2, v13
	ds_bpermute_b32 v16, v2, v14
	s_waitcnt lgkmcnt(1)
	v_add_f32_e32 v13, v13, v15
	s_waitcnt lgkmcnt(0)
	v_add_f32_e32 v14, v14, v16
	;; [unrolled: 6-line block ×6, first 2 shown]
	s_and_saveexec_b64 s[6:7], s[0:1]
	s_cbranch_execz .LBB167_13
; %bb.12:
	v_add_u32_e32 v17, 6, v0
	v_cmp_eq_u32_e32 vcc, 1, v17
	v_cndmask_b32_e32 v15, v6, v7, vcc
	v_cmp_eq_u32_e32 vcc, 2, v17
	v_cndmask_b32_e32 v15, v15, v10, vcc
	;; [unrolled: 2-line block ×14, first 2 shown]
	v_mad_u64_u32 v[15:16], s[8:9], s2, 3, v[0:1]
	v_mov_b32_e32 v16, 0
	v_cmp_eq_u32_e32 vcc, 15, v17
	v_lshlrev_b64 v[15:16], 2, v[15:16]
	v_cndmask_b32_e32 v17, v26, v18, vcc
	v_mov_b32_e32 v26, s5
	v_add_co_u32_e32 v15, vcc, s4, v15
	v_addc_co_u32_e32 v16, vcc, v26, v16, vcc
	global_store_dword v[15:16], v17, off
.LBB167_13:
	s_or_b64 exec, exec, s[6:7]
	ds_bpermute_b32 v15, v1, v25
	ds_bpermute_b32 v16, v1, v24
	s_waitcnt lgkmcnt(1)
	v_add_f32_e32 v15, v25, v15
	s_waitcnt lgkmcnt(0)
	v_add_f32_e32 v16, v24, v16
	ds_bpermute_b32 v17, v2, v15
	ds_bpermute_b32 v24, v2, v16
	s_waitcnt lgkmcnt(1)
	v_add_f32_e32 v15, v15, v17
	s_waitcnt lgkmcnt(0)
	v_add_f32_e32 v16, v16, v24
	;; [unrolled: 6-line block ×6, first 2 shown]
	s_and_saveexec_b64 s[6:7], s[0:1]
	s_cbranch_execz .LBB167_15
; %bb.14:
	v_add_u32_e32 v17, 8, v0
	v_cmp_eq_u32_e32 vcc, 1, v17
	v_cndmask_b32_e32 v24, v6, v7, vcc
	v_cmp_eq_u32_e32 vcc, 2, v17
	v_cndmask_b32_e32 v24, v24, v10, vcc
	;; [unrolled: 2-line block ×15, first 2 shown]
	v_lshl_or_b32 v24, s2, 2, v0
	v_mov_b32_e32 v25, 0
	v_lshlrev_b64 v[24:25], 2, v[24:25]
	v_mov_b32_e32 v26, s5
	v_add_co_u32_e32 v24, vcc, s4, v24
	v_addc_co_u32_e32 v25, vcc, v26, v25, vcc
	global_store_dword v[24:25], v17, off
.LBB167_15:
	s_or_b64 exec, exec, s[6:7]
	ds_bpermute_b32 v17, v1, v23
	ds_bpermute_b32 v24, v1, v22
	s_waitcnt lgkmcnt(1)
	v_add_f32_e32 v17, v23, v17
	s_waitcnt lgkmcnt(0)
	v_add_f32_e32 v22, v22, v24
	ds_bpermute_b32 v23, v2, v17
	ds_bpermute_b32 v24, v2, v22
	s_waitcnt lgkmcnt(1)
	v_add_f32_e32 v17, v17, v23
	s_waitcnt lgkmcnt(0)
	v_add_f32_e32 v22, v22, v24
	;; [unrolled: 6-line block ×6, first 2 shown]
	s_and_saveexec_b64 s[6:7], s[0:1]
	s_cbranch_execz .LBB167_17
; %bb.16:
	v_add_u32_e32 v25, 10, v0
	v_cmp_eq_u32_e32 vcc, 1, v25
	v_cndmask_b32_e32 v23, v6, v7, vcc
	v_cmp_eq_u32_e32 vcc, 2, v25
	v_cndmask_b32_e32 v23, v23, v10, vcc
	;; [unrolled: 2-line block ×14, first 2 shown]
	v_mad_u64_u32 v[23:24], s[8:9], s2, 5, v[0:1]
	v_mov_b32_e32 v24, 0
	v_cmp_eq_u32_e32 vcc, 15, v25
	v_lshlrev_b64 v[23:24], 2, v[23:24]
	v_cndmask_b32_e32 v25, v26, v18, vcc
	v_mov_b32_e32 v26, s5
	v_add_co_u32_e32 v23, vcc, s4, v23
	v_addc_co_u32_e32 v24, vcc, v26, v24, vcc
	global_store_dword v[23:24], v25, off
.LBB167_17:
	s_or_b64 exec, exec, s[6:7]
	ds_bpermute_b32 v23, v1, v21
	ds_bpermute_b32 v24, v1, v20
	s_waitcnt lgkmcnt(1)
	v_add_f32_e32 v21, v21, v23
	s_waitcnt lgkmcnt(0)
	v_add_f32_e32 v20, v20, v24
	ds_bpermute_b32 v23, v2, v21
	ds_bpermute_b32 v24, v2, v20
	s_waitcnt lgkmcnt(1)
	v_add_f32_e32 v21, v21, v23
	s_waitcnt lgkmcnt(0)
	v_add_f32_e32 v20, v20, v24
	;; [unrolled: 6-line block ×6, first 2 shown]
	s_and_saveexec_b64 s[6:7], s[0:1]
	s_cbranch_execz .LBB167_19
; %bb.18:
	v_add_u32_e32 v23, 12, v0
	v_cmp_eq_u32_e32 vcc, 1, v23
	v_cndmask_b32_e32 v24, v6, v7, vcc
	v_cmp_eq_u32_e32 vcc, 2, v23
	v_cndmask_b32_e32 v24, v24, v10, vcc
	;; [unrolled: 2-line block ×14, first 2 shown]
	v_cmp_eq_u32_e32 vcc, 15, v23
	s_mul_i32 s3, s2, 6
	v_cndmask_b32_e32 v25, v24, v18, vcc
	v_or_b32_e32 v23, s3, v0
	v_mov_b32_e32 v24, 0
	v_lshlrev_b64 v[23:24], 2, v[23:24]
	v_mov_b32_e32 v26, s5
	v_add_co_u32_e32 v23, vcc, s4, v23
	v_addc_co_u32_e32 v24, vcc, v26, v24, vcc
	global_store_dword v[23:24], v25, off
.LBB167_19:
	s_or_b64 exec, exec, s[6:7]
	ds_bpermute_b32 v23, v1, v19
	ds_bpermute_b32 v1, v1, v18
	s_waitcnt lgkmcnt(1)
	v_add_f32_e32 v19, v19, v23
	s_waitcnt lgkmcnt(0)
	v_add_f32_e32 v1, v18, v1
	ds_bpermute_b32 v18, v2, v19
	ds_bpermute_b32 v2, v2, v1
	s_waitcnt lgkmcnt(1)
	v_add_f32_e32 v18, v19, v18
	s_waitcnt lgkmcnt(0)
	v_add_f32_e32 v1, v1, v2
	;; [unrolled: 6-line block ×5, first 2 shown]
	ds_bpermute_b32 v3, v8, v1
	ds_bpermute_b32 v4, v8, v2
	s_and_b64 exec, exec, s[0:1]
	s_cbranch_execz .LBB167_21
; %bb.20:
	s_waitcnt lgkmcnt(1)
	v_add_f32_e32 v1, v1, v3
	v_add_u32_e32 v3, 14, v0
	v_cmp_eq_u32_e32 vcc, 1, v3
	s_waitcnt lgkmcnt(0)
	v_add_f32_e32 v2, v2, v4
	v_cndmask_b32_e32 v4, v6, v7, vcc
	v_cmp_eq_u32_e32 vcc, 2, v3
	v_cndmask_b32_e32 v4, v4, v10, vcc
	v_cmp_eq_u32_e32 vcc, 3, v3
	;; [unrolled: 2-line block ×13, first 2 shown]
	v_cndmask_b32_e32 v4, v4, v1, vcc
	v_mad_u64_u32 v[0:1], s[0:1], s2, 7, v[0:1]
	v_mov_b32_e32 v1, 0
	v_cmp_eq_u32_e32 vcc, 15, v3
	v_lshlrev_b64 v[0:1], 2, v[0:1]
	v_cndmask_b32_e32 v2, v4, v2, vcc
	v_mov_b32_e32 v3, s5
	v_add_co_u32_e32 v0, vcc, s4, v0
	v_addc_co_u32_e32 v1, vcc, v3, v1, vcc
	global_store_dword v[0:1], v2, off
.LBB167_21:
	s_endpgm
	.section	.rodata,"a",@progbits
	.p2align	6, 0x0
	.amdhsa_kernel _ZL13mul_mat_vec_qIL9ggml_type16ELi8ELb0ELb0EEvPKvS2_PKi31ggml_cuda_mm_fusion_args_devicePfj15HIP_vector_typeIjLj3EEjjjS8_jjjS8_jjjj
		.amdhsa_group_segment_fixed_size 0
		.amdhsa_private_segment_fixed_size 0
		.amdhsa_kernarg_size 144
		.amdhsa_user_sgpr_count 6
		.amdhsa_user_sgpr_private_segment_buffer 1
		.amdhsa_user_sgpr_dispatch_ptr 0
		.amdhsa_user_sgpr_queue_ptr 0
		.amdhsa_user_sgpr_kernarg_segment_ptr 1
		.amdhsa_user_sgpr_dispatch_id 0
		.amdhsa_user_sgpr_flat_scratch_init 0
		.amdhsa_user_sgpr_private_segment_size 0
		.amdhsa_uses_dynamic_stack 0
		.amdhsa_system_sgpr_private_segment_wavefront_offset 0
		.amdhsa_system_sgpr_workgroup_id_x 1
		.amdhsa_system_sgpr_workgroup_id_y 1
		.amdhsa_system_sgpr_workgroup_id_z 1
		.amdhsa_system_sgpr_workgroup_info 0
		.amdhsa_system_vgpr_workitem_id 1
		.amdhsa_next_free_vgpr 63
		.amdhsa_next_free_sgpr 32
		.amdhsa_reserve_vcc 1
		.amdhsa_reserve_flat_scratch 0
		.amdhsa_float_round_mode_32 0
		.amdhsa_float_round_mode_16_64 0
		.amdhsa_float_denorm_mode_32 3
		.amdhsa_float_denorm_mode_16_64 3
		.amdhsa_dx10_clamp 1
		.amdhsa_ieee_mode 1
		.amdhsa_fp16_overflow 0
		.amdhsa_exception_fp_ieee_invalid_op 0
		.amdhsa_exception_fp_denorm_src 0
		.amdhsa_exception_fp_ieee_div_zero 0
		.amdhsa_exception_fp_ieee_overflow 0
		.amdhsa_exception_fp_ieee_underflow 0
		.amdhsa_exception_fp_ieee_inexact 0
		.amdhsa_exception_int_div_zero 0
	.end_amdhsa_kernel
	.section	.text._ZL13mul_mat_vec_qIL9ggml_type16ELi8ELb0ELb0EEvPKvS2_PKi31ggml_cuda_mm_fusion_args_devicePfj15HIP_vector_typeIjLj3EEjjjS8_jjjS8_jjjj,"axG",@progbits,_ZL13mul_mat_vec_qIL9ggml_type16ELi8ELb0ELb0EEvPKvS2_PKi31ggml_cuda_mm_fusion_args_devicePfj15HIP_vector_typeIjLj3EEjjjS8_jjjS8_jjjj,comdat
.Lfunc_end167:
	.size	_ZL13mul_mat_vec_qIL9ggml_type16ELi8ELb0ELb0EEvPKvS2_PKi31ggml_cuda_mm_fusion_args_devicePfj15HIP_vector_typeIjLj3EEjjjS8_jjjS8_jjjj, .Lfunc_end167-_ZL13mul_mat_vec_qIL9ggml_type16ELi8ELb0ELb0EEvPKvS2_PKi31ggml_cuda_mm_fusion_args_devicePfj15HIP_vector_typeIjLj3EEjjjS8_jjjS8_jjjj
                                        ; -- End function
	.set _ZL13mul_mat_vec_qIL9ggml_type16ELi8ELb0ELb0EEvPKvS2_PKi31ggml_cuda_mm_fusion_args_devicePfj15HIP_vector_typeIjLj3EEjjjS8_jjjS8_jjjj.num_vgpr, 63
	.set _ZL13mul_mat_vec_qIL9ggml_type16ELi8ELb0ELb0EEvPKvS2_PKi31ggml_cuda_mm_fusion_args_devicePfj15HIP_vector_typeIjLj3EEjjjS8_jjjS8_jjjj.num_agpr, 0
	.set _ZL13mul_mat_vec_qIL9ggml_type16ELi8ELb0ELb0EEvPKvS2_PKi31ggml_cuda_mm_fusion_args_devicePfj15HIP_vector_typeIjLj3EEjjjS8_jjjS8_jjjj.numbered_sgpr, 32
	.set _ZL13mul_mat_vec_qIL9ggml_type16ELi8ELb0ELb0EEvPKvS2_PKi31ggml_cuda_mm_fusion_args_devicePfj15HIP_vector_typeIjLj3EEjjjS8_jjjS8_jjjj.num_named_barrier, 0
	.set _ZL13mul_mat_vec_qIL9ggml_type16ELi8ELb0ELb0EEvPKvS2_PKi31ggml_cuda_mm_fusion_args_devicePfj15HIP_vector_typeIjLj3EEjjjS8_jjjS8_jjjj.private_seg_size, 0
	.set _ZL13mul_mat_vec_qIL9ggml_type16ELi8ELb0ELb0EEvPKvS2_PKi31ggml_cuda_mm_fusion_args_devicePfj15HIP_vector_typeIjLj3EEjjjS8_jjjS8_jjjj.uses_vcc, 1
	.set _ZL13mul_mat_vec_qIL9ggml_type16ELi8ELb0ELb0EEvPKvS2_PKi31ggml_cuda_mm_fusion_args_devicePfj15HIP_vector_typeIjLj3EEjjjS8_jjjS8_jjjj.uses_flat_scratch, 0
	.set _ZL13mul_mat_vec_qIL9ggml_type16ELi8ELb0ELb0EEvPKvS2_PKi31ggml_cuda_mm_fusion_args_devicePfj15HIP_vector_typeIjLj3EEjjjS8_jjjS8_jjjj.has_dyn_sized_stack, 0
	.set _ZL13mul_mat_vec_qIL9ggml_type16ELi8ELb0ELb0EEvPKvS2_PKi31ggml_cuda_mm_fusion_args_devicePfj15HIP_vector_typeIjLj3EEjjjS8_jjjS8_jjjj.has_recursion, 0
	.set _ZL13mul_mat_vec_qIL9ggml_type16ELi8ELb0ELb0EEvPKvS2_PKi31ggml_cuda_mm_fusion_args_devicePfj15HIP_vector_typeIjLj3EEjjjS8_jjjS8_jjjj.has_indirect_call, 0
	.section	.AMDGPU.csdata,"",@progbits
; Kernel info:
; codeLenInByte = 9176
; TotalNumSgprs: 36
; NumVgprs: 63
; ScratchSize: 0
; MemoryBound: 0
; FloatMode: 240
; IeeeMode: 1
; LDSByteSize: 0 bytes/workgroup (compile time only)
; SGPRBlocks: 4
; VGPRBlocks: 15
; NumSGPRsForWavesPerEU: 36
; NumVGPRsForWavesPerEU: 63
; Occupancy: 4
; WaveLimiterHint : 0
; COMPUTE_PGM_RSRC2:SCRATCH_EN: 0
; COMPUTE_PGM_RSRC2:USER_SGPR: 6
; COMPUTE_PGM_RSRC2:TRAP_HANDLER: 0
; COMPUTE_PGM_RSRC2:TGID_X_EN: 1
; COMPUTE_PGM_RSRC2:TGID_Y_EN: 1
; COMPUTE_PGM_RSRC2:TGID_Z_EN: 1
; COMPUTE_PGM_RSRC2:TIDIG_COMP_CNT: 1
	.section	.text._ZL17mul_mat_vec_q_moeIL9ggml_type17ELi2EEvPKvS2_PKiPfj15HIP_vector_typeIjLj3EEjjjjjjjjj,"axG",@progbits,_ZL17mul_mat_vec_q_moeIL9ggml_type17ELi2EEvPKvS2_PKiPfj15HIP_vector_typeIjLj3EEjjjjjjjjj,comdat
	.globl	_ZL17mul_mat_vec_q_moeIL9ggml_type17ELi2EEvPKvS2_PKiPfj15HIP_vector_typeIjLj3EEjjjjjjjjj ; -- Begin function _ZL17mul_mat_vec_q_moeIL9ggml_type17ELi2EEvPKvS2_PKiPfj15HIP_vector_typeIjLj3EEjjjjjjjjj
	.p2align	8
	.type	_ZL17mul_mat_vec_q_moeIL9ggml_type17ELi2EEvPKvS2_PKiPfj15HIP_vector_typeIjLj3EEjjjjjjjjj,@function
_ZL17mul_mat_vec_q_moeIL9ggml_type17ELi2EEvPKvS2_PKiPfj15HIP_vector_typeIjLj3EEjjjjjjjjj: ; @_ZL17mul_mat_vec_q_moeIL9ggml_type17ELi2EEvPKvS2_PKiPfj15HIP_vector_typeIjLj3EEjjjjjjjjj
; %bb.0:
	s_load_dwordx8 s[8:15], s[4:5], 0x30
	s_waitcnt lgkmcnt(0)
	v_cmp_gt_u32_e32 vcc, s15, v1
	s_and_saveexec_b64 s[0:1], vcc
	s_cbranch_execz .LBB168_7
; %bb.1:
	s_load_dword s1, s[4:5], 0x20
	s_load_dword s0, s[4:5], 0x50
	s_load_dwordx8 s[16:23], s[4:5], 0x0
	v_lshrrev_b32_e32 v15, 3, v0
	s_lshl_b32 s6, s6, 1
	s_waitcnt lgkmcnt(0)
	s_lshr_b32 s15, s1, 8
	v_cmp_gt_u32_e32 vcc, s15, v15
	v_mov_b32_e32 v17, 0
	v_mov_b32_e32 v16, 0
	s_and_saveexec_b64 s[24:25], vcc
	s_cbranch_execz .LBB168_5
; %bb.2:
	v_mul_lo_u32 v2, s0, v1
	v_mov_b32_e32 v10, 0
	v_mov_b32_e32 v4, s21
	s_load_dwordx4 s[0:3], s[4:5], 0x24
	v_add_u32_e32 v9, s7, v2
	v_lshlrev_b64 v[2:3], 2, v[9:10]
	v_lshrrev_b32_e32 v6, 3, v0
	v_add_co_u32_e32 v2, vcc, s20, v2
	v_addc_co_u32_e32 v3, vcc, v4, v3, vcc
	global_load_dword v4, v[2:3], off
	v_mul_lo_u32 v2, s10, v1
	s_waitcnt lgkmcnt(0)
	s_mul_hi_u32 s0, s0, s7
	s_add_i32 s0, s7, s0
	s_movk_i32 s29, 0x120
	v_mad_u64_u32 v[2:3], s[26:27], v2, 36, 0
	s_lshr_b32 s0, s0, s1
	s_mul_i32 s2, s0, s2
	v_mad_u64_u32 v[2:3], s[0:1], v6, s29, v[2:3]
	s_sub_i32 s0, s7, s2
	s_mul_i32 s0, s0, s13
	v_mad_u64_u32 v[2:3], s[0:1], s0, 36, v[2:3]
	v_and_b32_e32 v18, 7, v0
	v_lshlrev_b32_e32 v5, 1, v0
	v_mad_u64_u32 v[2:3], s[0:1], v18, 36, v[2:3]
	v_mov_b32_e32 v7, s19
	s_add_i32 s28, s6, 1
	v_add_co_u32_e32 v2, vcc, s18, v2
	v_and_b32_e32 v5, 14, v5
	v_addc_co_u32_e32 v3, vcc, v7, v3, vcc
	s_mul_i32 s21, s6, s9
	s_mul_i32 s2, s9, s28
	v_lshlrev_b32_e32 v5, 1, v5
	v_add_co_u32_e32 v11, vcc, 32, v2
	s_mov_b64 s[4:5], 0
	s_movk_i32 s3, 0x4a
	s_mov_b32 s10, 0x1010101
	s_movk_i32 s19, 0xff00
	s_mov_b32 s20, 0xc0c0105
	v_mov_b32_e32 v19, 8
	v_mov_b32_e32 v16, 0
	v_lshlrev_b32_e32 v20, 1, v5
	v_addc_co_u32_e32 v12, vcc, 0, v3, vcc
	v_mov_b32_e32 v17, 0
	s_waitcnt vmcnt(0)
	v_mul_lo_u32 v4, v4, s12
	v_add_u32_e32 v21, s21, v4
	v_add_u32_e32 v22, s2, v4
.LBB168_3:                              ; =>This Inner Loop Header: Depth=1
	v_mov_b32_e32 v13, s16
	v_add_u32_e32 v24, v21, v15
	v_mov_b32_e32 v14, s17
	v_mad_i64_i32 v[24:25], s[0:1], v24, s3, v[13:14]
	global_load_dword v23, v[11:12], off
	global_load_dwordx4 v[2:5], v[11:12], off offset:-16
	global_load_dwordx4 v[6:9], v[11:12], off offset:-32
	s_getpc_b64 s[0:1]
	s_add_u32 s0, s0, _ZL10iq2xs_grid@rel32@lo+4
	s_addc_u32 s1, s1, _ZL10iq2xs_grid@rel32@hi+12
	v_add_co_u32_e32 v26, vcc, v24, v20
	v_addc_co_u32_e32 v27, vcc, 0, v25, vcc
	global_load_dwordx2 v[26:27], v[26:27], off offset:2
	v_add_co_u32_e32 v28, vcc, v24, v18
	v_addc_co_u32_e32 v29, vcc, 0, v25, vcc
	global_load_ubyte v30, v[28:29], off offset:66
	s_waitcnt vmcnt(2)
	v_cvt_f32_f16_e32 v6, v6
	global_load_ushort v24, v[24:25], off
	s_waitcnt vmcnt(2)
	v_and_b32_e32 v28, 0x1ff, v26
	v_lshlrev_b32_e32 v28, 3, v28
	global_load_dwordx2 v[28:29], v28, s[0:1]
	v_bfe_u32 v31, v26, 9, 7
	v_bcnt_u32_b32 v32, v31, 0
	v_and_b32_e32 v32, 1, v32
	v_lshl_or_b32 v31, v32, 7, v31
	v_mul_lo_u32 v31, v31, s10
	v_and_b32_e32 v32, 0x8040201, v31
	v_cmp_ne_u16_sdwa s[12:13], v32, v10 src0_sel:BYTE_3 src1_sel:DWORD
	v_cmp_ne_u16_sdwa s[26:27], v32, v10 src0_sel:BYTE_1 src1_sel:DWORD
	v_lshrrev_b32_e32 v33, 18, v31
	v_cndmask_b32_e64 v34, 0, -1, s[26:27]
	v_cndmask_b32_e64 v36, 0, -1, s[12:13]
	v_bfe_i32 v32, v31, 0, 1
	v_lshlrev_b16_e32 v34, 8, v34
	v_bfe_i32 v33, v33, 0, 1
	v_lshlrev_b16_e32 v36, 8, v36
	v_or_b32_sdwa v35, v32, v34 dst_sel:DWORD dst_unused:UNUSED_PAD src0_sel:BYTE_0 src1_sel:DWORD
	v_or_b32_sdwa v37, v33, v36 dst_sel:WORD_1 dst_unused:UNUSED_PAD src0_sel:BYTE_0 src1_sel:DWORD
	v_or_b32_sdwa v35, v35, v37 dst_sel:DWORD dst_unused:UNUSED_PAD src0_sel:WORD_0 src1_sel:DWORD
	v_lshlrev_b16_e32 v32, 8, v32
	v_lshlrev_b16_e32 v33, 8, v33
	s_waitcnt vmcnt(1)
	v_cvt_f32_f16_e32 v24, v24
	v_mul_f32_e32 v24, v24, v6
	s_waitcnt vmcnt(0)
	v_xor_b32_e32 v28, v28, v35
	v_and_b32_e32 v35, 0xffffff00, v28
	v_sub_i16 v34, v35, v34 clamp
	v_lshlrev_b16_e32 v35, 8, v28
	v_sub_i16 v32, v35, v32 clamp
	v_perm_b32 v32, v32, v34, s20
	v_and_b32_sdwa v34, v28, s19 dst_sel:DWORD dst_unused:UNUSED_PAD src0_sel:WORD_1 src1_sel:DWORD
	v_lshlrev_b16_sdwa v28, v19, v28 dst_sel:DWORD dst_unused:UNUSED_PAD src0_sel:DWORD src1_sel:WORD_1
	v_sub_i16 v34, v34, v36 clamp
	v_sub_i16 v28, v28, v33 clamp
	v_perm_b32 v28, v28, v34, s20
	v_lshl_or_b32 v28, v28, 16, v32
	v_and_b32_e32 v32, 0x80402010, v31
	v_cmp_ne_u16_sdwa s[12:13], v32, v10 src0_sel:BYTE_3 src1_sel:DWORD
	v_cmp_ne_u16_sdwa s[26:27], v32, v10 src0_sel:BYTE_1 src1_sel:DWORD
	v_lshrrev_b32_e32 v31, 22, v31
	v_lshrrev_b16_e32 v32, 4, v32
	v_cndmask_b32_e64 v33, 0, -1, s[26:27]
	v_cndmask_b32_e64 v35, 0, -1, s[12:13]
	v_bfe_i32 v32, v32, 0, 1
	v_lshlrev_b16_e32 v33, 8, v33
	v_bfe_i32 v31, v31, 0, 1
	v_lshlrev_b16_e32 v35, 8, v35
	v_or_b32_sdwa v34, v32, v33 dst_sel:DWORD dst_unused:UNUSED_PAD src0_sel:BYTE_0 src1_sel:DWORD
	v_or_b32_sdwa v36, v31, v35 dst_sel:WORD_1 dst_unused:UNUSED_PAD src0_sel:BYTE_0 src1_sel:DWORD
	v_or_b32_sdwa v34, v34, v36 dst_sel:DWORD dst_unused:UNUSED_PAD src0_sel:WORD_0 src1_sel:DWORD
	v_xor_b32_e32 v29, v29, v34
	v_and_b32_e32 v34, 0xffffff00, v29
	v_sub_i16 v33, v34, v33 clamp
	v_lshlrev_b16_e32 v34, 8, v29
	v_lshlrev_b16_e32 v32, 8, v32
	v_sub_i16 v32, v34, v32 clamp
	v_perm_b32 v32, v32, v33, s20
	v_and_b32_sdwa v33, v29, s19 dst_sel:DWORD dst_unused:UNUSED_PAD src0_sel:WORD_1 src1_sel:DWORD
	v_lshlrev_b16_sdwa v29, v19, v29 dst_sel:DWORD dst_unused:UNUSED_PAD src0_sel:DWORD src1_sel:WORD_1
	v_lshlrev_b16_e32 v31, 8, v31
	v_sub_i16 v33, v33, v35 clamp
	v_sub_i16 v29, v29, v31 clamp
	v_perm_b32 v29, v29, v33, s20
	v_lshl_or_b32 v29, v29, 16, v32
	v_dot4_i32_i8 v28, v28, v7, 0
	v_dot4_i32_i8 v31, v29, v8, v28
	v_lshrrev_b32_e32 v28, 13, v26
	v_and_b32_e32 v28, 0xff8, v28
	global_load_dwordx2 v[28:29], v28, s[0:1]
	v_lshrrev_b32_e32 v32, 25, v26
	v_bcnt_u32_b32 v32, v32, 0
	v_and_b32_e32 v32, 1, v32
	v_alignbit_b32 v26, v32, v26, 25
	v_mul_lo_u32 v26, v26, s10
	v_and_b32_e32 v32, 0x8040201, v26
	v_cmp_ne_u16_sdwa s[12:13], v32, v10 src0_sel:BYTE_3 src1_sel:DWORD
	v_cmp_ne_u16_sdwa s[26:27], v32, v10 src0_sel:BYTE_1 src1_sel:DWORD
	v_lshrrev_b32_e32 v33, 18, v26
	v_cndmask_b32_e64 v34, 0, -1, s[26:27]
	v_cndmask_b32_e64 v36, 0, -1, s[12:13]
	v_bfe_i32 v32, v26, 0, 1
	v_lshlrev_b16_e32 v34, 8, v34
	v_bfe_i32 v33, v33, 0, 1
	v_lshlrev_b16_e32 v36, 8, v36
	v_or_b32_sdwa v35, v32, v34 dst_sel:DWORD dst_unused:UNUSED_PAD src0_sel:BYTE_0 src1_sel:DWORD
	v_or_b32_sdwa v37, v33, v36 dst_sel:WORD_1 dst_unused:UNUSED_PAD src0_sel:BYTE_0 src1_sel:DWORD
	v_or_b32_sdwa v35, v35, v37 dst_sel:DWORD dst_unused:UNUSED_PAD src0_sel:WORD_0 src1_sel:DWORD
	v_lshlrev_b16_e32 v32, 8, v32
	v_lshlrev_b16_e32 v33, 8, v33
	s_waitcnt vmcnt(0)
	v_xor_b32_e32 v28, v28, v35
	v_and_b32_e32 v35, 0xffffff00, v28
	v_sub_i16 v34, v35, v34 clamp
	v_lshlrev_b16_e32 v35, 8, v28
	v_sub_i16 v32, v35, v32 clamp
	v_perm_b32 v32, v32, v34, s20
	v_and_b32_sdwa v34, v28, s19 dst_sel:DWORD dst_unused:UNUSED_PAD src0_sel:WORD_1 src1_sel:DWORD
	v_lshlrev_b16_sdwa v28, v19, v28 dst_sel:DWORD dst_unused:UNUSED_PAD src0_sel:DWORD src1_sel:WORD_1
	v_sub_i16 v34, v34, v36 clamp
	v_sub_i16 v28, v28, v33 clamp
	v_perm_b32 v28, v28, v34, s20
	v_lshl_or_b32 v28, v28, 16, v32
	v_and_b32_e32 v32, 0x80402010, v26
	v_cmp_ne_u16_sdwa s[12:13], v32, v10 src0_sel:BYTE_3 src1_sel:DWORD
	v_cmp_ne_u16_sdwa s[26:27], v32, v10 src0_sel:BYTE_1 src1_sel:DWORD
	v_lshrrev_b32_e32 v26, 22, v26
	v_lshrrev_b16_e32 v32, 4, v32
	v_cndmask_b32_e64 v33, 0, -1, s[26:27]
	v_cndmask_b32_e64 v35, 0, -1, s[12:13]
	v_bfe_i32 v32, v32, 0, 1
	v_lshlrev_b16_e32 v33, 8, v33
	v_bfe_i32 v26, v26, 0, 1
	v_lshlrev_b16_e32 v35, 8, v35
	v_or_b32_sdwa v34, v32, v33 dst_sel:DWORD dst_unused:UNUSED_PAD src0_sel:BYTE_0 src1_sel:DWORD
	v_or_b32_sdwa v36, v26, v35 dst_sel:WORD_1 dst_unused:UNUSED_PAD src0_sel:BYTE_0 src1_sel:DWORD
	v_or_b32_sdwa v34, v34, v36 dst_sel:DWORD dst_unused:UNUSED_PAD src0_sel:WORD_0 src1_sel:DWORD
	v_xor_b32_e32 v29, v29, v34
	v_and_b32_e32 v34, 0xffffff00, v29
	v_sub_i16 v33, v34, v33 clamp
	v_lshlrev_b16_e32 v34, 8, v29
	v_lshlrev_b16_e32 v32, 8, v32
	v_sub_i16 v32, v34, v32 clamp
	v_perm_b32 v32, v32, v33, s20
	v_and_b32_sdwa v33, v29, s19 dst_sel:DWORD dst_unused:UNUSED_PAD src0_sel:WORD_1 src1_sel:DWORD
	v_lshlrev_b16_sdwa v29, v19, v29 dst_sel:DWORD dst_unused:UNUSED_PAD src0_sel:DWORD src1_sel:WORD_1
	v_lshlrev_b16_e32 v26, 8, v26
	v_sub_i16 v33, v33, v35 clamp
	v_sub_i16 v26, v29, v26 clamp
	v_perm_b32 v26, v26, v33, s20
	v_lshl_or_b32 v26, v26, 16, v32
	v_dot4_i32_i8 v28, v28, v9, v31
	v_dot4_i32_i8 v26, v26, v2, v28
	v_and_b32_e32 v28, 0x1ff, v27
	v_lshlrev_b32_e32 v28, 3, v28
	global_load_dwordx2 v[28:29], v28, s[0:1]
	v_bfe_u32 v31, v27, 9, 7
	v_bcnt_u32_b32 v32, v31, 0
	v_and_b32_e32 v32, 1, v32
	v_lshl_or_b32 v31, v32, 7, v31
	v_mul_lo_u32 v31, v31, s10
	v_and_b32_e32 v32, 0x8040201, v31
	v_cmp_ne_u16_sdwa s[12:13], v32, v10 src0_sel:BYTE_3 src1_sel:DWORD
	v_cmp_ne_u16_sdwa s[26:27], v32, v10 src0_sel:BYTE_1 src1_sel:DWORD
	v_lshrrev_b32_e32 v33, 18, v31
	v_cndmask_b32_e64 v34, 0, -1, s[26:27]
	v_cndmask_b32_e64 v36, 0, -1, s[12:13]
	v_bfe_i32 v32, v31, 0, 1
	v_lshlrev_b16_e32 v34, 8, v34
	v_bfe_i32 v33, v33, 0, 1
	v_lshlrev_b16_e32 v36, 8, v36
	v_or_b32_sdwa v35, v32, v34 dst_sel:DWORD dst_unused:UNUSED_PAD src0_sel:BYTE_0 src1_sel:DWORD
	v_or_b32_sdwa v37, v33, v36 dst_sel:WORD_1 dst_unused:UNUSED_PAD src0_sel:BYTE_0 src1_sel:DWORD
	v_or_b32_sdwa v35, v35, v37 dst_sel:DWORD dst_unused:UNUSED_PAD src0_sel:WORD_0 src1_sel:DWORD
	v_lshlrev_b16_e32 v32, 8, v32
	v_lshlrev_b16_e32 v33, 8, v33
	s_waitcnt vmcnt(0)
	v_xor_b32_e32 v28, v28, v35
	v_and_b32_e32 v35, 0xffffff00, v28
	v_sub_i16 v34, v35, v34 clamp
	v_lshlrev_b16_e32 v35, 8, v28
	v_sub_i16 v32, v35, v32 clamp
	v_perm_b32 v32, v32, v34, s20
	v_and_b32_sdwa v34, v28, s19 dst_sel:DWORD dst_unused:UNUSED_PAD src0_sel:WORD_1 src1_sel:DWORD
	v_lshlrev_b16_sdwa v28, v19, v28 dst_sel:DWORD dst_unused:UNUSED_PAD src0_sel:DWORD src1_sel:WORD_1
	v_sub_i16 v34, v34, v36 clamp
	v_sub_i16 v28, v28, v33 clamp
	v_perm_b32 v28, v28, v34, s20
	v_lshl_or_b32 v28, v28, 16, v32
	v_and_b32_e32 v32, 0x80402010, v31
	v_cmp_ne_u16_sdwa s[12:13], v32, v10 src0_sel:BYTE_3 src1_sel:DWORD
	v_cmp_ne_u16_sdwa s[26:27], v32, v10 src0_sel:BYTE_1 src1_sel:DWORD
	v_lshrrev_b32_e32 v31, 22, v31
	v_lshrrev_b16_e32 v32, 4, v32
	v_cndmask_b32_e64 v33, 0, -1, s[26:27]
	v_cndmask_b32_e64 v35, 0, -1, s[12:13]
	v_bfe_i32 v32, v32, 0, 1
	v_lshlrev_b16_e32 v33, 8, v33
	v_bfe_i32 v31, v31, 0, 1
	v_lshlrev_b16_e32 v35, 8, v35
	v_or_b32_sdwa v34, v32, v33 dst_sel:DWORD dst_unused:UNUSED_PAD src0_sel:BYTE_0 src1_sel:DWORD
	v_or_b32_sdwa v36, v31, v35 dst_sel:WORD_1 dst_unused:UNUSED_PAD src0_sel:BYTE_0 src1_sel:DWORD
	v_or_b32_sdwa v34, v34, v36 dst_sel:DWORD dst_unused:UNUSED_PAD src0_sel:WORD_0 src1_sel:DWORD
	v_xor_b32_e32 v29, v29, v34
	v_and_b32_e32 v34, 0xffffff00, v29
	v_sub_i16 v33, v34, v33 clamp
	v_lshlrev_b16_e32 v34, 8, v29
	v_lshlrev_b16_e32 v32, 8, v32
	v_sub_i16 v32, v34, v32 clamp
	v_perm_b32 v32, v32, v33, s20
	v_and_b32_sdwa v33, v29, s19 dst_sel:DWORD dst_unused:UNUSED_PAD src0_sel:WORD_1 src1_sel:DWORD
	v_lshlrev_b16_sdwa v29, v19, v29 dst_sel:DWORD dst_unused:UNUSED_PAD src0_sel:DWORD src1_sel:WORD_1
	v_lshlrev_b16_e32 v31, 8, v31
	v_sub_i16 v33, v33, v35 clamp
	v_sub_i16 v29, v29, v31 clamp
	v_perm_b32 v29, v29, v33, s20
	v_lshl_or_b32 v29, v29, 16, v32
	v_dot4_i32_i8 v28, v28, v3, 0
	v_dot4_i32_i8 v31, v29, v4, v28
	v_lshrrev_b32_e32 v28, 13, v27
	v_and_b32_e32 v28, 0xff8, v28
	global_load_dwordx2 v[28:29], v28, s[0:1]
	v_lshrrev_b32_e32 v32, 25, v27
	v_bcnt_u32_b32 v32, v32, 0
	v_and_b32_e32 v32, 1, v32
	v_alignbit_b32 v27, v32, v27, 25
	v_mul_lo_u32 v27, v27, s10
	v_and_b32_e32 v32, 0x8040201, v27
	v_cmp_ne_u16_sdwa s[12:13], v32, v10 src0_sel:BYTE_3 src1_sel:DWORD
	v_cmp_ne_u16_sdwa s[26:27], v32, v10 src0_sel:BYTE_1 src1_sel:DWORD
	v_lshrrev_b32_e32 v33, 18, v27
	v_cndmask_b32_e64 v34, 0, -1, s[26:27]
	v_cndmask_b32_e64 v36, 0, -1, s[12:13]
	v_bfe_i32 v32, v27, 0, 1
	v_lshlrev_b16_e32 v34, 8, v34
	v_bfe_i32 v33, v33, 0, 1
	v_lshlrev_b16_e32 v36, 8, v36
	v_or_b32_sdwa v35, v32, v34 dst_sel:DWORD dst_unused:UNUSED_PAD src0_sel:BYTE_0 src1_sel:DWORD
	v_or_b32_sdwa v37, v33, v36 dst_sel:WORD_1 dst_unused:UNUSED_PAD src0_sel:BYTE_0 src1_sel:DWORD
	v_or_b32_sdwa v35, v35, v37 dst_sel:DWORD dst_unused:UNUSED_PAD src0_sel:WORD_0 src1_sel:DWORD
	v_lshlrev_b16_e32 v32, 8, v32
	v_lshlrev_b16_e32 v33, 8, v33
	s_waitcnt vmcnt(0)
	v_xor_b32_e32 v28, v28, v35
	v_and_b32_e32 v35, 0xffffff00, v28
	v_sub_i16 v34, v35, v34 clamp
	v_lshlrev_b16_e32 v35, 8, v28
	v_sub_i16 v32, v35, v32 clamp
	v_perm_b32 v32, v32, v34, s20
	v_and_b32_sdwa v34, v28, s19 dst_sel:DWORD dst_unused:UNUSED_PAD src0_sel:WORD_1 src1_sel:DWORD
	v_lshlrev_b16_sdwa v28, v19, v28 dst_sel:DWORD dst_unused:UNUSED_PAD src0_sel:DWORD src1_sel:WORD_1
	v_sub_i16 v34, v34, v36 clamp
	v_sub_i16 v28, v28, v33 clamp
	v_perm_b32 v28, v28, v34, s20
	v_lshl_or_b32 v28, v28, 16, v32
	v_and_b32_e32 v32, 0x80402010, v27
	v_cmp_ne_u16_sdwa s[12:13], v32, v10 src0_sel:BYTE_3 src1_sel:DWORD
	v_cmp_ne_u16_sdwa s[26:27], v32, v10 src0_sel:BYTE_1 src1_sel:DWORD
	v_lshrrev_b32_e32 v27, 22, v27
	v_lshrrev_b16_e32 v32, 4, v32
	v_cndmask_b32_e64 v33, 0, -1, s[26:27]
	v_cndmask_b32_e64 v35, 0, -1, s[12:13]
	v_bfe_i32 v32, v32, 0, 1
	v_lshlrev_b16_e32 v33, 8, v33
	v_bfe_i32 v27, v27, 0, 1
	v_lshlrev_b16_e32 v35, 8, v35
	v_or_b32_sdwa v34, v32, v33 dst_sel:DWORD dst_unused:UNUSED_PAD src0_sel:BYTE_0 src1_sel:DWORD
	v_or_b32_sdwa v36, v27, v35 dst_sel:WORD_1 dst_unused:UNUSED_PAD src0_sel:BYTE_0 src1_sel:DWORD
	v_or_b32_sdwa v34, v34, v36 dst_sel:DWORD dst_unused:UNUSED_PAD src0_sel:WORD_0 src1_sel:DWORD
	v_xor_b32_e32 v29, v29, v34
	v_and_b32_e32 v34, 0xffffff00, v29
	v_sub_i16 v33, v34, v33 clamp
	v_lshlrev_b16_e32 v34, 8, v29
	v_lshlrev_b16_e32 v32, 8, v32
	v_sub_i16 v32, v34, v32 clamp
	v_perm_b32 v32, v32, v33, s20
	v_and_b32_sdwa v33, v29, s19 dst_sel:DWORD dst_unused:UNUSED_PAD src0_sel:WORD_1 src1_sel:DWORD
	v_lshlrev_b16_sdwa v29, v19, v29 dst_sel:DWORD dst_unused:UNUSED_PAD src0_sel:DWORD src1_sel:WORD_1
	v_lshlrev_b16_e32 v27, 8, v27
	v_sub_i16 v33, v33, v35 clamp
	v_sub_i16 v27, v29, v27 clamp
	v_perm_b32 v27, v27, v33, s20
	v_lshl_or_b32 v27, v27, 16, v32
	v_dot4_i32_i8 v28, v28, v5, v31
	v_dot4_i32_i8 v27, v27, v23, v28
	v_lshrrev_b32_e32 v28, 4, v30
	v_and_b32_e32 v29, 15, v30
	v_mul_lo_u32 v29, v26, v29
	v_mul_lo_u32 v28, v27, v28
	v_add_u32_e32 v26, v27, v26
	v_lshrrev_b32_e32 v27, 31, v26
	v_add_u32_e32 v26, v26, v27
	v_ashrrev_i32_e32 v26, 1, v26
	v_add3_u32 v26, v28, v29, v26
	v_ashrrev_i32_e32 v27, 31, v26
	v_lshrrev_b32_e32 v27, 30, v27
	v_add_u32_e32 v26, v26, v27
	v_ashrrev_i32_e32 v26, 2, v26
	v_cvt_f32_i32_e32 v25, v26
	v_fmac_f32_e32 v16, v24, v25
	v_add_u32_e32 v24, v22, v15
	v_mad_i64_i32 v[13:14], s[12:13], v24, s3, v[13:14]
	v_add_u32_e32 v15, 8, v15
	v_add_co_u32_e32 v24, vcc, v13, v20
	v_addc_co_u32_e32 v25, vcc, 0, v14, vcc
	global_load_dwordx2 v[24:25], v[24:25], off offset:2
	v_add_co_u32_e32 v26, vcc, v13, v18
	v_addc_co_u32_e32 v27, vcc, 0, v14, vcc
	global_load_ubyte v28, v[26:27], off offset:66
	v_add_co_u32_e32 v11, vcc, 0x900, v11
	v_addc_co_u32_e32 v12, vcc, 0, v12, vcc
	v_cmp_le_u32_e32 vcc, s15, v15
	s_or_b64 s[4:5], vcc, s[4:5]
	s_waitcnt vmcnt(1)
	v_and_b32_e32 v26, 0x1ff, v24
	v_lshlrev_b32_e32 v26, 3, v26
	global_load_dwordx2 v[26:27], v26, s[0:1]
	v_bfe_u32 v29, v24, 9, 7
	v_bcnt_u32_b32 v30, v29, 0
	v_and_b32_e32 v30, 1, v30
	v_lshl_or_b32 v29, v30, 7, v29
	v_mul_lo_u32 v29, v29, s10
	v_and_b32_e32 v30, 0x8040201, v29
	v_cmp_ne_u16_sdwa s[12:13], v30, v10 src0_sel:BYTE_3 src1_sel:DWORD
	v_cmp_ne_u16_sdwa s[26:27], v30, v10 src0_sel:BYTE_1 src1_sel:DWORD
	v_lshrrev_b32_e32 v31, 18, v29
	v_cndmask_b32_e64 v32, 0, -1, s[26:27]
	v_cndmask_b32_e64 v34, 0, -1, s[12:13]
	v_bfe_i32 v30, v29, 0, 1
	v_lshlrev_b16_e32 v32, 8, v32
	v_bfe_i32 v31, v31, 0, 1
	v_lshlrev_b16_e32 v34, 8, v34
	v_or_b32_sdwa v33, v30, v32 dst_sel:DWORD dst_unused:UNUSED_PAD src0_sel:BYTE_0 src1_sel:DWORD
	v_or_b32_sdwa v35, v31, v34 dst_sel:WORD_1 dst_unused:UNUSED_PAD src0_sel:BYTE_0 src1_sel:DWORD
	v_or_b32_sdwa v33, v33, v35 dst_sel:DWORD dst_unused:UNUSED_PAD src0_sel:WORD_0 src1_sel:DWORD
	v_lshlrev_b16_e32 v30, 8, v30
	v_lshlrev_b16_e32 v31, 8, v31
	s_waitcnt vmcnt(0)
	v_xor_b32_e32 v26, v26, v33
	v_and_b32_e32 v33, 0xffffff00, v26
	v_sub_i16 v32, v33, v32 clamp
	v_lshlrev_b16_e32 v33, 8, v26
	v_sub_i16 v30, v33, v30 clamp
	v_perm_b32 v30, v30, v32, s20
	v_and_b32_sdwa v32, v26, s19 dst_sel:DWORD dst_unused:UNUSED_PAD src0_sel:WORD_1 src1_sel:DWORD
	v_lshlrev_b16_sdwa v26, v19, v26 dst_sel:DWORD dst_unused:UNUSED_PAD src0_sel:DWORD src1_sel:WORD_1
	v_sub_i16 v32, v32, v34 clamp
	v_sub_i16 v26, v26, v31 clamp
	v_perm_b32 v26, v26, v32, s20
	v_lshl_or_b32 v26, v26, 16, v30
	v_and_b32_e32 v30, 0x80402010, v29
	v_cmp_ne_u16_sdwa s[12:13], v30, v10 src0_sel:BYTE_3 src1_sel:DWORD
	v_cmp_ne_u16_sdwa s[26:27], v30, v10 src0_sel:BYTE_1 src1_sel:DWORD
	v_lshrrev_b32_e32 v29, 22, v29
	v_lshrrev_b16_e32 v30, 4, v30
	v_cndmask_b32_e64 v31, 0, -1, s[26:27]
	v_cndmask_b32_e64 v33, 0, -1, s[12:13]
	v_bfe_i32 v30, v30, 0, 1
	v_lshlrev_b16_e32 v31, 8, v31
	v_bfe_i32 v29, v29, 0, 1
	v_lshlrev_b16_e32 v33, 8, v33
	v_or_b32_sdwa v32, v30, v31 dst_sel:DWORD dst_unused:UNUSED_PAD src0_sel:BYTE_0 src1_sel:DWORD
	v_or_b32_sdwa v34, v29, v33 dst_sel:WORD_1 dst_unused:UNUSED_PAD src0_sel:BYTE_0 src1_sel:DWORD
	v_or_b32_sdwa v32, v32, v34 dst_sel:DWORD dst_unused:UNUSED_PAD src0_sel:WORD_0 src1_sel:DWORD
	v_xor_b32_e32 v27, v27, v32
	v_and_b32_e32 v32, 0xffffff00, v27
	v_sub_i16 v31, v32, v31 clamp
	v_lshlrev_b16_e32 v32, 8, v27
	v_lshlrev_b16_e32 v30, 8, v30
	v_sub_i16 v30, v32, v30 clamp
	v_perm_b32 v30, v30, v31, s20
	v_and_b32_sdwa v31, v27, s19 dst_sel:DWORD dst_unused:UNUSED_PAD src0_sel:WORD_1 src1_sel:DWORD
	v_lshlrev_b16_sdwa v27, v19, v27 dst_sel:DWORD dst_unused:UNUSED_PAD src0_sel:DWORD src1_sel:WORD_1
	v_lshlrev_b16_e32 v29, 8, v29
	v_sub_i16 v31, v31, v33 clamp
	v_sub_i16 v27, v27, v29 clamp
	v_perm_b32 v27, v27, v31, s20
	v_lshl_or_b32 v27, v27, 16, v30
	v_dot4_i32_i8 v7, v26, v7, 0
	v_dot4_i32_i8 v26, v27, v8, v7
	v_lshrrev_b32_e32 v7, 13, v24
	v_and_b32_e32 v7, 0xff8, v7
	global_load_dwordx2 v[7:8], v7, s[0:1]
	v_lshrrev_b32_e32 v27, 25, v24
	v_bcnt_u32_b32 v27, v27, 0
	v_and_b32_e32 v27, 1, v27
	v_alignbit_b32 v24, v27, v24, 25
	v_mul_lo_u32 v24, v24, s10
	v_and_b32_e32 v27, 0x8040201, v24
	v_cmp_ne_u16_sdwa s[12:13], v27, v10 src0_sel:BYTE_3 src1_sel:DWORD
	v_cmp_ne_u16_sdwa s[26:27], v27, v10 src0_sel:BYTE_1 src1_sel:DWORD
	v_lshrrev_b32_e32 v29, 18, v24
	v_cndmask_b32_e64 v30, 0, -1, s[26:27]
	v_cndmask_b32_e64 v32, 0, -1, s[12:13]
	v_bfe_i32 v27, v24, 0, 1
	v_lshlrev_b16_e32 v30, 8, v30
	v_bfe_i32 v29, v29, 0, 1
	v_lshlrev_b16_e32 v32, 8, v32
	v_or_b32_sdwa v31, v27, v30 dst_sel:DWORD dst_unused:UNUSED_PAD src0_sel:BYTE_0 src1_sel:DWORD
	v_or_b32_sdwa v33, v29, v32 dst_sel:WORD_1 dst_unused:UNUSED_PAD src0_sel:BYTE_0 src1_sel:DWORD
	v_or_b32_sdwa v31, v31, v33 dst_sel:DWORD dst_unused:UNUSED_PAD src0_sel:WORD_0 src1_sel:DWORD
	v_lshlrev_b16_e32 v27, 8, v27
	v_lshlrev_b16_e32 v29, 8, v29
	s_waitcnt vmcnt(0)
	v_xor_b32_e32 v7, v7, v31
	v_and_b32_e32 v31, 0xffffff00, v7
	v_sub_i16 v30, v31, v30 clamp
	v_lshlrev_b16_e32 v31, 8, v7
	v_sub_i16 v27, v31, v27 clamp
	v_perm_b32 v27, v27, v30, s20
	v_and_b32_sdwa v30, v7, s19 dst_sel:DWORD dst_unused:UNUSED_PAD src0_sel:WORD_1 src1_sel:DWORD
	v_lshlrev_b16_sdwa v7, v19, v7 dst_sel:DWORD dst_unused:UNUSED_PAD src0_sel:DWORD src1_sel:WORD_1
	v_sub_i16 v30, v30, v32 clamp
	v_sub_i16 v7, v7, v29 clamp
	v_perm_b32 v7, v7, v30, s20
	v_lshl_or_b32 v7, v7, 16, v27
	v_and_b32_e32 v27, 0x80402010, v24
	v_cmp_ne_u16_sdwa s[12:13], v27, v10 src0_sel:BYTE_3 src1_sel:DWORD
	v_cmp_ne_u16_sdwa s[26:27], v27, v10 src0_sel:BYTE_1 src1_sel:DWORD
	v_lshrrev_b32_e32 v24, 22, v24
	v_lshrrev_b16_e32 v27, 4, v27
	v_cndmask_b32_e64 v29, 0, -1, s[26:27]
	v_cndmask_b32_e64 v31, 0, -1, s[12:13]
	v_bfe_i32 v27, v27, 0, 1
	v_lshlrev_b16_e32 v29, 8, v29
	v_bfe_i32 v24, v24, 0, 1
	v_lshlrev_b16_e32 v31, 8, v31
	v_or_b32_sdwa v30, v27, v29 dst_sel:DWORD dst_unused:UNUSED_PAD src0_sel:BYTE_0 src1_sel:DWORD
	v_or_b32_sdwa v32, v24, v31 dst_sel:WORD_1 dst_unused:UNUSED_PAD src0_sel:BYTE_0 src1_sel:DWORD
	v_or_b32_sdwa v30, v30, v32 dst_sel:DWORD dst_unused:UNUSED_PAD src0_sel:WORD_0 src1_sel:DWORD
	v_xor_b32_e32 v8, v8, v30
	v_and_b32_e32 v30, 0xffffff00, v8
	v_sub_i16 v29, v30, v29 clamp
	v_lshlrev_b16_e32 v30, 8, v8
	v_lshlrev_b16_e32 v27, 8, v27
	v_sub_i16 v27, v30, v27 clamp
	v_perm_b32 v27, v27, v29, s20
	v_and_b32_sdwa v29, v8, s19 dst_sel:DWORD dst_unused:UNUSED_PAD src0_sel:WORD_1 src1_sel:DWORD
	v_lshlrev_b16_sdwa v8, v19, v8 dst_sel:DWORD dst_unused:UNUSED_PAD src0_sel:DWORD src1_sel:WORD_1
	v_lshlrev_b16_e32 v24, 8, v24
	v_sub_i16 v29, v29, v31 clamp
	v_sub_i16 v8, v8, v24 clamp
	v_perm_b32 v8, v8, v29, s20
	v_lshl_or_b32 v8, v8, 16, v27
	v_dot4_i32_i8 v7, v7, v9, v26
	v_dot4_i32_i8 v9, v8, v2, v7
	v_and_b32_e32 v2, 0x1ff, v25
	v_lshlrev_b32_e32 v2, 3, v2
	global_load_dwordx2 v[7:8], v2, s[0:1]
	v_bfe_u32 v2, v25, 9, 7
	v_bcnt_u32_b32 v24, v2, 0
	v_and_b32_e32 v24, 1, v24
	v_lshl_or_b32 v2, v24, 7, v2
	v_mul_lo_u32 v2, v2, s10
	v_and_b32_e32 v24, 0x8040201, v2
	v_cmp_ne_u16_sdwa s[12:13], v24, v10 src0_sel:BYTE_3 src1_sel:DWORD
	v_cmp_ne_u16_sdwa s[26:27], v24, v10 src0_sel:BYTE_1 src1_sel:DWORD
	v_lshrrev_b32_e32 v26, 18, v2
	v_cndmask_b32_e64 v27, 0, -1, s[26:27]
	v_cndmask_b32_e64 v30, 0, -1, s[12:13]
	v_bfe_i32 v24, v2, 0, 1
	v_lshlrev_b16_e32 v27, 8, v27
	v_bfe_i32 v26, v26, 0, 1
	v_lshlrev_b16_e32 v30, 8, v30
	v_or_b32_sdwa v29, v24, v27 dst_sel:DWORD dst_unused:UNUSED_PAD src0_sel:BYTE_0 src1_sel:DWORD
	v_or_b32_sdwa v31, v26, v30 dst_sel:WORD_1 dst_unused:UNUSED_PAD src0_sel:BYTE_0 src1_sel:DWORD
	v_or_b32_sdwa v29, v29, v31 dst_sel:DWORD dst_unused:UNUSED_PAD src0_sel:WORD_0 src1_sel:DWORD
	v_lshlrev_b16_e32 v24, 8, v24
	v_lshlrev_b16_e32 v26, 8, v26
	s_waitcnt vmcnt(0)
	v_xor_b32_e32 v7, v7, v29
	v_and_b32_e32 v29, 0xffffff00, v7
	v_sub_i16 v27, v29, v27 clamp
	v_lshlrev_b16_e32 v29, 8, v7
	v_sub_i16 v24, v29, v24 clamp
	v_perm_b32 v24, v24, v27, s20
	v_and_b32_sdwa v27, v7, s19 dst_sel:DWORD dst_unused:UNUSED_PAD src0_sel:WORD_1 src1_sel:DWORD
	v_lshlrev_b16_sdwa v7, v19, v7 dst_sel:DWORD dst_unused:UNUSED_PAD src0_sel:DWORD src1_sel:WORD_1
	v_sub_i16 v27, v27, v30 clamp
	v_sub_i16 v7, v7, v26 clamp
	v_perm_b32 v7, v7, v27, s20
	v_lshl_or_b32 v7, v7, 16, v24
	v_and_b32_e32 v24, 0x80402010, v2
	v_cmp_ne_u16_sdwa s[12:13], v24, v10 src0_sel:BYTE_3 src1_sel:DWORD
	v_cmp_ne_u16_sdwa s[26:27], v24, v10 src0_sel:BYTE_1 src1_sel:DWORD
	v_lshrrev_b32_e32 v2, 22, v2
	v_lshrrev_b16_e32 v24, 4, v24
	v_cndmask_b32_e64 v26, 0, -1, s[26:27]
	v_cndmask_b32_e64 v29, 0, -1, s[12:13]
	v_bfe_i32 v24, v24, 0, 1
	v_lshlrev_b16_e32 v26, 8, v26
	v_bfe_i32 v2, v2, 0, 1
	v_lshlrev_b16_e32 v29, 8, v29
	v_or_b32_sdwa v27, v24, v26 dst_sel:DWORD dst_unused:UNUSED_PAD src0_sel:BYTE_0 src1_sel:DWORD
	v_or_b32_sdwa v30, v2, v29 dst_sel:WORD_1 dst_unused:UNUSED_PAD src0_sel:BYTE_0 src1_sel:DWORD
	v_or_b32_sdwa v27, v27, v30 dst_sel:DWORD dst_unused:UNUSED_PAD src0_sel:WORD_0 src1_sel:DWORD
	v_xor_b32_e32 v8, v8, v27
	v_and_b32_e32 v27, 0xffffff00, v8
	v_sub_i16 v26, v27, v26 clamp
	v_lshlrev_b16_e32 v27, 8, v8
	v_lshlrev_b16_e32 v24, 8, v24
	v_sub_i16 v24, v27, v24 clamp
	v_perm_b32 v24, v24, v26, s20
	v_and_b32_sdwa v26, v8, s19 dst_sel:DWORD dst_unused:UNUSED_PAD src0_sel:WORD_1 src1_sel:DWORD
	v_lshlrev_b16_sdwa v8, v19, v8 dst_sel:DWORD dst_unused:UNUSED_PAD src0_sel:DWORD src1_sel:WORD_1
	v_lshlrev_b16_e32 v2, 8, v2
	v_sub_i16 v26, v26, v29 clamp
	v_sub_i16 v2, v8, v2 clamp
	v_perm_b32 v2, v2, v26, s20
	v_lshl_or_b32 v2, v2, 16, v24
	v_dot4_i32_i8 v3, v7, v3, 0
	v_dot4_i32_i8 v4, v2, v4, v3
	v_lshrrev_b32_e32 v2, 13, v25
	v_and_b32_e32 v2, 0xff8, v2
	global_load_dwordx2 v[2:3], v2, s[0:1]
	v_lshrrev_b32_e32 v7, 25, v25
	v_bcnt_u32_b32 v7, v7, 0
	v_and_b32_e32 v7, 1, v7
	v_alignbit_b32 v7, v7, v25, 25
	v_mul_lo_u32 v7, v7, s10
	v_and_b32_e32 v8, 0x8040201, v7
	v_cmp_ne_u16_sdwa s[0:1], v8, v10 src0_sel:BYTE_3 src1_sel:DWORD
	v_cmp_ne_u16_sdwa s[12:13], v8, v10 src0_sel:BYTE_1 src1_sel:DWORD
	v_lshrrev_b32_e32 v24, 18, v7
	v_cndmask_b32_e64 v25, 0, -1, s[12:13]
	v_cndmask_b32_e64 v27, 0, -1, s[0:1]
	v_bfe_i32 v8, v7, 0, 1
	v_lshlrev_b16_e32 v25, 8, v25
	v_bfe_i32 v24, v24, 0, 1
	v_lshlrev_b16_e32 v27, 8, v27
	v_or_b32_sdwa v26, v8, v25 dst_sel:DWORD dst_unused:UNUSED_PAD src0_sel:BYTE_0 src1_sel:DWORD
	v_or_b32_sdwa v29, v24, v27 dst_sel:WORD_1 dst_unused:UNUSED_PAD src0_sel:BYTE_0 src1_sel:DWORD
	v_or_b32_sdwa v26, v26, v29 dst_sel:DWORD dst_unused:UNUSED_PAD src0_sel:WORD_0 src1_sel:DWORD
	v_lshlrev_b16_e32 v8, 8, v8
	v_lshlrev_b16_e32 v24, 8, v24
	s_waitcnt vmcnt(0)
	v_xor_b32_e32 v2, v2, v26
	v_and_b32_e32 v26, 0xffffff00, v2
	v_sub_i16 v25, v26, v25 clamp
	v_lshlrev_b16_e32 v26, 8, v2
	v_sub_i16 v8, v26, v8 clamp
	v_perm_b32 v8, v8, v25, s20
	v_and_b32_sdwa v25, v2, s19 dst_sel:DWORD dst_unused:UNUSED_PAD src0_sel:WORD_1 src1_sel:DWORD
	v_lshlrev_b16_sdwa v2, v19, v2 dst_sel:DWORD dst_unused:UNUSED_PAD src0_sel:DWORD src1_sel:WORD_1
	v_sub_i16 v25, v25, v27 clamp
	v_sub_i16 v2, v2, v24 clamp
	v_perm_b32 v2, v2, v25, s20
	v_lshl_or_b32 v2, v2, 16, v8
	v_and_b32_e32 v8, 0x80402010, v7
	v_cmp_ne_u16_sdwa s[0:1], v8, v10 src0_sel:BYTE_3 src1_sel:DWORD
	v_cmp_ne_u16_sdwa s[12:13], v8, v10 src0_sel:BYTE_1 src1_sel:DWORD
	v_lshrrev_b32_e32 v7, 22, v7
	v_lshrrev_b16_e32 v8, 4, v8
	v_cndmask_b32_e64 v24, 0, -1, s[12:13]
	v_cndmask_b32_e64 v26, 0, -1, s[0:1]
	v_bfe_i32 v8, v8, 0, 1
	v_lshlrev_b16_e32 v24, 8, v24
	v_bfe_i32 v7, v7, 0, 1
	v_lshlrev_b16_e32 v26, 8, v26
	v_or_b32_sdwa v25, v8, v24 dst_sel:DWORD dst_unused:UNUSED_PAD src0_sel:BYTE_0 src1_sel:DWORD
	v_or_b32_sdwa v27, v7, v26 dst_sel:WORD_1 dst_unused:UNUSED_PAD src0_sel:BYTE_0 src1_sel:DWORD
	v_or_b32_sdwa v25, v25, v27 dst_sel:DWORD dst_unused:UNUSED_PAD src0_sel:WORD_0 src1_sel:DWORD
	v_xor_b32_e32 v3, v3, v25
	v_and_b32_e32 v25, 0xffffff00, v3
	v_sub_i16 v24, v25, v24 clamp
	v_lshlrev_b16_e32 v25, 8, v3
	v_lshlrev_b16_e32 v8, 8, v8
	v_sub_i16 v8, v25, v8 clamp
	v_perm_b32 v8, v8, v24, s20
	v_and_b32_sdwa v24, v3, s19 dst_sel:DWORD dst_unused:UNUSED_PAD src0_sel:WORD_1 src1_sel:DWORD
	v_lshlrev_b16_sdwa v3, v19, v3 dst_sel:DWORD dst_unused:UNUSED_PAD src0_sel:DWORD src1_sel:WORD_1
	v_lshlrev_b16_e32 v7, 8, v7
	v_sub_i16 v24, v24, v26 clamp
	v_sub_i16 v3, v3, v7 clamp
	v_perm_b32 v3, v3, v24, s20
	v_lshl_or_b32 v3, v3, 16, v8
	v_dot4_i32_i8 v2, v2, v5, v4
	v_dot4_i32_i8 v2, v3, v23, v2
	v_lshrrev_b32_e32 v3, 4, v28
	v_and_b32_e32 v4, 15, v28
	v_mul_lo_u32 v4, v9, v4
	v_mul_lo_u32 v3, v2, v3
	v_add_u32_e32 v2, v2, v9
	v_lshrrev_b32_e32 v5, 31, v2
	v_add_u32_e32 v2, v2, v5
	v_ashrrev_i32_e32 v2, 1, v2
	v_add3_u32 v2, v3, v4, v2
	v_ashrrev_i32_e32 v3, 31, v2
	v_lshrrev_b32_e32 v3, 30, v3
	v_add_u32_e32 v2, v2, v3
	global_load_ushort v3, v[13:14], off
	v_ashrrev_i32_e32 v2, 2, v2
	v_cvt_f32_i32_e32 v2, v2
	s_waitcnt vmcnt(0)
	v_cvt_f32_f16_e32 v3, v3
	v_mul_f32_e32 v3, v3, v6
	v_fmac_f32_e32 v17, v3, v2
	s_andn2_b64 exec, exec, s[4:5]
	s_cbranch_execnz .LBB168_3
; %bb.4:
	s_or_b64 exec, exec, s[4:5]
.LBB168_5:
	s_or_b64 exec, exec, s[24:25]
	v_mbcnt_lo_u32_b32 v2, -1, 0
	v_mbcnt_hi_u32_b32 v2, -1, v2
	v_and_b32_e32 v3, 64, v2
	v_add_u32_e32 v3, 64, v3
	v_xor_b32_e32 v4, 32, v2
	v_cmp_lt_i32_e32 vcc, v4, v3
	v_cndmask_b32_e32 v4, v2, v4, vcc
	v_lshlrev_b32_e32 v4, 2, v4
	ds_bpermute_b32 v7, v4, v16
	ds_bpermute_b32 v4, v4, v17
	v_xor_b32_e32 v5, 16, v2
	v_cmp_lt_i32_e32 vcc, v5, v3
	v_cndmask_b32_e32 v5, v2, v5, vcc
	v_lshlrev_b32_e32 v5, 2, v5
	s_waitcnt lgkmcnt(1)
	v_add_f32_e32 v7, v16, v7
	s_waitcnt lgkmcnt(0)
	v_add_f32_e32 v4, v17, v4
	ds_bpermute_b32 v9, v5, v7
	ds_bpermute_b32 v5, v5, v4
	v_xor_b32_e32 v6, 8, v2
	v_cmp_lt_i32_e32 vcc, v6, v3
	v_cndmask_b32_e32 v6, v2, v6, vcc
	v_lshlrev_b32_e32 v6, 2, v6
	s_waitcnt lgkmcnt(1)
	v_add_f32_e32 v7, v7, v9
	s_waitcnt lgkmcnt(0)
	v_add_f32_e32 v4, v4, v5
	;; [unrolled: 10-line block ×5, first 2 shown]
	ds_bpermute_b32 v3, v6, v2
	ds_bpermute_b32 v5, v6, v4
	v_add_u32_e32 v6, s6, v0
	v_cmp_gt_u32_e32 vcc, 2, v0
	v_cmp_gt_u32_e64 s[0:1], s8, v6
	s_and_b64 s[0:1], vcc, s[0:1]
	s_and_b64 exec, exec, s[0:1]
	s_cbranch_execz .LBB168_7
; %bb.6:
	v_mul_lo_u32 v1, s11, v1
	v_cmp_eq_u32_e32 vcc, 1, v0
	s_mul_i32 s0, s14, s7
	v_or_b32_e32 v0, s6, v0
	v_add3_u32 v0, v0, v1, s0
	v_mov_b32_e32 v1, 0
	v_lshlrev_b64 v[0:1], 2, v[0:1]
	s_waitcnt lgkmcnt(1)
	v_add_f32_e32 v2, v2, v3
	s_waitcnt lgkmcnt(0)
	v_add_f32_e32 v3, v4, v5
	v_cndmask_b32_e32 v2, v2, v3, vcc
	v_mov_b32_e32 v3, s23
	v_add_co_u32_e32 v0, vcc, s22, v0
	v_addc_co_u32_e32 v1, vcc, v3, v1, vcc
	global_store_dword v[0:1], v2, off
.LBB168_7:
	s_endpgm
	.section	.rodata,"a",@progbits
	.p2align	6, 0x0
	.amdhsa_kernel _ZL17mul_mat_vec_q_moeIL9ggml_type17ELi2EEvPKvS2_PKiPfj15HIP_vector_typeIjLj3EEjjjjjjjjj
		.amdhsa_group_segment_fixed_size 0
		.amdhsa_private_segment_fixed_size 0
		.amdhsa_kernarg_size 84
		.amdhsa_user_sgpr_count 6
		.amdhsa_user_sgpr_private_segment_buffer 1
		.amdhsa_user_sgpr_dispatch_ptr 0
		.amdhsa_user_sgpr_queue_ptr 0
		.amdhsa_user_sgpr_kernarg_segment_ptr 1
		.amdhsa_user_sgpr_dispatch_id 0
		.amdhsa_user_sgpr_flat_scratch_init 0
		.amdhsa_user_sgpr_private_segment_size 0
		.amdhsa_uses_dynamic_stack 0
		.amdhsa_system_sgpr_private_segment_wavefront_offset 0
		.amdhsa_system_sgpr_workgroup_id_x 1
		.amdhsa_system_sgpr_workgroup_id_y 1
		.amdhsa_system_sgpr_workgroup_id_z 0
		.amdhsa_system_sgpr_workgroup_info 0
		.amdhsa_system_vgpr_workitem_id 1
		.amdhsa_next_free_vgpr 38
		.amdhsa_next_free_sgpr 30
		.amdhsa_reserve_vcc 1
		.amdhsa_reserve_flat_scratch 0
		.amdhsa_float_round_mode_32 0
		.amdhsa_float_round_mode_16_64 0
		.amdhsa_float_denorm_mode_32 3
		.amdhsa_float_denorm_mode_16_64 3
		.amdhsa_dx10_clamp 1
		.amdhsa_ieee_mode 1
		.amdhsa_fp16_overflow 0
		.amdhsa_exception_fp_ieee_invalid_op 0
		.amdhsa_exception_fp_denorm_src 0
		.amdhsa_exception_fp_ieee_div_zero 0
		.amdhsa_exception_fp_ieee_overflow 0
		.amdhsa_exception_fp_ieee_underflow 0
		.amdhsa_exception_fp_ieee_inexact 0
		.amdhsa_exception_int_div_zero 0
	.end_amdhsa_kernel
	.section	.text._ZL17mul_mat_vec_q_moeIL9ggml_type17ELi2EEvPKvS2_PKiPfj15HIP_vector_typeIjLj3EEjjjjjjjjj,"axG",@progbits,_ZL17mul_mat_vec_q_moeIL9ggml_type17ELi2EEvPKvS2_PKiPfj15HIP_vector_typeIjLj3EEjjjjjjjjj,comdat
.Lfunc_end168:
	.size	_ZL17mul_mat_vec_q_moeIL9ggml_type17ELi2EEvPKvS2_PKiPfj15HIP_vector_typeIjLj3EEjjjjjjjjj, .Lfunc_end168-_ZL17mul_mat_vec_q_moeIL9ggml_type17ELi2EEvPKvS2_PKiPfj15HIP_vector_typeIjLj3EEjjjjjjjjj
                                        ; -- End function
	.set _ZL17mul_mat_vec_q_moeIL9ggml_type17ELi2EEvPKvS2_PKiPfj15HIP_vector_typeIjLj3EEjjjjjjjjj.num_vgpr, 38
	.set _ZL17mul_mat_vec_q_moeIL9ggml_type17ELi2EEvPKvS2_PKiPfj15HIP_vector_typeIjLj3EEjjjjjjjjj.num_agpr, 0
	.set _ZL17mul_mat_vec_q_moeIL9ggml_type17ELi2EEvPKvS2_PKiPfj15HIP_vector_typeIjLj3EEjjjjjjjjj.numbered_sgpr, 30
	.set _ZL17mul_mat_vec_q_moeIL9ggml_type17ELi2EEvPKvS2_PKiPfj15HIP_vector_typeIjLj3EEjjjjjjjjj.num_named_barrier, 0
	.set _ZL17mul_mat_vec_q_moeIL9ggml_type17ELi2EEvPKvS2_PKiPfj15HIP_vector_typeIjLj3EEjjjjjjjjj.private_seg_size, 0
	.set _ZL17mul_mat_vec_q_moeIL9ggml_type17ELi2EEvPKvS2_PKiPfj15HIP_vector_typeIjLj3EEjjjjjjjjj.uses_vcc, 1
	.set _ZL17mul_mat_vec_q_moeIL9ggml_type17ELi2EEvPKvS2_PKiPfj15HIP_vector_typeIjLj3EEjjjjjjjjj.uses_flat_scratch, 0
	.set _ZL17mul_mat_vec_q_moeIL9ggml_type17ELi2EEvPKvS2_PKiPfj15HIP_vector_typeIjLj3EEjjjjjjjjj.has_dyn_sized_stack, 0
	.set _ZL17mul_mat_vec_q_moeIL9ggml_type17ELi2EEvPKvS2_PKiPfj15HIP_vector_typeIjLj3EEjjjjjjjjj.has_recursion, 0
	.set _ZL17mul_mat_vec_q_moeIL9ggml_type17ELi2EEvPKvS2_PKiPfj15HIP_vector_typeIjLj3EEjjjjjjjjj.has_indirect_call, 0
	.section	.AMDGPU.csdata,"",@progbits
; Kernel info:
; codeLenInByte = 4744
; TotalNumSgprs: 34
; NumVgprs: 38
; ScratchSize: 0
; MemoryBound: 0
; FloatMode: 240
; IeeeMode: 1
; LDSByteSize: 0 bytes/workgroup (compile time only)
; SGPRBlocks: 4
; VGPRBlocks: 9
; NumSGPRsForWavesPerEU: 34
; NumVGPRsForWavesPerEU: 38
; Occupancy: 6
; WaveLimiterHint : 1
; COMPUTE_PGM_RSRC2:SCRATCH_EN: 0
; COMPUTE_PGM_RSRC2:USER_SGPR: 6
; COMPUTE_PGM_RSRC2:TRAP_HANDLER: 0
; COMPUTE_PGM_RSRC2:TGID_X_EN: 1
; COMPUTE_PGM_RSRC2:TGID_Y_EN: 1
; COMPUTE_PGM_RSRC2:TGID_Z_EN: 0
; COMPUTE_PGM_RSRC2:TIDIG_COMP_CNT: 1
	.section	.text._ZL13mul_mat_vec_qIL9ggml_type17ELi1ELb1ELb1EEvPKvS2_PKi31ggml_cuda_mm_fusion_args_devicePfj15HIP_vector_typeIjLj3EEjjjS8_jjjS8_jjjj,"axG",@progbits,_ZL13mul_mat_vec_qIL9ggml_type17ELi1ELb1ELb1EEvPKvS2_PKi31ggml_cuda_mm_fusion_args_devicePfj15HIP_vector_typeIjLj3EEjjjS8_jjjS8_jjjj,comdat
	.globl	_ZL13mul_mat_vec_qIL9ggml_type17ELi1ELb1ELb1EEvPKvS2_PKi31ggml_cuda_mm_fusion_args_devicePfj15HIP_vector_typeIjLj3EEjjjS8_jjjS8_jjjj ; -- Begin function _ZL13mul_mat_vec_qIL9ggml_type17ELi1ELb1ELb1EEvPKvS2_PKi31ggml_cuda_mm_fusion_args_devicePfj15HIP_vector_typeIjLj3EEjjjS8_jjjS8_jjjj
	.p2align	8
	.type	_ZL13mul_mat_vec_qIL9ggml_type17ELi1ELb1ELb1EEvPKvS2_PKi31ggml_cuda_mm_fusion_args_devicePfj15HIP_vector_typeIjLj3EEjjjS8_jjjS8_jjjj,@function
_ZL13mul_mat_vec_qIL9ggml_type17ELi1ELb1ELb1EEvPKvS2_PKi31ggml_cuda_mm_fusion_args_devicePfj15HIP_vector_typeIjLj3EEjjjS8_jjjS8_jjjj: ; @_ZL13mul_mat_vec_qIL9ggml_type17ELi1ELb1ELb1EEvPKvS2_PKi31ggml_cuda_mm_fusion_args_devicePfj15HIP_vector_typeIjLj3EEjjjS8_jjjS8_jjjj
; %bb.0:
	s_load_dwordx8 s[12:19], s[4:5], 0x0
	s_load_dwordx4 s[28:31], s[4:5], 0x20
	s_load_dwordx4 s[36:39], s[4:5], 0x40
	s_mov_b32 s34, s7
	s_mov_b64 s[2:3], 0
	s_waitcnt lgkmcnt(0)
	s_cmp_lg_u64 s[16:17], 0
	s_cselect_b64 s[0:1], -1, 0
	s_cmp_eq_u64 s[16:17], 0
	s_cbranch_scc1 .LBB169_5
; %bb.1:
	s_mov_b32 s35, 0
	s_lshl_b64 s[10:11], s[34:35], 2
	s_add_u32 s10, s16, s10
	s_addc_u32 s11, s17, s11
	s_load_dword s21, s[10:11], 0x0
	s_load_dword s20, s[4:5], 0x50
	;; [unrolled: 1-line block ×3, first 2 shown]
	s_andn2_b64 vcc, exec, s[2:3]
	s_cbranch_vccnz .LBB169_3
.LBB169_2:
	s_load_dwordx2 s[2:3], s[4:5], 0x5c
	s_waitcnt lgkmcnt(0)
	s_mul_hi_u32 s2, s2, s34
	s_add_i32 s2, s34, s2
	s_lshr_b32 s21, s2, s3
.LBB169_3:
	s_andn2_b64 vcc, exec, s[0:1]
	s_cbranch_vccnz .LBB169_6
; %bb.4:
	s_mul_hi_u32 s0, s37, s34
	s_add_i32 s0, s34, s0
	s_lshr_b32 s0, s0, s38
	s_mul_i32 s0, s0, s39
	s_sub_i32 s23, s34, s0
	s_waitcnt lgkmcnt(0)
	s_mov_b32 s24, s21
	s_branch .LBB169_7
.LBB169_5:
                                        ; implicit-def: $sgpr21
	s_load_dword s20, s[4:5], 0x50
	s_load_dword s22, s[4:5], 0x78
	s_branch .LBB169_2
.LBB169_6:
	s_mov_b32 s24, s34
	s_mov_b32 s23, s34
.LBB169_7:
	s_load_dword s9, s[4:5], 0x58
	s_lshl_b32 s16, s6, 1
	s_cmp_eq_u64 s[18:19], 0
	s_cselect_b64 s[0:1], -1, 0
	v_mov_b32_e32 v38, 0
	s_and_b64 vcc, exec, s[0:1]
	v_cmp_gt_u32_e64 s[2:3], 2, v0
	v_cmp_eq_u32_e64 s[6:7], 0, v1
	v_add_u32_e32 v37, s16, v0
	v_mov_b32_e32 v39, 0
	s_cbranch_vccnz .LBB169_11
; %bb.8:
	s_waitcnt lgkmcnt(0)
	v_cmp_gt_u32_e32 vcc, s9, v37
	s_and_b64 s[2:3], s[2:3], vcc
	s_mov_b32 s11, 0
	s_and_b64 s[6:7], s[2:3], s[6:7]
	v_mov_b32_e32 v39, 0
	s_and_saveexec_b64 s[2:3], s[6:7]
	s_cbranch_execz .LBB169_10
; %bb.9:
	s_load_dwordx4 s[40:43], s[4:5], 0x80
	v_lshlrev_b32_e32 v2, 2, v0
	s_waitcnt lgkmcnt(0)
	s_mul_i32 s10, s42, s8
	s_load_dwordx4 s[40:43], s[4:5], 0x68
	s_lshl_b64 s[6:7], s[10:11], 2
	s_add_u32 s17, s18, s6
	s_addc_u32 s18, s19, s7
	s_waitcnt lgkmcnt(0)
	s_mul_i32 s10, s24, s42
	s_lshl_b64 s[6:7], s[10:11], 2
	s_add_u32 s10, s17, s6
	s_addc_u32 s11, s18, s7
	s_ashr_i32 s17, s16, 31
	s_lshl_b64 s[6:7], s[16:17], 2
	s_add_u32 s6, s10, s6
	s_addc_u32 s7, s11, s7
	global_load_dword v39, v2, s[6:7]
.LBB169_10:
	s_or_b64 exec, exec, s[2:3]
.LBB169_11:
	s_cmp_lg_u64 s[28:29], 0
	s_cselect_b64 s[18:19], -1, 0
	s_cmp_eq_u64 s[28:29], 0
	s_cselect_b64 s[2:3], -1, 0
	s_cmp_lg_u64 s[30:31], 0
	s_cselect_b64 s[26:27], -1, 0
                                        ; implicit-def: $vgpr78 : SGPR spill to VGPR lane
	s_and_b64 s[6:7], s[26:27], s[18:19]
	v_writelane_b32 v78, s2, 0
	s_andn2_b64 vcc, exec, s[6:7]
	s_waitcnt lgkmcnt(0)
	v_cmp_gt_u32_e64 s[6:7], s9, v37
	v_writelane_b32 v78, s3, 1
	s_cbranch_vccnz .LBB169_15
; %bb.12:
	v_cmp_gt_u32_e32 vcc, 2, v0
	v_cmp_eq_u32_e64 s[10:11], 0, v1
	s_and_b64 s[6:7], vcc, s[6:7]
	s_mov_b32 s41, 0
	s_and_b64 s[10:11], s[6:7], s[10:11]
	v_mov_b32_e32 v38, 0
	s_and_saveexec_b64 s[6:7], s[10:11]
	s_cbranch_execz .LBB169_14
; %bb.13:
	s_load_dwordx4 s[44:47], s[4:5], 0x80
	v_lshlrev_b32_e32 v2, 2, v0
	s_waitcnt lgkmcnt(0)
	s_mul_i32 s40, s46, s8
	s_load_dwordx4 s[44:47], s[4:5], 0x68
	s_lshl_b64 s[10:11], s[40:41], 2
	s_add_u32 s2, s30, s10
	s_addc_u32 s3, s31, s11
	s_waitcnt lgkmcnt(0)
	s_mul_i32 s40, s24, s46
	s_lshl_b64 s[10:11], s[40:41], 2
	s_add_u32 s2, s2, s10
	s_addc_u32 s3, s3, s11
	s_ashr_i32 s17, s16, 31
	s_lshl_b64 s[10:11], s[16:17], 2
	s_add_u32 s10, s2, s10
	s_addc_u32 s11, s3, s11
	global_load_dword v38, v2, s[10:11]
.LBB169_14:
	s_or_b64 exec, exec, s[6:7]
.LBB169_15:
	v_lshl_add_u32 v2, v1, 6, v0
	v_mov_b32_e32 v12, 0
	s_lshr_b32 s17, s36, 8
	v_lshrrev_b32_e32 v41, 3, v2
	v_mov_b32_e32 v13, v12
	v_mov_b32_e32 v10, v12
	v_cmp_gt_u32_e32 vcc, s17, v41
	v_cndmask_b32_e64 v40, 0, 1, s[18:19]
	v_mov_b32_e32 v14, v12
	v_mov_b32_e32 v11, v13
	s_and_saveexec_b64 s[30:31], vcc
	s_cbranch_execz .LBB169_23
; %bb.16:
	v_writelane_b32 v78, s26, 2
	v_writelane_b32 v78, s27, 3
	s_load_dwordx4 s[24:27], s[4:5], 0x68
	s_load_dwordx4 s[36:39], s[4:5], 0x80
	v_lshlrev_b32_e32 v3, 1, v0
	v_and_b32_e32 v3, 14, v3
	v_lshlrev_b32_e32 v4, 1, v3
	s_waitcnt lgkmcnt(0)
	s_mul_hi_u32 s2, s27, s8
	s_add_i32 s2, s8, s2
	s_lshr_b32 s2, s2, s22
	s_mul_i32 s3, s21, s24
	s_mul_i32 s2, s2, s36
	;; [unrolled: 1-line block ×3, first 2 shown]
	s_add_i32 s27, s3, s2
	s_mul_hi_u32 s2, s6, 36
	s_mul_i32 s6, s6, 36
	v_lshrrev_b32_e32 v5, 3, v2
	v_mov_b32_e32 v2, s6
	v_mov_b32_e32 v3, s2
	s_movk_i32 s2, 0x120
	v_mad_u64_u32 v[2:3], s[6:7], v5, s2, v[2:3]
	s_mul_i32 s10, s37, s8
	v_and_b32_e32 v42, 7, v0
	v_mad_u64_u32 v[2:3], s[6:7], s10, 36, v[2:3]
	s_mul_i32 s2, s16, s20
	v_mov_b32_e32 v5, s15
	v_mad_u64_u32 v[2:3], s[6:7], v42, 36, v[2:3]
	v_mov_b32_e32 v13, 0
	s_add_i32 s23, s27, s2
	v_add_co_u32_e32 v2, vcc, s14, v2
	s_add_i32 s2, s16, 1
	v_addc_co_u32_e32 v3, vcc, v5, v3, vcc
	s_mul_i32 s20, s20, s2
	v_add_co_u32_e32 v15, vcc, 32, v2
	v_mov_b32_e32 v14, v13
	v_mov_b32_e32 v18, s13
	;; [unrolled: 1-line block ×3, first 2 shown]
	s_add_i32 s27, s27, s20
	v_addc_co_u32_e32 v16, vcc, 0, v3, vcc
	s_mov_b64 s[14:15], 0
	s_movk_i32 s33, 0x4a
	v_mov_b32_e32 v17, s12
	s_mov_b32 s35, 0x1010101
	s_movk_i32 s26, 0xff00
	s_mov_b32 s22, 0xc0c0105
	v_lshlrev_b32_e32 v43, 1, v4
	v_cmp_ne_u32_e64 s[6:7], 1, v40
	v_mov_b32_e32 v44, 8
	v_mov_b32_e32 v11, v14
	;; [unrolled: 1-line block ×4, first 2 shown]
	s_branch .LBB169_18
.LBB169_17:                             ;   in Loop: Header=BB169_18 Depth=1
	v_lshrrev_b32_e32 v27, 18, v61
	v_cndmask_b32_e64 v66, 0, -1, s[94:95]
	v_cndmask_b32_e64 v68, 0, -1, s[90:91]
	v_bfe_i32 v28, v61, 0, 1
	v_lshlrev_b16_e32 v66, 8, v66
	v_bfe_i32 v27, v27, 0, 1
	v_lshlrev_b16_e32 v68, 8, v68
	v_or_b32_sdwa v67, v28, v66 dst_sel:DWORD dst_unused:UNUSED_PAD src0_sel:BYTE_0 src1_sel:DWORD
	v_or_b32_sdwa v69, v27, v68 dst_sel:WORD_1 dst_unused:UNUSED_PAD src0_sel:BYTE_0 src1_sel:DWORD
	v_or_b32_sdwa v67, v67, v69 dst_sel:DWORD dst_unused:UNUSED_PAD src0_sel:WORD_0 src1_sel:DWORD
	v_xor_b32_e32 v25, v25, v67
	v_and_b32_e32 v67, 0xffffff00, v25
	v_sub_i16 v66, v67, v66 clamp
	v_lshlrev_b16_e32 v67, 8, v25
	v_lshlrev_b16_e32 v28, 8, v28
	v_sub_i16 v28, v67, v28 clamp
	v_perm_b32 v28, v28, v66, s22
	v_and_b32_sdwa v66, v25, s26 dst_sel:DWORD dst_unused:UNUSED_PAD src0_sel:WORD_1 src1_sel:DWORD
	v_lshlrev_b16_sdwa v25, v44, v25 dst_sel:DWORD dst_unused:UNUSED_PAD src0_sel:DWORD src1_sel:WORD_1
	v_lshlrev_b16_e32 v27, 8, v27
	v_sub_i16 v66, v66, v68 clamp
	v_sub_i16 v25, v25, v27 clamp
	v_perm_b32 v25, v25, v66, s22
	v_lshl_or_b32 v25, v25, 16, v28
	v_lshrrev_b32_e32 v27, 22, v61
	v_lshrrev_b16_e32 v28, 4, v65
	v_cndmask_b32_e64 v61, 0, -1, s[92:93]
	v_cndmask_b32_e64 v66, 0, -1, s[88:89]
	v_bfe_i32 v28, v28, 0, 1
	v_lshlrev_b16_e32 v61, 8, v61
	v_bfe_i32 v27, v27, 0, 1
	v_lshlrev_b16_e32 v66, 8, v66
	v_or_b32_sdwa v65, v28, v61 dst_sel:DWORD dst_unused:UNUSED_PAD src0_sel:BYTE_0 src1_sel:DWORD
	v_or_b32_sdwa v67, v27, v66 dst_sel:WORD_1 dst_unused:UNUSED_PAD src0_sel:BYTE_0 src1_sel:DWORD
	v_or_b32_sdwa v65, v65, v67 dst_sel:DWORD dst_unused:UNUSED_PAD src0_sel:WORD_0 src1_sel:DWORD
	v_xor_b32_e32 v26, v26, v65
	v_and_b32_e32 v65, 0xffffff00, v26
	v_sub_i16 v61, v65, v61 clamp
	v_lshlrev_b16_e32 v65, 8, v26
	v_lshlrev_b16_e32 v28, 8, v28
	v_sub_i16 v28, v65, v28 clamp
	v_perm_b32 v28, v28, v61, s22
	v_and_b32_sdwa v61, v26, s26 dst_sel:DWORD dst_unused:UNUSED_PAD src0_sel:WORD_1 src1_sel:DWORD
	v_lshlrev_b16_sdwa v26, v44, v26 dst_sel:DWORD dst_unused:UNUSED_PAD src0_sel:DWORD src1_sel:WORD_1
	v_lshlrev_b16_e32 v27, 8, v27
	v_sub_i16 v61, v61, v66 clamp
	v_sub_i16 v26, v26, v27 clamp
	v_perm_b32 v26, v26, v61, s22
	v_lshl_or_b32 v26, v26, 16, v28
	v_dot4_i32_i8 v25, v25, v7, 0
	v_dot4_i32_i8 v25, v26, v8, v25
	v_lshrrev_b32_e32 v26, 18, v63
	v_cndmask_b32_e64 v28, 0, -1, s[86:87]
	v_cndmask_b32_e64 v65, 0, -1, s[84:85]
	v_bfe_i32 v27, v63, 0, 1
	v_lshlrev_b16_e32 v28, 8, v28
	v_bfe_i32 v26, v26, 0, 1
	v_lshlrev_b16_e32 v65, 8, v65
	v_or_b32_sdwa v61, v27, v28 dst_sel:DWORD dst_unused:UNUSED_PAD src0_sel:BYTE_0 src1_sel:DWORD
	v_or_b32_sdwa v66, v26, v65 dst_sel:WORD_1 dst_unused:UNUSED_PAD src0_sel:BYTE_0 src1_sel:DWORD
	v_or_b32_sdwa v61, v61, v66 dst_sel:DWORD dst_unused:UNUSED_PAD src0_sel:WORD_0 src1_sel:DWORD
	v_xor_b32_e32 v23, v23, v61
	v_and_b32_e32 v61, 0xffffff00, v23
	v_sub_i16 v28, v61, v28 clamp
	v_lshlrev_b16_e32 v61, 8, v23
	v_lshlrev_b16_e32 v27, 8, v27
	v_sub_i16 v27, v61, v27 clamp
	v_perm_b32 v27, v27, v28, s22
	v_and_b32_sdwa v28, v23, s26 dst_sel:DWORD dst_unused:UNUSED_PAD src0_sel:WORD_1 src1_sel:DWORD
	v_lshlrev_b16_sdwa v23, v44, v23 dst_sel:DWORD dst_unused:UNUSED_PAD src0_sel:DWORD src1_sel:WORD_1
	v_lshlrev_b16_e32 v26, 8, v26
	v_sub_i16 v28, v28, v65 clamp
	v_sub_i16 v23, v23, v26 clamp
	v_perm_b32 v23, v23, v28, s22
	v_lshl_or_b32 v23, v23, 16, v27
	v_lshrrev_b32_e32 v26, 22, v63
	v_lshrrev_b16_e32 v27, 4, v64
	v_cndmask_b32_e64 v28, 0, -1, s[82:83]
	v_cndmask_b32_e64 v63, 0, -1, s[80:81]
	v_bfe_i32 v27, v27, 0, 1
	v_lshlrev_b16_e32 v28, 8, v28
	v_bfe_i32 v26, v26, 0, 1
	v_lshlrev_b16_e32 v63, 8, v63
	v_or_b32_sdwa v61, v27, v28 dst_sel:DWORD dst_unused:UNUSED_PAD src0_sel:BYTE_0 src1_sel:DWORD
	v_or_b32_sdwa v64, v26, v63 dst_sel:WORD_1 dst_unused:UNUSED_PAD src0_sel:BYTE_0 src1_sel:DWORD
	v_or_b32_sdwa v61, v61, v64 dst_sel:DWORD dst_unused:UNUSED_PAD src0_sel:WORD_0 src1_sel:DWORD
	v_xor_b32_e32 v24, v24, v61
	v_and_b32_e32 v61, 0xffffff00, v24
	v_sub_i16 v28, v61, v28 clamp
	v_lshlrev_b16_e32 v61, 8, v24
	v_lshlrev_b16_e32 v27, 8, v27
	v_sub_i16 v27, v61, v27 clamp
	v_perm_b32 v27, v27, v28, s22
	v_and_b32_sdwa v28, v24, s26 dst_sel:DWORD dst_unused:UNUSED_PAD src0_sel:WORD_1 src1_sel:DWORD
	v_lshlrev_b16_sdwa v24, v44, v24 dst_sel:DWORD dst_unused:UNUSED_PAD src0_sel:DWORD src1_sel:WORD_1
	v_lshlrev_b16_e32 v26, 8, v26
	v_sub_i16 v28, v28, v63 clamp
	v_sub_i16 v24, v24, v26 clamp
	v_perm_b32 v24, v24, v28, s22
	v_lshl_or_b32 v24, v24, 16, v27
	v_dot4_i32_i8 v23, v23, v9, v25
	v_dot4_i32_i8 v23, v24, v2, v23
	;; [unrolled: 51-line block ×4, first 2 shown]
	v_bfe_u32 v20, v47, 4, 4
	v_and_b32_e32 v21, 15, v47
	v_mul_lo_u32 v21, v23, v21
	v_mul_lo_u32 v20, v19, v20
	v_add_u32_e32 v19, v19, v23
	v_lshrrev_b32_e32 v22, 31, v19
	v_add_u32_e32 v19, v19, v22
	v_ashrrev_i32_e32 v19, 1, v19
	v_add3_u32 v19, v20, v21, v19
	v_lshrrev_b32_e32 v21, 18, v56
	v_cndmask_b32_e64 v23, 0, -1, s[62:63]
	v_cndmask_b32_e64 v25, 0, -1, s[60:61]
	v_bfe_i32 v22, v56, 0, 1
	v_lshlrev_b16_e32 v23, 8, v23
	v_bfe_i32 v21, v21, 0, 1
	v_lshlrev_b16_e32 v25, 8, v25
	v_or_b32_sdwa v24, v22, v23 dst_sel:DWORD dst_unused:UNUSED_PAD src0_sel:BYTE_0 src1_sel:DWORD
	v_or_b32_sdwa v26, v21, v25 dst_sel:WORD_1 dst_unused:UNUSED_PAD src0_sel:BYTE_0 src1_sel:DWORD
	v_or_b32_sdwa v24, v24, v26 dst_sel:DWORD dst_unused:UNUSED_PAD src0_sel:WORD_0 src1_sel:DWORD
	s_waitcnt vmcnt(3)
	v_xor_b32_e32 v24, v35, v24
	v_and_b32_e32 v26, 0xffffff00, v24
	v_sub_i16 v23, v26, v23 clamp
	v_lshlrev_b16_e32 v26, 8, v24
	v_lshlrev_b16_e32 v22, 8, v22
	v_sub_i16 v22, v26, v22 clamp
	v_perm_b32 v22, v22, v23, s22
	v_and_b32_sdwa v23, v24, s26 dst_sel:DWORD dst_unused:UNUSED_PAD src0_sel:WORD_1 src1_sel:DWORD
	v_lshlrev_b16_sdwa v24, v44, v24 dst_sel:DWORD dst_unused:UNUSED_PAD src0_sel:DWORD src1_sel:WORD_1
	v_lshlrev_b16_e32 v21, 8, v21
	v_sub_i16 v23, v23, v25 clamp
	v_sub_i16 v21, v24, v21 clamp
	v_perm_b32 v21, v21, v23, s22
	v_lshl_or_b32 v21, v21, 16, v22
	v_lshrrev_b32_e32 v22, 22, v56
	v_lshrrev_b16_e32 v23, 4, v57
	v_cndmask_b32_e64 v24, 0, -1, s[58:59]
	v_cndmask_b32_e64 v26, 0, -1, s[56:57]
	v_bfe_i32 v23, v23, 0, 1
	v_lshlrev_b16_e32 v24, 8, v24
	v_bfe_i32 v22, v22, 0, 1
	v_lshlrev_b16_e32 v26, 8, v26
	v_or_b32_sdwa v25, v23, v24 dst_sel:DWORD dst_unused:UNUSED_PAD src0_sel:BYTE_0 src1_sel:DWORD
	v_or_b32_sdwa v27, v22, v26 dst_sel:WORD_1 dst_unused:UNUSED_PAD src0_sel:BYTE_0 src1_sel:DWORD
	v_or_b32_sdwa v25, v25, v27 dst_sel:DWORD dst_unused:UNUSED_PAD src0_sel:WORD_0 src1_sel:DWORD
	v_xor_b32_e32 v25, v36, v25
	v_and_b32_e32 v27, 0xffffff00, v25
	v_sub_i16 v24, v27, v24 clamp
	v_lshlrev_b16_e32 v27, 8, v25
	v_lshlrev_b16_e32 v23, 8, v23
	v_sub_i16 v23, v27, v23 clamp
	v_perm_b32 v23, v23, v24, s22
	v_and_b32_sdwa v24, v25, s26 dst_sel:DWORD dst_unused:UNUSED_PAD src0_sel:WORD_1 src1_sel:DWORD
	v_lshlrev_b16_sdwa v25, v44, v25 dst_sel:DWORD dst_unused:UNUSED_PAD src0_sel:DWORD src1_sel:WORD_1
	v_lshlrev_b16_e32 v22, 8, v22
	v_sub_i16 v24, v24, v26 clamp
	v_sub_i16 v22, v25, v22 clamp
	v_perm_b32 v22, v22, v24, s22
	v_lshl_or_b32 v22, v22, 16, v23
	v_dot4_i32_i8 v7, v21, v7, 0
	v_dot4_i32_i8 v7, v22, v8, v7
	v_lshrrev_b32_e32 v8, 18, v54
	v_cndmask_b32_e64 v22, 0, -1, s[54:55]
	v_cndmask_b32_e64 v24, 0, -1, s[52:53]
	v_bfe_i32 v21, v54, 0, 1
	v_lshlrev_b16_e32 v22, 8, v22
	v_bfe_i32 v8, v8, 0, 1
	v_lshlrev_b16_e32 v24, 8, v24
	v_or_b32_sdwa v23, v21, v22 dst_sel:DWORD dst_unused:UNUSED_PAD src0_sel:BYTE_0 src1_sel:DWORD
	v_or_b32_sdwa v25, v8, v24 dst_sel:WORD_1 dst_unused:UNUSED_PAD src0_sel:BYTE_0 src1_sel:DWORD
	v_or_b32_sdwa v23, v23, v25 dst_sel:DWORD dst_unused:UNUSED_PAD src0_sel:WORD_0 src1_sel:DWORD
	s_waitcnt vmcnt(2)
	v_xor_b32_e32 v23, v33, v23
	v_and_b32_e32 v25, 0xffffff00, v23
	v_sub_i16 v22, v25, v22 clamp
	v_lshlrev_b16_e32 v25, 8, v23
	v_lshlrev_b16_e32 v21, 8, v21
	v_sub_i16 v21, v25, v21 clamp
	v_perm_b32 v21, v21, v22, s22
	v_and_b32_sdwa v22, v23, s26 dst_sel:DWORD dst_unused:UNUSED_PAD src0_sel:WORD_1 src1_sel:DWORD
	v_lshlrev_b16_sdwa v23, v44, v23 dst_sel:DWORD dst_unused:UNUSED_PAD src0_sel:DWORD src1_sel:WORD_1
	v_lshlrev_b16_e32 v8, 8, v8
	v_sub_i16 v22, v22, v24 clamp
	v_sub_i16 v8, v23, v8 clamp
	v_perm_b32 v8, v8, v22, s22
	v_lshl_or_b32 v8, v8, 16, v21
	v_lshrrev_b32_e32 v21, 22, v54
	v_lshrrev_b16_e32 v22, 4, v55
	v_cndmask_b32_e64 v23, 0, -1, s[50:51]
	v_cndmask_b32_e64 v25, 0, -1, s[48:49]
	v_bfe_i32 v22, v22, 0, 1
	v_lshlrev_b16_e32 v23, 8, v23
	v_bfe_i32 v21, v21, 0, 1
	v_lshlrev_b16_e32 v25, 8, v25
	v_or_b32_sdwa v24, v22, v23 dst_sel:DWORD dst_unused:UNUSED_PAD src0_sel:BYTE_0 src1_sel:DWORD
	v_or_b32_sdwa v26, v21, v25 dst_sel:WORD_1 dst_unused:UNUSED_PAD src0_sel:BYTE_0 src1_sel:DWORD
	v_or_b32_sdwa v24, v24, v26 dst_sel:DWORD dst_unused:UNUSED_PAD src0_sel:WORD_0 src1_sel:DWORD
	v_xor_b32_e32 v24, v34, v24
	v_and_b32_e32 v26, 0xffffff00, v24
	v_sub_i16 v23, v26, v23 clamp
	v_lshlrev_b16_e32 v26, 8, v24
	v_lshlrev_b16_e32 v22, 8, v22
	v_sub_i16 v22, v26, v22 clamp
	v_perm_b32 v22, v22, v23, s22
	v_and_b32_sdwa v23, v24, s26 dst_sel:DWORD dst_unused:UNUSED_PAD src0_sel:WORD_1 src1_sel:DWORD
	v_lshlrev_b16_sdwa v24, v44, v24 dst_sel:DWORD dst_unused:UNUSED_PAD src0_sel:DWORD src1_sel:WORD_1
	v_lshlrev_b16_e32 v21, 8, v21
	v_sub_i16 v23, v23, v25 clamp
	v_sub_i16 v21, v24, v21 clamp
	v_perm_b32 v21, v21, v23, s22
	v_lshl_or_b32 v21, v21, 16, v22
	v_dot4_i32_i8 v7, v8, v9, v7
	v_dot4_i32_i8 v2, v21, v2, v7
	;; [unrolled: 52-line block ×4, first 2 shown]
	v_lshrrev_b32_e32 v4, 4, v49
	v_and_b32_e32 v5, 15, v49
	v_mul_lo_u32 v5, v2, v5
	v_mul_lo_u32 v4, v3, v4
	v_add_u32_e32 v2, v3, v2
	v_lshrrev_b32_e32 v3, 31, v2
	v_add_u32_e32 v2, v2, v3
	v_ashrrev_i32_e32 v2, 1, v2
	v_add3_u32 v2, v4, v5, v2
	v_ashrrev_i32_e32 v20, 31, v19
	v_ashrrev_i32_e32 v3, 31, v2
	v_lshrrev_b32_e32 v20, 30, v20
	v_lshrrev_b32_e32 v3, 30, v3
	v_add_u32_e32 v19, v19, v20
	v_add_u32_e32 v2, v2, v3
	v_ashrrev_i32_e32 v19, 2, v19
	v_cvt_f32_f16_e32 v20, v46
	v_ashrrev_i32_e32 v2, 2, v2
	v_cvt_f32_f16_e32 v3, v48
	v_cvt_f32_i32_e32 v19, v19
	v_cvt_f32_i32_e32 v2, v2
	v_add_u32_e32 v41, 16, v41
	v_mul_f32_e32 v4, v20, v6
	v_mul_f32_e32 v3, v3, v6
	v_add_co_u32_e32 v15, vcc, 0x1200, v15
	v_cmp_le_u32_e64 s[10:11], s17, v41
	v_fmac_f32_e32 v14, v4, v19
	v_fmac_f32_e32 v12, v3, v2
	s_or_b64 s[14:15], s[10:11], s[14:15]
	v_addc_co_u32_e32 v16, vcc, 0, v16, vcc
	s_andn2_b64 exec, exec, s[14:15]
	s_cbranch_execz .LBB169_22
.LBB169_18:                             ; =>This Inner Loop Header: Depth=1
	v_add_u32_e32 v29, s23, v41
	v_mad_i64_i32 v[2:3], s[10:11], v29, s33, v[17:18]
	s_getpc_b64 s[10:11]
	s_add_u32 s10, s10, _ZL10iq2xs_grid@rel32@lo+4
	s_addc_u32 s11, s11, _ZL10iq2xs_grid@rel32@hi+12
	v_add_co_u32_e32 v4, vcc, v2, v43
	v_addc_co_u32_e32 v5, vcc, 0, v3, vcc
	global_load_dwordx2 v[27:28], v[4:5], off offset:2
	global_load_dword v45, v[15:16], off
	v_add_co_u32_e32 v4, vcc, v2, v42
	v_addc_co_u32_e32 v5, vcc, 0, v3, vcc
	global_load_dwordx4 v[6:9], v[15:16], off offset:-32
	global_load_ubyte v47, v[4:5], off offset:66
	global_load_ushort v46, v[2:3], off
	s_and_b64 vcc, exec, s[6:7]
	s_waitcnt vmcnt(4)
	v_and_b32_e32 v2, 0x1ff, v27
	v_lshrrev_b32_e32 v3, 13, v27
	v_and_b32_e32 v4, 0x1ff, v28
	v_lshrrev_b32_e32 v5, 13, v28
	v_lshlrev_b32_e32 v30, 3, v2
	v_and_b32_e32 v31, 0xff8, v3
	v_lshlrev_b32_e32 v32, 3, v4
	v_and_b32_e32 v33, 0xff8, v5
	global_load_dwordx2 v[25:26], v30, s[10:11]
	global_load_dwordx2 v[23:24], v31, s[10:11]
	;; [unrolled: 1-line block ×4, first 2 shown]
	global_load_dwordx4 v[2:5], v[15:16], off offset:-16
	s_waitcnt vmcnt(7)
	v_cvt_f32_f16_e32 v6, v6
	s_cbranch_vccnz .LBB169_20
; %bb.19:                               ;   in Loop: Header=BB169_18 Depth=1
	v_mov_b32_e32 v31, s29
	v_mov_b32_e32 v30, s28
	v_mad_i64_i32 v[29:30], s[20:21], v29, s33, v[30:31]
	v_add_co_u32_e32 v31, vcc, v29, v43
	v_addc_co_u32_e32 v32, vcc, 0, v30, vcc
	global_load_dwordx2 v[31:32], v[31:32], off offset:2
	v_add_co_u32_e32 v33, vcc, v29, v42
	v_addc_co_u32_e32 v34, vcc, 0, v30, vcc
	global_load_ubyte v35, v[33:34], off offset:66
	s_nop 0
	global_load_ushort v29, v[29:30], off
	s_waitcnt vmcnt(2)
	v_and_b32_e32 v33, 0x1ff, v31
	v_lshlrev_b32_e32 v33, 3, v33
	global_load_dwordx2 v[33:34], v33, s[10:11]
	v_bfe_u32 v36, v31, 9, 7
	v_bcnt_u32_b32 v48, v36, 0
	v_and_b32_e32 v48, 1, v48
	v_lshl_or_b32 v36, v48, 7, v36
	v_mul_lo_u32 v36, v36, s35
	s_waitcnt vmcnt(1)
	v_cvt_f32_f16_e32 v29, v29
	v_and_b32_e32 v48, 0x8040201, v36
	v_cmp_ne_u16_sdwa s[20:21], v48, v13 src0_sel:BYTE_3 src1_sel:DWORD
	v_cmp_ne_u16_sdwa s[24:25], v48, v13 src0_sel:BYTE_1 src1_sel:DWORD
	v_lshrrev_b32_e32 v49, 18, v36
	v_cndmask_b32_e64 v50, 0, -1, s[24:25]
	v_cndmask_b32_e64 v52, 0, -1, s[20:21]
	v_bfe_i32 v48, v36, 0, 1
	v_lshlrev_b16_e32 v50, 8, v50
	v_bfe_i32 v49, v49, 0, 1
	v_lshlrev_b16_e32 v52, 8, v52
	v_or_b32_sdwa v51, v48, v50 dst_sel:DWORD dst_unused:UNUSED_PAD src0_sel:BYTE_0 src1_sel:DWORD
	v_or_b32_sdwa v53, v49, v52 dst_sel:WORD_1 dst_unused:UNUSED_PAD src0_sel:BYTE_0 src1_sel:DWORD
	v_or_b32_sdwa v51, v51, v53 dst_sel:DWORD dst_unused:UNUSED_PAD src0_sel:WORD_0 src1_sel:DWORD
	v_lshlrev_b16_e32 v48, 8, v48
	v_lshlrev_b16_e32 v49, 8, v49
	v_mul_f32_e32 v29, v6, v29
	s_waitcnt vmcnt(0)
	v_xor_b32_e32 v33, v33, v51
	v_and_b32_e32 v51, 0xffffff00, v33
	v_sub_i16 v50, v51, v50 clamp
	v_lshlrev_b16_e32 v51, 8, v33
	v_sub_i16 v48, v51, v48 clamp
	v_perm_b32 v48, v48, v50, s22
	v_and_b32_sdwa v50, v33, s26 dst_sel:DWORD dst_unused:UNUSED_PAD src0_sel:WORD_1 src1_sel:DWORD
	v_lshlrev_b16_sdwa v33, v44, v33 dst_sel:DWORD dst_unused:UNUSED_PAD src0_sel:DWORD src1_sel:WORD_1
	v_sub_i16 v50, v50, v52 clamp
	v_sub_i16 v33, v33, v49 clamp
	v_perm_b32 v33, v33, v50, s22
	v_lshl_or_b32 v33, v33, 16, v48
	v_and_b32_e32 v48, 0x80402010, v36
	v_cmp_ne_u16_sdwa s[20:21], v48, v13 src0_sel:BYTE_3 src1_sel:DWORD
	v_cmp_ne_u16_sdwa s[24:25], v48, v13 src0_sel:BYTE_1 src1_sel:DWORD
	v_lshrrev_b32_e32 v36, 22, v36
	v_lshrrev_b16_e32 v48, 4, v48
	v_cndmask_b32_e64 v49, 0, -1, s[24:25]
	v_cndmask_b32_e64 v51, 0, -1, s[20:21]
	v_bfe_i32 v48, v48, 0, 1
	v_lshlrev_b16_e32 v49, 8, v49
	v_bfe_i32 v36, v36, 0, 1
	v_lshlrev_b16_e32 v51, 8, v51
	v_or_b32_sdwa v50, v48, v49 dst_sel:DWORD dst_unused:UNUSED_PAD src0_sel:BYTE_0 src1_sel:DWORD
	v_or_b32_sdwa v52, v36, v51 dst_sel:WORD_1 dst_unused:UNUSED_PAD src0_sel:BYTE_0 src1_sel:DWORD
	v_or_b32_sdwa v50, v50, v52 dst_sel:DWORD dst_unused:UNUSED_PAD src0_sel:WORD_0 src1_sel:DWORD
	v_xor_b32_e32 v34, v34, v50
	v_and_b32_e32 v50, 0xffffff00, v34
	v_sub_i16 v49, v50, v49 clamp
	v_lshlrev_b16_e32 v50, 8, v34
	v_lshlrev_b16_e32 v48, 8, v48
	v_sub_i16 v48, v50, v48 clamp
	v_perm_b32 v48, v48, v49, s22
	v_and_b32_sdwa v49, v34, s26 dst_sel:DWORD dst_unused:UNUSED_PAD src0_sel:WORD_1 src1_sel:DWORD
	v_lshlrev_b16_sdwa v34, v44, v34 dst_sel:DWORD dst_unused:UNUSED_PAD src0_sel:DWORD src1_sel:WORD_1
	v_lshlrev_b16_e32 v36, 8, v36
	v_sub_i16 v49, v49, v51 clamp
	v_sub_i16 v34, v34, v36 clamp
	v_perm_b32 v34, v34, v49, s22
	v_lshl_or_b32 v34, v34, 16, v48
	v_dot4_i32_i8 v33, v33, v7, 0
	v_dot4_i32_i8 v36, v34, v8, v33
	v_lshrrev_b32_e32 v33, 13, v31
	v_and_b32_e32 v33, 0xff8, v33
	global_load_dwordx2 v[33:34], v33, s[10:11]
	v_lshrrev_b32_e32 v48, 25, v31
	v_bcnt_u32_b32 v48, v48, 0
	v_and_b32_e32 v48, 1, v48
	v_alignbit_b32 v31, v48, v31, 25
	v_mul_lo_u32 v31, v31, s35
	v_and_b32_e32 v48, 0x8040201, v31
	v_cmp_ne_u16_sdwa s[20:21], v48, v13 src0_sel:BYTE_3 src1_sel:DWORD
	v_cmp_ne_u16_sdwa s[24:25], v48, v13 src0_sel:BYTE_1 src1_sel:DWORD
	v_lshrrev_b32_e32 v49, 18, v31
	v_cndmask_b32_e64 v50, 0, -1, s[24:25]
	v_cndmask_b32_e64 v52, 0, -1, s[20:21]
	v_bfe_i32 v48, v31, 0, 1
	v_lshlrev_b16_e32 v50, 8, v50
	v_bfe_i32 v49, v49, 0, 1
	v_lshlrev_b16_e32 v52, 8, v52
	v_or_b32_sdwa v51, v48, v50 dst_sel:DWORD dst_unused:UNUSED_PAD src0_sel:BYTE_0 src1_sel:DWORD
	v_or_b32_sdwa v53, v49, v52 dst_sel:WORD_1 dst_unused:UNUSED_PAD src0_sel:BYTE_0 src1_sel:DWORD
	v_or_b32_sdwa v51, v51, v53 dst_sel:DWORD dst_unused:UNUSED_PAD src0_sel:WORD_0 src1_sel:DWORD
	v_lshlrev_b16_e32 v48, 8, v48
	v_lshlrev_b16_e32 v49, 8, v49
	s_waitcnt vmcnt(0)
	v_xor_b32_e32 v33, v33, v51
	v_and_b32_e32 v51, 0xffffff00, v33
	v_sub_i16 v50, v51, v50 clamp
	v_lshlrev_b16_e32 v51, 8, v33
	v_sub_i16 v48, v51, v48 clamp
	v_perm_b32 v48, v48, v50, s22
	v_and_b32_sdwa v50, v33, s26 dst_sel:DWORD dst_unused:UNUSED_PAD src0_sel:WORD_1 src1_sel:DWORD
	v_lshlrev_b16_sdwa v33, v44, v33 dst_sel:DWORD dst_unused:UNUSED_PAD src0_sel:DWORD src1_sel:WORD_1
	v_sub_i16 v50, v50, v52 clamp
	v_sub_i16 v33, v33, v49 clamp
	v_perm_b32 v33, v33, v50, s22
	v_lshl_or_b32 v33, v33, 16, v48
	v_and_b32_e32 v48, 0x80402010, v31
	v_cmp_ne_u16_sdwa s[20:21], v48, v13 src0_sel:BYTE_3 src1_sel:DWORD
	v_cmp_ne_u16_sdwa s[24:25], v48, v13 src0_sel:BYTE_1 src1_sel:DWORD
	v_lshrrev_b32_e32 v31, 22, v31
	v_lshrrev_b16_e32 v48, 4, v48
	v_cndmask_b32_e64 v49, 0, -1, s[24:25]
	v_cndmask_b32_e64 v51, 0, -1, s[20:21]
	v_bfe_i32 v48, v48, 0, 1
	v_lshlrev_b16_e32 v49, 8, v49
	v_bfe_i32 v31, v31, 0, 1
	v_lshlrev_b16_e32 v51, 8, v51
	v_or_b32_sdwa v50, v48, v49 dst_sel:DWORD dst_unused:UNUSED_PAD src0_sel:BYTE_0 src1_sel:DWORD
	v_or_b32_sdwa v52, v31, v51 dst_sel:WORD_1 dst_unused:UNUSED_PAD src0_sel:BYTE_0 src1_sel:DWORD
	v_or_b32_sdwa v50, v50, v52 dst_sel:DWORD dst_unused:UNUSED_PAD src0_sel:WORD_0 src1_sel:DWORD
	v_xor_b32_e32 v34, v34, v50
	v_and_b32_e32 v50, 0xffffff00, v34
	v_sub_i16 v49, v50, v49 clamp
	v_lshlrev_b16_e32 v50, 8, v34
	v_lshlrev_b16_e32 v48, 8, v48
	v_sub_i16 v48, v50, v48 clamp
	v_perm_b32 v48, v48, v49, s22
	v_and_b32_sdwa v49, v34, s26 dst_sel:DWORD dst_unused:UNUSED_PAD src0_sel:WORD_1 src1_sel:DWORD
	v_lshlrev_b16_sdwa v34, v44, v34 dst_sel:DWORD dst_unused:UNUSED_PAD src0_sel:DWORD src1_sel:WORD_1
	v_lshlrev_b16_e32 v31, 8, v31
	v_sub_i16 v49, v49, v51 clamp
	v_sub_i16 v31, v34, v31 clamp
	v_perm_b32 v31, v31, v49, s22
	v_lshl_or_b32 v31, v31, 16, v48
	v_dot4_i32_i8 v33, v33, v9, v36
	v_dot4_i32_i8 v31, v31, v2, v33
	v_and_b32_e32 v33, 0x1ff, v32
	v_lshlrev_b32_e32 v33, 3, v33
	global_load_dwordx2 v[33:34], v33, s[10:11]
	v_bfe_u32 v36, v32, 9, 7
	v_bcnt_u32_b32 v48, v36, 0
	v_and_b32_e32 v48, 1, v48
	v_lshl_or_b32 v36, v48, 7, v36
	v_mul_lo_u32 v36, v36, s35
	v_and_b32_e32 v48, 0x8040201, v36
	v_cmp_ne_u16_sdwa s[20:21], v48, v13 src0_sel:BYTE_3 src1_sel:DWORD
	v_cmp_ne_u16_sdwa s[24:25], v48, v13 src0_sel:BYTE_1 src1_sel:DWORD
	v_lshrrev_b32_e32 v49, 18, v36
	v_cndmask_b32_e64 v50, 0, -1, s[24:25]
	v_cndmask_b32_e64 v52, 0, -1, s[20:21]
	v_bfe_i32 v48, v36, 0, 1
	v_lshlrev_b16_e32 v50, 8, v50
	v_bfe_i32 v49, v49, 0, 1
	v_lshlrev_b16_e32 v52, 8, v52
	v_or_b32_sdwa v51, v48, v50 dst_sel:DWORD dst_unused:UNUSED_PAD src0_sel:BYTE_0 src1_sel:DWORD
	v_or_b32_sdwa v53, v49, v52 dst_sel:WORD_1 dst_unused:UNUSED_PAD src0_sel:BYTE_0 src1_sel:DWORD
	v_or_b32_sdwa v51, v51, v53 dst_sel:DWORD dst_unused:UNUSED_PAD src0_sel:WORD_0 src1_sel:DWORD
	v_lshlrev_b16_e32 v48, 8, v48
	v_lshlrev_b16_e32 v49, 8, v49
	s_waitcnt vmcnt(0)
	v_xor_b32_e32 v33, v33, v51
	v_and_b32_e32 v51, 0xffffff00, v33
	v_sub_i16 v50, v51, v50 clamp
	v_lshlrev_b16_e32 v51, 8, v33
	v_sub_i16 v48, v51, v48 clamp
	v_perm_b32 v48, v48, v50, s22
	v_and_b32_sdwa v50, v33, s26 dst_sel:DWORD dst_unused:UNUSED_PAD src0_sel:WORD_1 src1_sel:DWORD
	v_lshlrev_b16_sdwa v33, v44, v33 dst_sel:DWORD dst_unused:UNUSED_PAD src0_sel:DWORD src1_sel:WORD_1
	v_sub_i16 v50, v50, v52 clamp
	v_sub_i16 v33, v33, v49 clamp
	v_perm_b32 v33, v33, v50, s22
	v_lshl_or_b32 v33, v33, 16, v48
	v_and_b32_e32 v48, 0x80402010, v36
	v_cmp_ne_u16_sdwa s[20:21], v48, v13 src0_sel:BYTE_3 src1_sel:DWORD
	v_cmp_ne_u16_sdwa s[24:25], v48, v13 src0_sel:BYTE_1 src1_sel:DWORD
	v_lshrrev_b32_e32 v36, 22, v36
	v_lshrrev_b16_e32 v48, 4, v48
	v_cndmask_b32_e64 v49, 0, -1, s[24:25]
	v_cndmask_b32_e64 v51, 0, -1, s[20:21]
	v_bfe_i32 v48, v48, 0, 1
	v_lshlrev_b16_e32 v49, 8, v49
	v_bfe_i32 v36, v36, 0, 1
	v_lshlrev_b16_e32 v51, 8, v51
	v_or_b32_sdwa v50, v48, v49 dst_sel:DWORD dst_unused:UNUSED_PAD src0_sel:BYTE_0 src1_sel:DWORD
	v_or_b32_sdwa v52, v36, v51 dst_sel:WORD_1 dst_unused:UNUSED_PAD src0_sel:BYTE_0 src1_sel:DWORD
	v_or_b32_sdwa v50, v50, v52 dst_sel:DWORD dst_unused:UNUSED_PAD src0_sel:WORD_0 src1_sel:DWORD
	v_xor_b32_e32 v34, v34, v50
	v_and_b32_e32 v50, 0xffffff00, v34
	v_sub_i16 v49, v50, v49 clamp
	v_lshlrev_b16_e32 v50, 8, v34
	v_lshlrev_b16_e32 v48, 8, v48
	v_sub_i16 v48, v50, v48 clamp
	v_perm_b32 v48, v48, v49, s22
	v_and_b32_sdwa v49, v34, s26 dst_sel:DWORD dst_unused:UNUSED_PAD src0_sel:WORD_1 src1_sel:DWORD
	v_lshlrev_b16_sdwa v34, v44, v34 dst_sel:DWORD dst_unused:UNUSED_PAD src0_sel:DWORD src1_sel:WORD_1
	v_lshlrev_b16_e32 v36, 8, v36
	v_sub_i16 v49, v49, v51 clamp
	v_sub_i16 v34, v34, v36 clamp
	v_perm_b32 v34, v34, v49, s22
	v_lshl_or_b32 v34, v34, 16, v48
	v_dot4_i32_i8 v33, v33, v3, 0
	v_dot4_i32_i8 v36, v34, v4, v33
	v_lshrrev_b32_e32 v33, 13, v32
	v_and_b32_e32 v33, 0xff8, v33
	global_load_dwordx2 v[33:34], v33, s[10:11]
	v_lshrrev_b32_e32 v48, 25, v32
	v_bcnt_u32_b32 v48, v48, 0
	v_and_b32_e32 v48, 1, v48
	v_alignbit_b32 v32, v48, v32, 25
	v_mul_lo_u32 v32, v32, s35
	v_and_b32_e32 v48, 0x8040201, v32
	v_cmp_ne_u16_sdwa s[20:21], v48, v13 src0_sel:BYTE_3 src1_sel:DWORD
	v_cmp_ne_u16_sdwa s[24:25], v48, v13 src0_sel:BYTE_1 src1_sel:DWORD
	v_lshrrev_b32_e32 v49, 18, v32
	v_cndmask_b32_e64 v50, 0, -1, s[24:25]
	v_cndmask_b32_e64 v52, 0, -1, s[20:21]
	v_bfe_i32 v48, v32, 0, 1
	v_lshlrev_b16_e32 v50, 8, v50
	v_bfe_i32 v49, v49, 0, 1
	v_lshlrev_b16_e32 v52, 8, v52
	v_or_b32_sdwa v51, v48, v50 dst_sel:DWORD dst_unused:UNUSED_PAD src0_sel:BYTE_0 src1_sel:DWORD
	v_or_b32_sdwa v53, v49, v52 dst_sel:WORD_1 dst_unused:UNUSED_PAD src0_sel:BYTE_0 src1_sel:DWORD
	v_or_b32_sdwa v51, v51, v53 dst_sel:DWORD dst_unused:UNUSED_PAD src0_sel:WORD_0 src1_sel:DWORD
	v_lshlrev_b16_e32 v48, 8, v48
	v_lshlrev_b16_e32 v49, 8, v49
	s_waitcnt vmcnt(0)
	v_xor_b32_e32 v33, v33, v51
	v_and_b32_e32 v51, 0xffffff00, v33
	v_sub_i16 v50, v51, v50 clamp
	v_lshlrev_b16_e32 v51, 8, v33
	v_sub_i16 v48, v51, v48 clamp
	v_perm_b32 v48, v48, v50, s22
	v_and_b32_sdwa v50, v33, s26 dst_sel:DWORD dst_unused:UNUSED_PAD src0_sel:WORD_1 src1_sel:DWORD
	v_lshlrev_b16_sdwa v33, v44, v33 dst_sel:DWORD dst_unused:UNUSED_PAD src0_sel:DWORD src1_sel:WORD_1
	v_sub_i16 v50, v50, v52 clamp
	v_sub_i16 v33, v33, v49 clamp
	v_perm_b32 v33, v33, v50, s22
	v_lshl_or_b32 v33, v33, 16, v48
	v_and_b32_e32 v48, 0x80402010, v32
	v_cmp_ne_u16_sdwa s[20:21], v48, v13 src0_sel:BYTE_3 src1_sel:DWORD
	v_cmp_ne_u16_sdwa s[24:25], v48, v13 src0_sel:BYTE_1 src1_sel:DWORD
	v_lshrrev_b32_e32 v32, 22, v32
	v_lshrrev_b16_e32 v48, 4, v48
	v_cndmask_b32_e64 v49, 0, -1, s[24:25]
	v_cndmask_b32_e64 v51, 0, -1, s[20:21]
	v_bfe_i32 v48, v48, 0, 1
	v_lshlrev_b16_e32 v49, 8, v49
	v_bfe_i32 v32, v32, 0, 1
	v_lshlrev_b16_e32 v51, 8, v51
	v_or_b32_sdwa v50, v48, v49 dst_sel:DWORD dst_unused:UNUSED_PAD src0_sel:BYTE_0 src1_sel:DWORD
	v_or_b32_sdwa v52, v32, v51 dst_sel:WORD_1 dst_unused:UNUSED_PAD src0_sel:BYTE_0 src1_sel:DWORD
	v_or_b32_sdwa v50, v50, v52 dst_sel:DWORD dst_unused:UNUSED_PAD src0_sel:WORD_0 src1_sel:DWORD
	v_xor_b32_e32 v34, v34, v50
	v_and_b32_e32 v50, 0xffffff00, v34
	v_sub_i16 v49, v50, v49 clamp
	v_lshlrev_b16_e32 v50, 8, v34
	v_lshlrev_b16_e32 v48, 8, v48
	v_sub_i16 v48, v50, v48 clamp
	v_perm_b32 v48, v48, v49, s22
	v_and_b32_sdwa v49, v34, s26 dst_sel:DWORD dst_unused:UNUSED_PAD src0_sel:WORD_1 src1_sel:DWORD
	v_lshlrev_b16_sdwa v34, v44, v34 dst_sel:DWORD dst_unused:UNUSED_PAD src0_sel:DWORD src1_sel:WORD_1
	v_lshlrev_b16_e32 v32, 8, v32
	v_sub_i16 v49, v49, v51 clamp
	v_sub_i16 v32, v34, v32 clamp
	v_perm_b32 v32, v32, v49, s22
	v_lshl_or_b32 v32, v32, 16, v48
	v_dot4_i32_i8 v33, v33, v5, v36
	v_dot4_i32_i8 v32, v32, v45, v33
	v_lshrrev_b32_e32 v33, 4, v35
	v_and_b32_e32 v34, 15, v35
	v_mul_lo_u32 v34, v31, v34
	v_mul_lo_u32 v33, v32, v33
	v_add_u32_e32 v31, v32, v31
	v_lshrrev_b32_e32 v32, 31, v31
	v_add_u32_e32 v31, v31, v32
	v_ashrrev_i32_e32 v31, 1, v31
	v_add3_u32 v31, v33, v34, v31
	v_ashrrev_i32_e32 v32, 31, v31
	v_lshrrev_b32_e32 v32, 30, v32
	v_add_u32_e32 v31, v31, v32
	v_ashrrev_i32_e32 v31, 2, v31
	v_cvt_f32_i32_e32 v30, v31
	v_fma_f32 v10, v29, v30, v10
.LBB169_20:                             ;   in Loop: Header=BB169_18 Depth=1
	v_mov_b32_e32 v30, s13
	v_add_u32_e32 v66, s27, v41
	v_mov_b32_e32 v29, s12
	v_mad_i64_i32 v[29:30], s[20:21], v66, s33, v[29:30]
	v_add_co_u32_e32 v31, vcc, v29, v43
	v_addc_co_u32_e32 v32, vcc, 0, v30, vcc
	global_load_dwordx2 v[50:51], v[31:32], off offset:2
	global_load_ushort v48, v[29:30], off
	v_bfe_u32 v31, v27, 9, 7
	v_lshrrev_b32_e32 v32, 25, v27
	v_bcnt_u32_b32 v33, v31, 0
	v_bcnt_u32_b32 v52, v32, 0
	v_and_b32_e32 v32, 1, v33
	v_lshl_or_b32 v31, v32, 7, v31
	v_mul_lo_u32 v61, v31, s35
	v_add_co_u32_e32 v31, vcc, v29, v42
	v_addc_co_u32_e32 v32, vcc, 0, v30, vcc
	v_and_b32_e32 v29, 0x8040201, v61
	v_cmp_ne_u16_sdwa s[90:91], v29, v13 src0_sel:BYTE_3 src1_sel:DWORD
	v_cmp_ne_u16_sdwa s[94:95], v29, v13 src0_sel:BYTE_1 src1_sel:DWORD
	global_load_ubyte v49, v[31:32], off offset:66
	v_and_b32_e32 v52, 1, v52
	v_alignbit_b32 v27, v52, v27, 25
	v_mul_lo_u32 v63, v27, s35
	v_and_b32_e32 v65, 0x80402010, v61
	v_cmp_ne_u16_sdwa s[88:89], v65, v13 src0_sel:BYTE_3 src1_sel:DWORD
	v_cmp_ne_u16_sdwa s[92:93], v65, v13 src0_sel:BYTE_1 src1_sel:DWORD
	v_and_b32_e32 v27, 0x8040201, v63
	v_cmp_ne_u16_sdwa s[84:85], v27, v13 src0_sel:BYTE_3 src1_sel:DWORD
	v_cmp_ne_u16_sdwa s[86:87], v27, v13 src0_sel:BYTE_1 src1_sel:DWORD
	v_bfe_u32 v27, v28, 9, 7
	v_bcnt_u32_b32 v52, v27, 0
	v_and_b32_e32 v52, 1, v52
	v_lshl_or_b32 v27, v52, 7, v27
	v_mul_lo_u32 v60, v27, s35
	v_and_b32_e32 v64, 0x80402010, v63
	v_cmp_ne_u16_sdwa s[80:81], v64, v13 src0_sel:BYTE_3 src1_sel:DWORD
	v_cmp_ne_u16_sdwa s[82:83], v64, v13 src0_sel:BYTE_1 src1_sel:DWORD
	v_and_b32_e32 v27, 0x8040201, v60
	v_cmp_ne_u16_sdwa s[76:77], v27, v13 src0_sel:BYTE_3 src1_sel:DWORD
	v_cmp_ne_u16_sdwa s[78:79], v27, v13 src0_sel:BYTE_1 src1_sel:DWORD
	v_lshrrev_b32_e32 v27, 25, v28
	v_bcnt_u32_b32 v27, v27, 0
	v_and_b32_e32 v27, 1, v27
	v_alignbit_b32 v27, v27, v28, 25
	v_mul_lo_u32 v58, v27, s35
	v_and_b32_e32 v62, 0x80402010, v60
	v_cmp_ne_u16_sdwa s[72:73], v62, v13 src0_sel:BYTE_3 src1_sel:DWORD
	v_cmp_ne_u16_sdwa s[74:75], v62, v13 src0_sel:BYTE_1 src1_sel:DWORD
	v_and_b32_e32 v27, 0x8040201, v58
	v_cmp_ne_u16_sdwa s[68:69], v27, v13 src0_sel:BYTE_3 src1_sel:DWORD
	v_cmp_ne_u16_sdwa s[70:71], v27, v13 src0_sel:BYTE_1 src1_sel:DWORD
	;; [unrolled: 3-line block ×3, first 2 shown]
	s_and_b64 vcc, exec, s[6:7]
	s_waitcnt vmcnt(2)
	v_and_b32_e32 v29, 0x1ff, v50
	v_lshrrev_b32_e32 v30, 13, v50
	v_and_b32_e32 v31, 0x1ff, v51
	v_lshrrev_b32_e32 v32, 13, v51
	v_lshlrev_b32_e32 v53, 3, v29
	v_and_b32_e32 v54, 0xff8, v30
	v_lshlrev_b32_e32 v55, 3, v31
	v_and_b32_e32 v56, 0xff8, v32
	global_load_dwordx2 v[35:36], v53, s[10:11]
	global_load_dwordx2 v[33:34], v54, s[10:11]
	;; [unrolled: 1-line block ×4, first 2 shown]
	v_bfe_u32 v27, v50, 9, 7
	v_bcnt_u32_b32 v28, v27, 0
	v_and_b32_e32 v28, 1, v28
	v_lshl_or_b32 v27, v28, 7, v27
	v_mul_lo_u32 v56, v27, s35
	v_and_b32_e32 v27, 0x8040201, v56
	v_cmp_ne_u16_sdwa s[60:61], v27, v13 src0_sel:BYTE_3 src1_sel:DWORD
	v_cmp_ne_u16_sdwa s[62:63], v27, v13 src0_sel:BYTE_1 src1_sel:DWORD
	v_lshrrev_b32_e32 v27, 25, v50
	v_bcnt_u32_b32 v27, v27, 0
	v_and_b32_e32 v27, 1, v27
	v_alignbit_b32 v27, v27, v50, 25
	v_mul_lo_u32 v54, v27, s35
	v_and_b32_e32 v57, 0x80402010, v56
	v_cmp_ne_u16_sdwa s[56:57], v57, v13 src0_sel:BYTE_3 src1_sel:DWORD
	v_cmp_ne_u16_sdwa s[58:59], v57, v13 src0_sel:BYTE_1 src1_sel:DWORD
	v_and_b32_e32 v27, 0x8040201, v54
	v_cmp_ne_u16_sdwa s[52:53], v27, v13 src0_sel:BYTE_3 src1_sel:DWORD
	v_cmp_ne_u16_sdwa s[54:55], v27, v13 src0_sel:BYTE_1 src1_sel:DWORD
	v_bfe_u32 v27, v51, 9, 7
	v_bcnt_u32_b32 v28, v27, 0
	v_and_b32_e32 v28, 1, v28
	v_lshl_or_b32 v27, v28, 7, v27
	v_mul_lo_u32 v52, v27, s35
	v_and_b32_e32 v55, 0x80402010, v54
	v_cmp_ne_u16_sdwa s[48:49], v55, v13 src0_sel:BYTE_3 src1_sel:DWORD
	v_cmp_ne_u16_sdwa s[50:51], v55, v13 src0_sel:BYTE_1 src1_sel:DWORD
	v_and_b32_e32 v27, 0x8040201, v52
	v_cmp_ne_u16_sdwa s[44:45], v27, v13 src0_sel:BYTE_3 src1_sel:DWORD
	v_cmp_ne_u16_sdwa s[46:47], v27, v13 src0_sel:BYTE_1 src1_sel:DWORD
	v_lshrrev_b32_e32 v27, 25, v51
	v_bcnt_u32_b32 v27, v27, 0
	v_and_b32_e32 v27, 1, v27
	v_alignbit_b32 v27, v27, v51, 25
	v_mul_lo_u32 v50, v27, s35
	v_and_b32_e32 v53, 0x80402010, v52
	v_cmp_ne_u16_sdwa s[40:41], v53, v13 src0_sel:BYTE_3 src1_sel:DWORD
	v_cmp_ne_u16_sdwa s[42:43], v53, v13 src0_sel:BYTE_1 src1_sel:DWORD
	v_and_b32_e32 v27, 0x8040201, v50
	v_and_b32_e32 v51, 0x80402010, v50
	v_cmp_ne_u16_sdwa s[24:25], v27, v13 src0_sel:BYTE_3 src1_sel:DWORD
	v_cmp_ne_u16_sdwa s[36:37], v27, v13 src0_sel:BYTE_1 src1_sel:DWORD
	v_cmp_ne_u16_sdwa s[10:11], v51, v13 src0_sel:BYTE_3 src1_sel:DWORD
	v_cmp_ne_u16_sdwa s[20:21], v51, v13 src0_sel:BYTE_1 src1_sel:DWORD
	s_cbranch_vccnz .LBB169_17
; %bb.21:                               ;   in Loop: Header=BB169_18 Depth=1
	v_mov_b32_e32 v27, s28
	v_mov_b32_e32 v28, s29
	v_mad_i64_i32 v[27:28], vcc, v66, s33, v[27:28]
	v_add_co_u32_e32 v66, vcc, v27, v43
	v_addc_co_u32_e32 v67, vcc, 0, v28, vcc
	global_load_dwordx2 v[66:67], v[66:67], off offset:2
	v_add_co_u32_e32 v68, vcc, v27, v42
	v_addc_co_u32_e32 v69, vcc, 0, v28, vcc
	global_load_ubyte v70, v[68:69], off offset:66
	s_getpc_b64 vcc
	s_add_u32 vcc_lo, vcc_lo, _ZL10iq2xs_grid@rel32@lo+4
	s_addc_u32 vcc_hi, vcc_hi, _ZL10iq2xs_grid@rel32@hi+12
	global_load_ushort v27, v[27:28], off
	s_waitcnt vmcnt(2)
	v_and_b32_e32 v68, 0x1ff, v66
	v_lshlrev_b32_e32 v68, 3, v68
	global_load_dwordx2 v[68:69], v68, vcc
	v_bfe_u32 v71, v66, 9, 7
	v_bcnt_u32_b32 v72, v71, 0
	v_and_b32_e32 v72, 1, v72
	v_lshl_or_b32 v71, v72, 7, v71
	v_mul_lo_u32 v71, v71, s35
	s_waitcnt vmcnt(1)
	v_cvt_f32_f16_e32 v27, v27
	v_and_b32_e32 v72, 0x8040201, v71
	v_cmp_ne_u16_sdwa s[38:39], v72, v13 src0_sel:BYTE_3 src1_sel:DWORD
	v_cmp_ne_u16_sdwa s[2:3], v72, v13 src0_sel:BYTE_1 src1_sel:DWORD
	v_lshrrev_b32_e32 v73, 18, v71
	v_cndmask_b32_e64 v74, 0, -1, s[2:3]
	v_cndmask_b32_e64 v76, 0, -1, s[38:39]
	v_bfe_i32 v72, v71, 0, 1
	v_lshlrev_b16_e32 v74, 8, v74
	v_bfe_i32 v73, v73, 0, 1
	v_lshlrev_b16_e32 v76, 8, v76
	v_or_b32_sdwa v75, v72, v74 dst_sel:DWORD dst_unused:UNUSED_PAD src0_sel:BYTE_0 src1_sel:DWORD
	v_or_b32_sdwa v77, v73, v76 dst_sel:WORD_1 dst_unused:UNUSED_PAD src0_sel:BYTE_0 src1_sel:DWORD
	v_or_b32_sdwa v75, v75, v77 dst_sel:DWORD dst_unused:UNUSED_PAD src0_sel:WORD_0 src1_sel:DWORD
	v_lshlrev_b16_e32 v72, 8, v72
	v_lshlrev_b16_e32 v73, 8, v73
	v_mul_f32_e32 v27, v6, v27
	s_waitcnt vmcnt(0)
	v_xor_b32_e32 v68, v68, v75
	v_and_b32_e32 v75, 0xffffff00, v68
	v_sub_i16 v74, v75, v74 clamp
	v_lshlrev_b16_e32 v75, 8, v68
	v_sub_i16 v72, v75, v72 clamp
	v_perm_b32 v72, v72, v74, s22
	v_and_b32_sdwa v74, v68, s26 dst_sel:DWORD dst_unused:UNUSED_PAD src0_sel:WORD_1 src1_sel:DWORD
	v_lshlrev_b16_sdwa v68, v44, v68 dst_sel:DWORD dst_unused:UNUSED_PAD src0_sel:DWORD src1_sel:WORD_1
	v_sub_i16 v74, v74, v76 clamp
	v_sub_i16 v68, v68, v73 clamp
	v_perm_b32 v68, v68, v74, s22
	v_lshl_or_b32 v68, v68, 16, v72
	v_and_b32_e32 v72, 0x80402010, v71
	v_cmp_ne_u16_sdwa s[2:3], v72, v13 src0_sel:BYTE_3 src1_sel:DWORD
	v_cmp_ne_u16_sdwa s[38:39], v72, v13 src0_sel:BYTE_1 src1_sel:DWORD
	v_lshrrev_b32_e32 v71, 22, v71
	v_lshrrev_b16_e32 v72, 4, v72
	v_cndmask_b32_e64 v73, 0, -1, s[38:39]
	v_cndmask_b32_e64 v75, 0, -1, s[2:3]
	v_bfe_i32 v72, v72, 0, 1
	v_lshlrev_b16_e32 v73, 8, v73
	v_bfe_i32 v71, v71, 0, 1
	v_lshlrev_b16_e32 v75, 8, v75
	v_or_b32_sdwa v74, v72, v73 dst_sel:DWORD dst_unused:UNUSED_PAD src0_sel:BYTE_0 src1_sel:DWORD
	v_or_b32_sdwa v76, v71, v75 dst_sel:WORD_1 dst_unused:UNUSED_PAD src0_sel:BYTE_0 src1_sel:DWORD
	v_or_b32_sdwa v74, v74, v76 dst_sel:DWORD dst_unused:UNUSED_PAD src0_sel:WORD_0 src1_sel:DWORD
	v_xor_b32_e32 v69, v69, v74
	v_and_b32_e32 v74, 0xffffff00, v69
	v_sub_i16 v73, v74, v73 clamp
	v_lshlrev_b16_e32 v74, 8, v69
	v_lshlrev_b16_e32 v72, 8, v72
	v_sub_i16 v72, v74, v72 clamp
	v_perm_b32 v72, v72, v73, s22
	v_and_b32_sdwa v73, v69, s26 dst_sel:DWORD dst_unused:UNUSED_PAD src0_sel:WORD_1 src1_sel:DWORD
	v_lshlrev_b16_sdwa v69, v44, v69 dst_sel:DWORD dst_unused:UNUSED_PAD src0_sel:DWORD src1_sel:WORD_1
	v_lshlrev_b16_e32 v71, 8, v71
	v_sub_i16 v73, v73, v75 clamp
	v_sub_i16 v69, v69, v71 clamp
	v_perm_b32 v69, v69, v73, s22
	v_lshl_or_b32 v69, v69, 16, v72
	v_dot4_i32_i8 v68, v68, v7, 0
	v_dot4_i32_i8 v71, v69, v8, v68
	v_lshrrev_b32_e32 v68, 13, v66
	v_and_b32_e32 v68, 0xff8, v68
	global_load_dwordx2 v[68:69], v68, vcc
	v_lshrrev_b32_e32 v72, 25, v66
	v_bcnt_u32_b32 v72, v72, 0
	v_and_b32_e32 v72, 1, v72
	v_alignbit_b32 v66, v72, v66, 25
	v_mul_lo_u32 v66, v66, s35
	v_and_b32_e32 v72, 0x8040201, v66
	v_cmp_ne_u16_sdwa s[2:3], v72, v13 src0_sel:BYTE_3 src1_sel:DWORD
	v_cmp_ne_u16_sdwa s[38:39], v72, v13 src0_sel:BYTE_1 src1_sel:DWORD
	v_lshrrev_b32_e32 v73, 18, v66
	v_cndmask_b32_e64 v74, 0, -1, s[38:39]
	v_cndmask_b32_e64 v76, 0, -1, s[2:3]
	v_bfe_i32 v72, v66, 0, 1
	v_lshlrev_b16_e32 v74, 8, v74
	v_bfe_i32 v73, v73, 0, 1
	v_lshlrev_b16_e32 v76, 8, v76
	v_or_b32_sdwa v75, v72, v74 dst_sel:DWORD dst_unused:UNUSED_PAD src0_sel:BYTE_0 src1_sel:DWORD
	v_or_b32_sdwa v77, v73, v76 dst_sel:WORD_1 dst_unused:UNUSED_PAD src0_sel:BYTE_0 src1_sel:DWORD
	v_or_b32_sdwa v75, v75, v77 dst_sel:DWORD dst_unused:UNUSED_PAD src0_sel:WORD_0 src1_sel:DWORD
	v_lshlrev_b16_e32 v72, 8, v72
	v_lshlrev_b16_e32 v73, 8, v73
	s_waitcnt vmcnt(0)
	v_xor_b32_e32 v68, v68, v75
	v_and_b32_e32 v75, 0xffffff00, v68
	v_sub_i16 v74, v75, v74 clamp
	v_lshlrev_b16_e32 v75, 8, v68
	v_sub_i16 v72, v75, v72 clamp
	v_perm_b32 v72, v72, v74, s22
	v_and_b32_sdwa v74, v68, s26 dst_sel:DWORD dst_unused:UNUSED_PAD src0_sel:WORD_1 src1_sel:DWORD
	v_lshlrev_b16_sdwa v68, v44, v68 dst_sel:DWORD dst_unused:UNUSED_PAD src0_sel:DWORD src1_sel:WORD_1
	v_sub_i16 v74, v74, v76 clamp
	v_sub_i16 v68, v68, v73 clamp
	v_perm_b32 v68, v68, v74, s22
	v_lshl_or_b32 v68, v68, 16, v72
	v_and_b32_e32 v72, 0x80402010, v66
	v_cmp_ne_u16_sdwa s[2:3], v72, v13 src0_sel:BYTE_3 src1_sel:DWORD
	v_cmp_ne_u16_sdwa s[38:39], v72, v13 src0_sel:BYTE_1 src1_sel:DWORD
	v_lshrrev_b32_e32 v66, 22, v66
	v_lshrrev_b16_e32 v72, 4, v72
	v_cndmask_b32_e64 v73, 0, -1, s[38:39]
	v_cndmask_b32_e64 v75, 0, -1, s[2:3]
	v_bfe_i32 v72, v72, 0, 1
	v_lshlrev_b16_e32 v73, 8, v73
	v_bfe_i32 v66, v66, 0, 1
	v_lshlrev_b16_e32 v75, 8, v75
	v_or_b32_sdwa v74, v72, v73 dst_sel:DWORD dst_unused:UNUSED_PAD src0_sel:BYTE_0 src1_sel:DWORD
	v_or_b32_sdwa v76, v66, v75 dst_sel:WORD_1 dst_unused:UNUSED_PAD src0_sel:BYTE_0 src1_sel:DWORD
	v_or_b32_sdwa v74, v74, v76 dst_sel:DWORD dst_unused:UNUSED_PAD src0_sel:WORD_0 src1_sel:DWORD
	v_xor_b32_e32 v69, v69, v74
	v_and_b32_e32 v74, 0xffffff00, v69
	v_sub_i16 v73, v74, v73 clamp
	v_lshlrev_b16_e32 v74, 8, v69
	v_lshlrev_b16_e32 v72, 8, v72
	v_sub_i16 v72, v74, v72 clamp
	v_perm_b32 v72, v72, v73, s22
	v_and_b32_sdwa v73, v69, s26 dst_sel:DWORD dst_unused:UNUSED_PAD src0_sel:WORD_1 src1_sel:DWORD
	v_lshlrev_b16_sdwa v69, v44, v69 dst_sel:DWORD dst_unused:UNUSED_PAD src0_sel:DWORD src1_sel:WORD_1
	v_lshlrev_b16_e32 v66, 8, v66
	v_sub_i16 v73, v73, v75 clamp
	v_sub_i16 v66, v69, v66 clamp
	v_perm_b32 v66, v66, v73, s22
	v_lshl_or_b32 v66, v66, 16, v72
	v_dot4_i32_i8 v68, v68, v9, v71
	v_dot4_i32_i8 v66, v66, v2, v68
	v_and_b32_e32 v68, 0x1ff, v67
	v_lshlrev_b32_e32 v68, 3, v68
	global_load_dwordx2 v[68:69], v68, vcc
	v_bfe_u32 v71, v67, 9, 7
	v_bcnt_u32_b32 v72, v71, 0
	v_and_b32_e32 v72, 1, v72
	v_lshl_or_b32 v71, v72, 7, v71
	v_mul_lo_u32 v71, v71, s35
	v_and_b32_e32 v72, 0x8040201, v71
	v_cmp_ne_u16_sdwa s[2:3], v72, v13 src0_sel:BYTE_3 src1_sel:DWORD
	v_cmp_ne_u16_sdwa s[38:39], v72, v13 src0_sel:BYTE_1 src1_sel:DWORD
	v_lshrrev_b32_e32 v73, 18, v71
	v_cndmask_b32_e64 v74, 0, -1, s[38:39]
	v_cndmask_b32_e64 v76, 0, -1, s[2:3]
	v_bfe_i32 v72, v71, 0, 1
	v_lshlrev_b16_e32 v74, 8, v74
	v_bfe_i32 v73, v73, 0, 1
	v_lshlrev_b16_e32 v76, 8, v76
	v_or_b32_sdwa v75, v72, v74 dst_sel:DWORD dst_unused:UNUSED_PAD src0_sel:BYTE_0 src1_sel:DWORD
	v_or_b32_sdwa v77, v73, v76 dst_sel:WORD_1 dst_unused:UNUSED_PAD src0_sel:BYTE_0 src1_sel:DWORD
	v_or_b32_sdwa v75, v75, v77 dst_sel:DWORD dst_unused:UNUSED_PAD src0_sel:WORD_0 src1_sel:DWORD
	v_lshlrev_b16_e32 v72, 8, v72
	v_lshlrev_b16_e32 v73, 8, v73
	s_waitcnt vmcnt(0)
	v_xor_b32_e32 v68, v68, v75
	v_and_b32_e32 v75, 0xffffff00, v68
	v_sub_i16 v74, v75, v74 clamp
	v_lshlrev_b16_e32 v75, 8, v68
	v_sub_i16 v72, v75, v72 clamp
	v_perm_b32 v72, v72, v74, s22
	v_and_b32_sdwa v74, v68, s26 dst_sel:DWORD dst_unused:UNUSED_PAD src0_sel:WORD_1 src1_sel:DWORD
	v_lshlrev_b16_sdwa v68, v44, v68 dst_sel:DWORD dst_unused:UNUSED_PAD src0_sel:DWORD src1_sel:WORD_1
	v_sub_i16 v74, v74, v76 clamp
	v_sub_i16 v68, v68, v73 clamp
	v_perm_b32 v68, v68, v74, s22
	v_lshl_or_b32 v68, v68, 16, v72
	v_and_b32_e32 v72, 0x80402010, v71
	v_cmp_ne_u16_sdwa s[2:3], v72, v13 src0_sel:BYTE_3 src1_sel:DWORD
	v_cmp_ne_u16_sdwa s[38:39], v72, v13 src0_sel:BYTE_1 src1_sel:DWORD
	v_lshrrev_b32_e32 v71, 22, v71
	v_lshrrev_b16_e32 v72, 4, v72
	v_cndmask_b32_e64 v73, 0, -1, s[38:39]
	v_cndmask_b32_e64 v75, 0, -1, s[2:3]
	v_bfe_i32 v72, v72, 0, 1
	v_lshlrev_b16_e32 v73, 8, v73
	v_bfe_i32 v71, v71, 0, 1
	v_lshlrev_b16_e32 v75, 8, v75
	v_or_b32_sdwa v74, v72, v73 dst_sel:DWORD dst_unused:UNUSED_PAD src0_sel:BYTE_0 src1_sel:DWORD
	v_or_b32_sdwa v76, v71, v75 dst_sel:WORD_1 dst_unused:UNUSED_PAD src0_sel:BYTE_0 src1_sel:DWORD
	v_or_b32_sdwa v74, v74, v76 dst_sel:DWORD dst_unused:UNUSED_PAD src0_sel:WORD_0 src1_sel:DWORD
	v_xor_b32_e32 v69, v69, v74
	v_and_b32_e32 v74, 0xffffff00, v69
	v_sub_i16 v73, v74, v73 clamp
	v_lshlrev_b16_e32 v74, 8, v69
	v_lshlrev_b16_e32 v72, 8, v72
	v_sub_i16 v72, v74, v72 clamp
	v_perm_b32 v72, v72, v73, s22
	v_and_b32_sdwa v73, v69, s26 dst_sel:DWORD dst_unused:UNUSED_PAD src0_sel:WORD_1 src1_sel:DWORD
	v_lshlrev_b16_sdwa v69, v44, v69 dst_sel:DWORD dst_unused:UNUSED_PAD src0_sel:DWORD src1_sel:WORD_1
	v_lshlrev_b16_e32 v71, 8, v71
	v_sub_i16 v73, v73, v75 clamp
	v_sub_i16 v69, v69, v71 clamp
	v_perm_b32 v69, v69, v73, s22
	v_lshl_or_b32 v69, v69, 16, v72
	v_dot4_i32_i8 v68, v68, v3, 0
	v_dot4_i32_i8 v71, v69, v4, v68
	v_lshrrev_b32_e32 v68, 13, v67
	v_and_b32_e32 v68, 0xff8, v68
	global_load_dwordx2 v[68:69], v68, vcc
	v_lshrrev_b32_e32 v72, 25, v67
	v_bcnt_u32_b32 v72, v72, 0
	v_and_b32_e32 v72, 1, v72
	v_alignbit_b32 v67, v72, v67, 25
	v_mul_lo_u32 v67, v67, s35
	v_and_b32_e32 v72, 0x8040201, v67
	v_cmp_ne_u16_sdwa s[2:3], v72, v13 src0_sel:BYTE_3 src1_sel:DWORD
	v_cmp_ne_u16_sdwa s[38:39], v72, v13 src0_sel:BYTE_1 src1_sel:DWORD
	v_lshrrev_b32_e32 v73, 18, v67
	v_cndmask_b32_e64 v74, 0, -1, s[38:39]
	v_cndmask_b32_e64 v76, 0, -1, s[2:3]
	v_bfe_i32 v72, v67, 0, 1
	v_lshlrev_b16_e32 v74, 8, v74
	v_bfe_i32 v73, v73, 0, 1
	v_lshlrev_b16_e32 v76, 8, v76
	v_or_b32_sdwa v75, v72, v74 dst_sel:DWORD dst_unused:UNUSED_PAD src0_sel:BYTE_0 src1_sel:DWORD
	v_or_b32_sdwa v77, v73, v76 dst_sel:WORD_1 dst_unused:UNUSED_PAD src0_sel:BYTE_0 src1_sel:DWORD
	v_or_b32_sdwa v75, v75, v77 dst_sel:DWORD dst_unused:UNUSED_PAD src0_sel:WORD_0 src1_sel:DWORD
	v_lshlrev_b16_e32 v72, 8, v72
	v_lshlrev_b16_e32 v73, 8, v73
	s_waitcnt vmcnt(0)
	v_xor_b32_e32 v68, v68, v75
	v_and_b32_e32 v75, 0xffffff00, v68
	v_sub_i16 v74, v75, v74 clamp
	v_lshlrev_b16_e32 v75, 8, v68
	v_sub_i16 v72, v75, v72 clamp
	v_perm_b32 v72, v72, v74, s22
	v_and_b32_sdwa v74, v68, s26 dst_sel:DWORD dst_unused:UNUSED_PAD src0_sel:WORD_1 src1_sel:DWORD
	v_lshlrev_b16_sdwa v68, v44, v68 dst_sel:DWORD dst_unused:UNUSED_PAD src0_sel:DWORD src1_sel:WORD_1
	v_sub_i16 v74, v74, v76 clamp
	v_sub_i16 v68, v68, v73 clamp
	v_perm_b32 v68, v68, v74, s22
	v_lshl_or_b32 v68, v68, 16, v72
	v_and_b32_e32 v72, 0x80402010, v67
	v_cmp_ne_u16_sdwa s[2:3], v72, v13 src0_sel:BYTE_3 src1_sel:DWORD
	v_cmp_ne_u16_sdwa s[38:39], v72, v13 src0_sel:BYTE_1 src1_sel:DWORD
	v_lshrrev_b32_e32 v67, 22, v67
	v_lshrrev_b16_e32 v72, 4, v72
	v_cndmask_b32_e64 v73, 0, -1, s[38:39]
	v_cndmask_b32_e64 v75, 0, -1, s[2:3]
	v_bfe_i32 v72, v72, 0, 1
	v_lshlrev_b16_e32 v73, 8, v73
	v_bfe_i32 v67, v67, 0, 1
	v_lshlrev_b16_e32 v75, 8, v75
	v_or_b32_sdwa v74, v72, v73 dst_sel:DWORD dst_unused:UNUSED_PAD src0_sel:BYTE_0 src1_sel:DWORD
	v_or_b32_sdwa v76, v67, v75 dst_sel:WORD_1 dst_unused:UNUSED_PAD src0_sel:BYTE_0 src1_sel:DWORD
	v_or_b32_sdwa v74, v74, v76 dst_sel:DWORD dst_unused:UNUSED_PAD src0_sel:WORD_0 src1_sel:DWORD
	v_xor_b32_e32 v69, v69, v74
	v_and_b32_e32 v74, 0xffffff00, v69
	v_sub_i16 v73, v74, v73 clamp
	v_lshlrev_b16_e32 v74, 8, v69
	v_lshlrev_b16_e32 v72, 8, v72
	v_sub_i16 v72, v74, v72 clamp
	v_perm_b32 v72, v72, v73, s22
	v_and_b32_sdwa v73, v69, s26 dst_sel:DWORD dst_unused:UNUSED_PAD src0_sel:WORD_1 src1_sel:DWORD
	v_lshlrev_b16_sdwa v69, v44, v69 dst_sel:DWORD dst_unused:UNUSED_PAD src0_sel:DWORD src1_sel:WORD_1
	v_lshlrev_b16_e32 v67, 8, v67
	v_sub_i16 v73, v73, v75 clamp
	v_sub_i16 v67, v69, v67 clamp
	v_perm_b32 v67, v67, v73, s22
	v_lshl_or_b32 v67, v67, 16, v72
	v_dot4_i32_i8 v68, v68, v5, v71
	v_dot4_i32_i8 v67, v67, v45, v68
	v_lshrrev_b32_e32 v68, 4, v70
	v_and_b32_e32 v69, 15, v70
	v_mul_lo_u32 v69, v66, v69
	v_mul_lo_u32 v68, v67, v68
	v_add_u32_e32 v66, v67, v66
	v_lshrrev_b32_e32 v67, 31, v66
	v_add_u32_e32 v66, v66, v67
	v_ashrrev_i32_e32 v66, 1, v66
	v_add3_u32 v66, v68, v69, v66
	v_ashrrev_i32_e32 v67, 31, v66
	v_lshrrev_b32_e32 v67, 30, v67
	v_add_u32_e32 v66, v66, v67
	v_ashrrev_i32_e32 v66, 2, v66
	v_cvt_f32_i32_e32 v28, v66
	v_fma_f32 v11, v27, v28, v11
	s_branch .LBB169_17
.LBB169_22:
	s_or_b64 exec, exec, s[14:15]
	v_readlane_b32 s26, v78, 2
	v_readlane_b32 s27, v78, 3
.LBB169_23:
	s_or_b64 exec, exec, s[30:31]
	s_load_dword s14, s[4:5], 0x30
	v_cmp_eq_u32_e64 s[6:7], 0, v1
	v_cmp_ne_u32_e32 vcc, 0, v1
	v_lshlrev_b32_e32 v2, 2, v0
	s_and_saveexec_b64 s[10:11], vcc
	s_cbranch_execz .LBB169_28
; %bb.24:
	v_readlane_b32 s2, v78, 0
	v_lshl_or_b32 v1, v1, 9, v2
	v_readlane_b32 s3, v78, 1
	v_add_u32_e32 v3, 0xfffffe00, v1
	s_mov_b64 s[12:13], -1
	s_and_b64 vcc, exec, s[2:3]
	ds_write_b32 v3, v14
	s_cbranch_vccz .LBB169_26
; %bb.25:
	ds_write_b32 v3, v12 offset:256
	s_mov_b64 s[12:13], 0
.LBB169_26:
	s_andn2_b64 vcc, exec, s[12:13]
	s_cbranch_vccnz .LBB169_28
; %bb.27:
	ds_write_b32 v3, v12 offset:256
	ds_write2st64_b32 v1, v10, v11 offset1:1
.LBB169_28:
	s_or_b64 exec, exec, s[10:11]
	s_waitcnt vmcnt(0) lgkmcnt(0)
	s_barrier
	s_and_saveexec_b64 s[2:3], s[6:7]
	s_cbranch_execz .LBB169_61
; %bb.29:
	ds_read_b32 v4, v2
	v_cmp_ne_u32_e64 s[6:7], 1, v40
	s_andn2_b64 vcc, exec, s[18:19]
	v_or_b32_e32 v3, 0x200, v2
	s_cbranch_vccnz .LBB169_31
; %bb.30:
	ds_read_b32 v1, v3
	s_waitcnt lgkmcnt(0)
	v_add_f32_e32 v10, v10, v1
.LBB169_31:
	v_mbcnt_lo_u32_b32 v1, -1, 0
	v_mbcnt_hi_u32_b32 v5, -1, v1
	v_and_b32_e32 v1, 64, v5
	v_add_u32_e32 v13, 64, v1
	v_xor_b32_e32 v1, 32, v5
	v_cmp_lt_i32_e32 vcc, v1, v13
	v_cndmask_b32_e32 v1, v5, v1, vcc
	v_lshlrev_b32_e32 v1, 2, v1
	s_waitcnt lgkmcnt(0)
	v_add_f32_e32 v4, v14, v4
	ds_bpermute_b32 v7, v1, v4
	v_xor_b32_e32 v6, 16, v5
	v_cmp_lt_i32_e32 vcc, v6, v13
	v_cndmask_b32_e32 v6, v5, v6, vcc
	v_lshlrev_b32_e32 v6, 2, v6
	s_waitcnt lgkmcnt(0)
	v_add_f32_e32 v4, v4, v7
	ds_bpermute_b32 v8, v6, v4
	;; [unrolled: 7-line block ×6, first 2 shown]
	s_and_b64 vcc, exec, s[6:7]
	s_cbranch_vccnz .LBB169_33
; %bb.32:
	ds_bpermute_b32 v14, v1, v10
	s_waitcnt lgkmcnt(0)
	v_add_f32_e32 v10, v10, v14
	ds_bpermute_b32 v14, v6, v10
	s_waitcnt lgkmcnt(0)
	v_add_f32_e32 v10, v10, v14
	;; [unrolled: 3-line block ×6, first 2 shown]
.LBB169_33:
	ds_read_b32 v14, v2 offset:256
	s_and_b64 vcc, exec, s[6:7]
	s_cbranch_vccnz .LBB169_35
; %bb.34:
	ds_read_b32 v3, v3 offset:256
	s_waitcnt lgkmcnt(0)
	v_add_f32_e32 v11, v11, v3
.LBB169_35:
	s_waitcnt lgkmcnt(0)
	v_add_f32_e32 v3, v12, v14
	ds_bpermute_b32 v12, v1, v3
	s_and_b64 vcc, exec, s[6:7]
	s_waitcnt lgkmcnt(0)
	v_add_f32_e32 v3, v3, v12
	ds_bpermute_b32 v12, v6, v3
	s_waitcnt lgkmcnt(0)
	v_add_f32_e32 v3, v3, v12
	ds_bpermute_b32 v12, v7, v3
	;; [unrolled: 3-line block ×5, first 2 shown]
	s_cbranch_vccnz .LBB169_37
; %bb.36:
	ds_bpermute_b32 v1, v1, v11
	s_waitcnt lgkmcnt(0)
	v_add_f32_e32 v1, v11, v1
	ds_bpermute_b32 v6, v6, v1
	s_waitcnt lgkmcnt(0)
	v_add_f32_e32 v1, v1, v6
	;; [unrolled: 3-line block ×6, first 2 shown]
.LBB169_37:
	v_cmp_gt_u32_e32 vcc, s9, v37
	v_cmp_gt_u32_e64 s[10:11], 2, v0
	s_and_b64 s[2:3], s[10:11], vcc
	s_and_b64 exec, exec, s[2:3]
	s_cbranch_execz .LBB169_61
; %bb.38:
	v_add_f32_e32 v1, v4, v5
	s_waitcnt lgkmcnt(0)
	v_add_f32_e32 v3, v3, v12
	v_cmp_eq_u32_e64 s[10:11], 1, v0
	v_cndmask_b32_e64 v0, v1, v3, s[10:11]
	v_add_f32_e32 v1, v39, v0
	s_and_b64 vcc, exec, s[6:7]
	v_cndmask_b32_e64 v0, v1, v0, s[0:1]
	s_cbranch_vccnz .LBB169_60
; %bb.39:
	v_cndmask_b32_e64 v1, v10, v11, s[10:11]
	v_add_f32_e32 v3, v38, v1
	v_cndmask_b32_e64 v1, v1, v3, s[26:27]
	s_cmp_lt_i32 s14, 2
	s_mov_b64 s[0:1], 0
	s_cbranch_scc1 .LBB169_43
; %bb.40:
	s_cmp_gt_i32 s14, 2
	s_cbranch_scc0 .LBB169_44
; %bb.41:
	s_cmp_eq_u32 s14, 3
	s_cbranch_scc0 .LBB169_45
; %bb.42:
	v_max_f32_e32 v3, v1, v1
	v_min_f32_e32 v3, 0x40e00000, v3
	v_mul_f32_e32 v4, 0xbfd9db23, v3
	s_mov_b32 s2, 0x3fb8aa3b
	v_mul_f32_e32 v5, 0x3fb8aa3b, v4
	v_fma_f32 v6, v4, s2, -v5
	v_rndne_f32_e32 v7, v5
	v_fmac_f32_e32 v6, 0x32a5705f, v4
	v_sub_f32_e32 v5, v5, v7
	v_add_f32_e32 v5, v5, v6
	v_exp_f32_e32 v5, v5
	v_cvt_i32_f32_e32 v6, v7
	s_mov_b32 s2, 0xc2ce8ed0
	v_cmp_ngt_f32_e32 vcc, s2, v4
	s_mov_b32 s2, 0x42b17218
	v_ldexp_f32 v5, v5, v6
	v_cndmask_b32_e32 v5, 0, v5, vcc
	v_mov_b32_e32 v6, 0x7f800000
	v_cmp_nlt_f32_e32 vcc, s2, v4
	v_cndmask_b32_e32 v4, v6, v5, vcc
	v_add_f32_e32 v4, 1.0, v4
	v_div_scale_f32 v5, s[2:3], v4, v4, v3
	v_div_scale_f32 v6, vcc, v3, v4, v3
	s_mov_b64 s[2:3], 0
	v_rcp_f32_e32 v7, v5
	v_fma_f32 v8, -v5, v7, 1.0
	v_fmac_f32_e32 v7, v8, v7
	v_mul_f32_e32 v8, v6, v7
	v_fma_f32 v9, -v5, v8, v6
	v_fmac_f32_e32 v8, v9, v7
	v_fma_f32 v5, -v5, v8, v6
	v_div_fmas_f32 v5, v5, v7, v8
	v_max_f32_e32 v6, v0, v0
	v_min_f32_e32 v6, 0x40e00000, v6
	v_max_f32_e32 v6, 0xc0e00000, v6
	v_add_f32_e32 v6, 1.0, v6
	v_div_fixup_f32 v3, v5, v4, v3
	v_mul_f32_e32 v3, v6, v3
	s_branch .LBB169_46
.LBB169_43:
                                        ; implicit-def: $vgpr3
	s_mov_b64 s[2:3], 0
	s_cbranch_execnz .LBB169_50
	s_branch .LBB169_51
.LBB169_44:
	s_mov_b64 s[6:7], -1
	s_mov_b64 s[2:3], 0
                                        ; implicit-def: $vgpr3
	s_branch .LBB169_47
.LBB169_45:
	s_mov_b64 s[2:3], -1
                                        ; implicit-def: $vgpr3
.LBB169_46:
	s_mov_b64 s[6:7], 0
.LBB169_47:
	s_and_b64 vcc, exec, s[6:7]
	s_cbranch_vccz .LBB169_49
; %bb.48:
	v_mul_f32_e32 v3, 0xbfb8aa3b, v1
	s_mov_b32 s6, 0xbfb8aa3b
	v_rndne_f32_e32 v4, v3
	v_sub_f32_e32 v5, v3, v4
	v_fma_f32 v3, v1, s6, -v3
	v_fmac_f32_e32 v3, 0xb2a5705f, v1
	v_add_f32_e32 v3, v5, v3
	v_exp_f32_e32 v3, v3
	v_cvt_i32_f32_e32 v4, v4
	s_mov_b32 s6, 0x42ce8ed0
	v_cmp_nlt_f32_e32 vcc, s6, v1
	s_mov_b32 s6, 0xc2b17218
	v_ldexp_f32 v3, v3, v4
	v_cndmask_b32_e32 v3, 0, v3, vcc
	v_mov_b32_e32 v4, 0x7f800000
	v_cmp_ngt_f32_e32 vcc, s6, v1
	v_cndmask_b32_e32 v3, v4, v3, vcc
	v_add_f32_e32 v3, 1.0, v3
	v_div_scale_f32 v4, s[6:7], v3, v3, v1
	v_div_scale_f32 v5, vcc, v1, v3, v1
	v_rcp_f32_e32 v6, v4
	v_fma_f32 v7, -v4, v6, 1.0
	v_fmac_f32_e32 v6, v7, v6
	v_mul_f32_e32 v7, v5, v6
	v_fma_f32 v8, -v4, v7, v5
	v_fmac_f32_e32 v7, v8, v6
	v_fma_f32 v4, -v4, v7, v5
	v_div_fmas_f32 v4, v4, v6, v7
	v_div_fixup_f32 v3, v4, v3, v1
	v_mul_f32_e32 v3, v0, v3
.LBB169_49:
	s_branch .LBB169_51
.LBB169_50:
	s_cmp_lg_u32 s14, 1
	s_mov_b64 s[0:1], -1
	s_cselect_b64 s[2:3], -1, 0
.LBB169_51:
	s_andn2_b64 vcc, exec, s[2:3]
	s_cbranch_vccz .LBB169_53
; %bb.52:
	s_andn2_b64 vcc, exec, s[0:1]
	s_cbranch_vccz .LBB169_54
	s_branch .LBB169_59
.LBB169_53:
	v_mul_f32_e32 v3, v1, v0
	s_cbranch_execnz .LBB169_59
.LBB169_54:
	v_mul_f32_e32 v4, 0x3d372713, v1
	v_mul_f32_e32 v3, 0x3f4c422a, v1
	v_fma_f32 v4, v1, v4, 1.0
	v_mul_f32_e32 v3, v3, v4
	s_mov_b32 s0, 0x3f200000
	v_cmp_nlt_f32_e64 s[0:1], |v3|, s0
                                        ; implicit-def: $vgpr4
	s_and_saveexec_b64 s[2:3], s[0:1]
	s_xor_b64 s[0:1], exec, s[2:3]
	s_cbranch_execz .LBB169_56
; %bb.55:
	v_add_f32_e64 v4, |v3|, |v3|
	v_mul_f32_e32 v5, 0x3fb8aa3b, v4
	s_mov_b32 s2, 0x3fb8aa3b
	v_rndne_f32_e32 v6, v5
	v_sub_f32_e32 v7, v5, v6
	v_fma_f32 v5, v4, s2, -v5
	v_fmac_f32_e32 v5, 0x32a5705f, v4
	v_add_f32_e32 v5, v7, v5
	v_exp_f32_e32 v5, v5
	v_cvt_i32_f32_e32 v6, v6
	s_mov_b32 s2, 0xc2ce8ed0
	v_cmp_ngt_f32_e32 vcc, s2, v4
	s_mov_b32 s2, 0x42b17218
	v_ldexp_f32 v5, v5, v6
	v_cndmask_b32_e32 v5, 0, v5, vcc
	v_mov_b32_e32 v6, 0x7f800000
	v_cmp_nlt_f32_e32 vcc, s2, v4
	v_cndmask_b32_e32 v4, v6, v5, vcc
	v_add_f32_e32 v4, 1.0, v4
	v_rcp_f32_e32 v4, v4
	v_fma_f32 v4, v4, -2.0, 1.0
.LBB169_56:
	s_andn2_saveexec_b64 s[0:1], s[0:1]
	s_cbranch_execz .LBB169_58
; %bb.57:
	v_mul_f32_e32 v4, v3, v3
	v_mov_b32_e32 v5, 0x3ca908c9
	v_fmac_f32_e32 v5, 0xbbbac73d, v4
	v_mov_b32_e32 v6, 0xbd5c1c4e
	v_fmac_f32_e32 v6, v4, v5
	;; [unrolled: 2-line block ×4, first 2 shown]
	v_mul_f32_e64 v5, |v3|, v6
	v_fma_f32 v4, v4, v5, |v3|
.LBB169_58:
	s_or_b64 exec, exec, s[0:1]
	s_brev_b32 s0, -2
	v_bfi_b32 v3, s0, v4, v3
	v_mul_f32_e32 v1, 0.5, v1
	v_add_f32_e32 v3, 1.0, v3
	v_mul_f32_e32 v1, v1, v3
	v_mul_f32_e32 v3, v0, v1
.LBB169_59:
	v_mov_b32_e32 v0, v3
.LBB169_60:
	s_load_dwordx4 s[0:3], s[4:5], 0x80
	s_waitcnt lgkmcnt(0)
	s_load_dwordx2 s[0:1], s[4:5], 0x38
	s_mul_i32 s2, s2, s8
	s_load_dwordx4 s[8:11], s[4:5], 0x68
	s_waitcnt lgkmcnt(0)
	s_mul_i32 s3, s10, s34
	s_add_i32 s3, s3, s16
	s_add_i32 s2, s3, s2
	s_mov_b32 s3, 0
	s_lshl_b64 s[2:3], s[2:3], 2
	s_add_u32 s0, s0, s2
	s_addc_u32 s1, s1, s3
	global_store_dword v2, v0, s[0:1]
.LBB169_61:
	s_endpgm
	.section	.rodata,"a",@progbits
	.p2align	6, 0x0
	.amdhsa_kernel _ZL13mul_mat_vec_qIL9ggml_type17ELi1ELb1ELb1EEvPKvS2_PKi31ggml_cuda_mm_fusion_args_devicePfj15HIP_vector_typeIjLj3EEjjjS8_jjjS8_jjjj
		.amdhsa_group_segment_fixed_size 1024
		.amdhsa_private_segment_fixed_size 0
		.amdhsa_kernarg_size 144
		.amdhsa_user_sgpr_count 6
		.amdhsa_user_sgpr_private_segment_buffer 1
		.amdhsa_user_sgpr_dispatch_ptr 0
		.amdhsa_user_sgpr_queue_ptr 0
		.amdhsa_user_sgpr_kernarg_segment_ptr 1
		.amdhsa_user_sgpr_dispatch_id 0
		.amdhsa_user_sgpr_flat_scratch_init 0
		.amdhsa_user_sgpr_private_segment_size 0
		.amdhsa_uses_dynamic_stack 0
		.amdhsa_system_sgpr_private_segment_wavefront_offset 0
		.amdhsa_system_sgpr_workgroup_id_x 1
		.amdhsa_system_sgpr_workgroup_id_y 1
		.amdhsa_system_sgpr_workgroup_id_z 1
		.amdhsa_system_sgpr_workgroup_info 0
		.amdhsa_system_vgpr_workitem_id 1
		.amdhsa_next_free_vgpr 79
		.amdhsa_next_free_sgpr 96
		.amdhsa_reserve_vcc 1
		.amdhsa_reserve_flat_scratch 0
		.amdhsa_float_round_mode_32 0
		.amdhsa_float_round_mode_16_64 0
		.amdhsa_float_denorm_mode_32 3
		.amdhsa_float_denorm_mode_16_64 3
		.amdhsa_dx10_clamp 1
		.amdhsa_ieee_mode 1
		.amdhsa_fp16_overflow 0
		.amdhsa_exception_fp_ieee_invalid_op 0
		.amdhsa_exception_fp_denorm_src 0
		.amdhsa_exception_fp_ieee_div_zero 0
		.amdhsa_exception_fp_ieee_overflow 0
		.amdhsa_exception_fp_ieee_underflow 0
		.amdhsa_exception_fp_ieee_inexact 0
		.amdhsa_exception_int_div_zero 0
	.end_amdhsa_kernel
	.section	.text._ZL13mul_mat_vec_qIL9ggml_type17ELi1ELb1ELb1EEvPKvS2_PKi31ggml_cuda_mm_fusion_args_devicePfj15HIP_vector_typeIjLj3EEjjjS8_jjjS8_jjjj,"axG",@progbits,_ZL13mul_mat_vec_qIL9ggml_type17ELi1ELb1ELb1EEvPKvS2_PKi31ggml_cuda_mm_fusion_args_devicePfj15HIP_vector_typeIjLj3EEjjjS8_jjjS8_jjjj,comdat
.Lfunc_end169:
	.size	_ZL13mul_mat_vec_qIL9ggml_type17ELi1ELb1ELb1EEvPKvS2_PKi31ggml_cuda_mm_fusion_args_devicePfj15HIP_vector_typeIjLj3EEjjjS8_jjjS8_jjjj, .Lfunc_end169-_ZL13mul_mat_vec_qIL9ggml_type17ELi1ELb1ELb1EEvPKvS2_PKi31ggml_cuda_mm_fusion_args_devicePfj15HIP_vector_typeIjLj3EEjjjS8_jjjS8_jjjj
                                        ; -- End function
	.set _ZL13mul_mat_vec_qIL9ggml_type17ELi1ELb1ELb1EEvPKvS2_PKi31ggml_cuda_mm_fusion_args_devicePfj15HIP_vector_typeIjLj3EEjjjS8_jjjS8_jjjj.num_vgpr, 79
	.set _ZL13mul_mat_vec_qIL9ggml_type17ELi1ELb1ELb1EEvPKvS2_PKi31ggml_cuda_mm_fusion_args_devicePfj15HIP_vector_typeIjLj3EEjjjS8_jjjS8_jjjj.num_agpr, 0
	.set _ZL13mul_mat_vec_qIL9ggml_type17ELi1ELb1ELb1EEvPKvS2_PKi31ggml_cuda_mm_fusion_args_devicePfj15HIP_vector_typeIjLj3EEjjjS8_jjjS8_jjjj.numbered_sgpr, 96
	.set _ZL13mul_mat_vec_qIL9ggml_type17ELi1ELb1ELb1EEvPKvS2_PKi31ggml_cuda_mm_fusion_args_devicePfj15HIP_vector_typeIjLj3EEjjjS8_jjjS8_jjjj.num_named_barrier, 0
	.set _ZL13mul_mat_vec_qIL9ggml_type17ELi1ELb1ELb1EEvPKvS2_PKi31ggml_cuda_mm_fusion_args_devicePfj15HIP_vector_typeIjLj3EEjjjS8_jjjS8_jjjj.private_seg_size, 0
	.set _ZL13mul_mat_vec_qIL9ggml_type17ELi1ELb1ELb1EEvPKvS2_PKi31ggml_cuda_mm_fusion_args_devicePfj15HIP_vector_typeIjLj3EEjjjS8_jjjS8_jjjj.uses_vcc, 1
	.set _ZL13mul_mat_vec_qIL9ggml_type17ELi1ELb1ELb1EEvPKvS2_PKi31ggml_cuda_mm_fusion_args_devicePfj15HIP_vector_typeIjLj3EEjjjS8_jjjS8_jjjj.uses_flat_scratch, 0
	.set _ZL13mul_mat_vec_qIL9ggml_type17ELi1ELb1ELb1EEvPKvS2_PKi31ggml_cuda_mm_fusion_args_devicePfj15HIP_vector_typeIjLj3EEjjjS8_jjjS8_jjjj.has_dyn_sized_stack, 0
	.set _ZL13mul_mat_vec_qIL9ggml_type17ELi1ELb1ELb1EEvPKvS2_PKi31ggml_cuda_mm_fusion_args_devicePfj15HIP_vector_typeIjLj3EEjjjS8_jjjS8_jjjj.has_recursion, 0
	.set _ZL13mul_mat_vec_qIL9ggml_type17ELi1ELb1ELb1EEvPKvS2_PKi31ggml_cuda_mm_fusion_args_devicePfj15HIP_vector_typeIjLj3EEjjjS8_jjjS8_jjjj.has_indirect_call, 0
	.section	.AMDGPU.csdata,"",@progbits
; Kernel info:
; codeLenInByte = 10576
; TotalNumSgprs: 100
; NumVgprs: 79
; ScratchSize: 0
; MemoryBound: 0
; FloatMode: 240
; IeeeMode: 1
; LDSByteSize: 1024 bytes/workgroup (compile time only)
; SGPRBlocks: 12
; VGPRBlocks: 19
; NumSGPRsForWavesPerEU: 100
; NumVGPRsForWavesPerEU: 79
; Occupancy: 3
; WaveLimiterHint : 0
; COMPUTE_PGM_RSRC2:SCRATCH_EN: 0
; COMPUTE_PGM_RSRC2:USER_SGPR: 6
; COMPUTE_PGM_RSRC2:TRAP_HANDLER: 0
; COMPUTE_PGM_RSRC2:TGID_X_EN: 1
; COMPUTE_PGM_RSRC2:TGID_Y_EN: 1
; COMPUTE_PGM_RSRC2:TGID_Z_EN: 1
; COMPUTE_PGM_RSRC2:TIDIG_COMP_CNT: 1
	.section	.text._ZL13mul_mat_vec_qIL9ggml_type17ELi1ELb0ELb1EEvPKvS2_PKi31ggml_cuda_mm_fusion_args_devicePfj15HIP_vector_typeIjLj3EEjjjS8_jjjS8_jjjj,"axG",@progbits,_ZL13mul_mat_vec_qIL9ggml_type17ELi1ELb0ELb1EEvPKvS2_PKi31ggml_cuda_mm_fusion_args_devicePfj15HIP_vector_typeIjLj3EEjjjS8_jjjS8_jjjj,comdat
	.globl	_ZL13mul_mat_vec_qIL9ggml_type17ELi1ELb0ELb1EEvPKvS2_PKi31ggml_cuda_mm_fusion_args_devicePfj15HIP_vector_typeIjLj3EEjjjS8_jjjS8_jjjj ; -- Begin function _ZL13mul_mat_vec_qIL9ggml_type17ELi1ELb0ELb1EEvPKvS2_PKi31ggml_cuda_mm_fusion_args_devicePfj15HIP_vector_typeIjLj3EEjjjS8_jjjS8_jjjj
	.p2align	8
	.type	_ZL13mul_mat_vec_qIL9ggml_type17ELi1ELb0ELb1EEvPKvS2_PKi31ggml_cuda_mm_fusion_args_devicePfj15HIP_vector_typeIjLj3EEjjjS8_jjjS8_jjjj,@function
_ZL13mul_mat_vec_qIL9ggml_type17ELi1ELb0ELb1EEvPKvS2_PKi31ggml_cuda_mm_fusion_args_devicePfj15HIP_vector_typeIjLj3EEjjjS8_jjjS8_jjjj: ; @_ZL13mul_mat_vec_qIL9ggml_type17ELi1ELb0ELb1EEvPKvS2_PKi31ggml_cuda_mm_fusion_args_devicePfj15HIP_vector_typeIjLj3EEjjjS8_jjjS8_jjjj
; %bb.0:
	s_load_dwordx2 s[0:1], s[4:5], 0x10
	s_load_dwordx4 s[16:19], s[4:5], 0x40
	s_mov_b32 s10, s7
	s_mov_b64 s[14:15], 0
	s_waitcnt lgkmcnt(0)
	s_cmp_lg_u64 s[0:1], 0
	s_cselect_b64 s[12:13], -1, 0
	s_cmp_eq_u64 s[0:1], 0
	s_cbranch_scc1 .LBB170_5
; %bb.1:
	s_mov_b32 s11, 0
	s_lshl_b64 s[2:3], s[10:11], 2
	s_add_u32 s0, s0, s2
	s_addc_u32 s1, s1, s3
	s_load_dword s21, s[0:1], 0x0
	s_nop 0
	s_load_dwordx4 s[0:3], s[4:5], 0x68
	s_load_dword s20, s[4:5], 0x50
	s_andn2_b64 vcc, exec, s[14:15]
	s_cbranch_vccnz .LBB170_3
.LBB170_2:
	s_load_dwordx2 s[14:15], s[4:5], 0x5c
	s_waitcnt lgkmcnt(0)
	s_mul_hi_u32 s7, s14, s10
	s_add_i32 s7, s10, s7
	s_lshr_b32 s21, s7, s15
.LBB170_3:
	s_load_dword s22, s[4:5], 0x78
	s_andn2_b64 vcc, exec, s[12:13]
	s_cbranch_vccnz .LBB170_6
; %bb.4:
	s_mul_hi_u32 s7, s17, s10
	s_add_i32 s7, s10, s7
	s_lshr_b32 s7, s7, s18
	s_mul_i32 s7, s7, s19
	s_sub_i32 s23, s10, s7
	s_branch .LBB170_7
.LBB170_5:
                                        ; implicit-def: $sgpr21
	s_load_dwordx4 s[0:3], s[4:5], 0x68
	s_load_dword s20, s[4:5], 0x50
	s_branch .LBB170_2
.LBB170_6:
	s_mov_b32 s23, s10
.LBB170_7:
	s_load_dwordx4 s[12:15], s[4:5], 0x80
	v_lshl_add_u32 v2, v1, 6, v0
	s_lshr_b32 s11, s16, 8
	v_lshrrev_b32_e32 v18, 3, v2
	s_lshl_b32 s9, s6, 1
	v_cmp_gt_u32_e32 vcc, s11, v18
	v_mov_b32_e32 v16, 0
	v_mov_b32_e32 v17, 0
	s_and_saveexec_b64 s[6:7], vcc
	s_cbranch_execz .LBB170_11
; %bb.8:
	s_waitcnt lgkmcnt(0)
	s_mul_hi_u32 s3, s3, s8
	s_add_i32 s3, s8, s3
	s_lshr_b32 s3, s3, s22
	s_mul_i32 s0, s21, s0
	s_mul_i32 s3, s3, s12
	s_mul_i32 s1, s23, s1
	v_lshlrev_b32_e32 v3, 1, v0
	v_and_b32_e32 v3, 14, v3
	s_add_i32 s15, s0, s3
	s_mul_hi_u32 s0, s1, 36
	s_mul_i32 s1, s1, 36
	v_lshlrev_b32_e32 v4, 1, v3
	v_lshrrev_b32_e32 v5, 3, v2
	v_mov_b32_e32 v2, s1
	v_mov_b32_e32 v3, s0
	s_movk_i32 s0, 0x120
	v_mad_u64_u32 v[2:3], s[0:1], v5, s0, v[2:3]
	s_mul_i32 s12, s13, s8
	s_mul_i32 s0, s9, s20
	s_add_i32 s3, s15, s0
	v_mad_u64_u32 v[2:3], s[0:1], s12, 36, v[2:3]
	s_load_dwordx4 s[16:19], s[4:5], 0x0
	v_and_b32_e32 v20, 7, v0
	s_add_i32 s0, s9, 1
	s_mul_i32 s20, s20, s0
	v_mad_u64_u32 v[2:3], s[0:1], v20, 36, v[2:3]
	s_waitcnt lgkmcnt(0)
	v_mov_b32_e32 v5, s19
	v_mov_b32_e32 v12, s16
	v_add_co_u32_e32 v2, vcc, s18, v2
	v_addc_co_u32_e32 v3, vcc, v5, v3, vcc
	v_add_co_u32_e32 v10, vcc, 32, v2
	v_mov_b32_e32 v19, 0
	s_add_i32 s15, s15, s20
	v_addc_co_u32_e32 v11, vcc, 0, v3, vcc
	s_mov_b64 s[0:1], 0
	s_movk_i32 s18, 0x4a
	v_mov_b32_e32 v13, s17
	v_lshlrev_b32_e32 v21, 1, v4
	s_mov_b32 s16, 0x1010101
	s_movk_i32 s17, 0xff00
	s_mov_b32 s19, 0xc0c0105
	v_mov_b32_e32 v22, 8
	v_mov_b32_e32 v17, 0
	;; [unrolled: 1-line block ×3, first 2 shown]
.LBB170_9:                              ; =>This Inner Loop Header: Depth=1
	v_add_u32_e32 v14, s3, v18
	v_mad_i64_i32 v[14:15], s[12:13], v14, s18, v[12:13]
	global_load_dword v23, v[10:11], off
	global_load_dwordx4 v[2:5], v[10:11], off offset:-16
	global_load_dwordx4 v[6:9], v[10:11], off offset:-32
	s_getpc_b64 s[12:13]
	s_add_u32 s12, s12, _ZL10iq2xs_grid@rel32@lo+4
	s_addc_u32 s13, s13, _ZL10iq2xs_grid@rel32@hi+12
	v_add_co_u32_e32 v24, vcc, v14, v21
	v_addc_co_u32_e32 v25, vcc, 0, v15, vcc
	global_load_dwordx2 v[24:25], v[24:25], off offset:2
	v_add_co_u32_e32 v26, vcc, v14, v20
	v_addc_co_u32_e32 v27, vcc, 0, v15, vcc
	global_load_ubyte v28, v[26:27], off offset:66
	s_waitcnt vmcnt(2)
	v_cvt_f32_f16_e32 v6, v6
	global_load_ushort v14, v[14:15], off
	s_waitcnt vmcnt(2)
	v_and_b32_e32 v26, 0x1ff, v24
	v_lshlrev_b32_e32 v26, 3, v26
	global_load_dwordx2 v[26:27], v26, s[12:13]
	v_bfe_u32 v29, v24, 9, 7
	v_bcnt_u32_b32 v30, v29, 0
	v_and_b32_e32 v30, 1, v30
	v_lshl_or_b32 v29, v30, 7, v29
	v_mul_lo_u32 v29, v29, s16
	v_and_b32_e32 v30, 0x8040201, v29
	v_cmp_ne_u16_sdwa s[20:21], v30, v19 src0_sel:BYTE_3 src1_sel:DWORD
	v_cmp_ne_u16_sdwa s[22:23], v30, v19 src0_sel:BYTE_1 src1_sel:DWORD
	v_lshrrev_b32_e32 v31, 18, v29
	v_cndmask_b32_e64 v32, 0, -1, s[22:23]
	v_cndmask_b32_e64 v34, 0, -1, s[20:21]
	v_bfe_i32 v30, v29, 0, 1
	v_lshlrev_b16_e32 v32, 8, v32
	v_bfe_i32 v31, v31, 0, 1
	v_lshlrev_b16_e32 v34, 8, v34
	v_or_b32_sdwa v33, v30, v32 dst_sel:DWORD dst_unused:UNUSED_PAD src0_sel:BYTE_0 src1_sel:DWORD
	v_or_b32_sdwa v35, v31, v34 dst_sel:WORD_1 dst_unused:UNUSED_PAD src0_sel:BYTE_0 src1_sel:DWORD
	v_or_b32_sdwa v33, v33, v35 dst_sel:DWORD dst_unused:UNUSED_PAD src0_sel:WORD_0 src1_sel:DWORD
	v_lshlrev_b16_e32 v30, 8, v30
	v_lshlrev_b16_e32 v31, 8, v31
	s_waitcnt vmcnt(1)
	v_cvt_f32_f16_e32 v14, v14
	v_mul_f32_e32 v14, v14, v6
	s_waitcnt vmcnt(0)
	v_xor_b32_e32 v26, v26, v33
	v_and_b32_e32 v33, 0xffffff00, v26
	v_sub_i16 v32, v33, v32 clamp
	v_lshlrev_b16_e32 v33, 8, v26
	v_sub_i16 v30, v33, v30 clamp
	v_perm_b32 v30, v30, v32, s19
	v_and_b32_sdwa v32, v26, s17 dst_sel:DWORD dst_unused:UNUSED_PAD src0_sel:WORD_1 src1_sel:DWORD
	v_lshlrev_b16_sdwa v26, v22, v26 dst_sel:DWORD dst_unused:UNUSED_PAD src0_sel:DWORD src1_sel:WORD_1
	v_sub_i16 v32, v32, v34 clamp
	v_sub_i16 v26, v26, v31 clamp
	v_perm_b32 v26, v26, v32, s19
	v_lshl_or_b32 v26, v26, 16, v30
	v_and_b32_e32 v30, 0x80402010, v29
	v_cmp_ne_u16_sdwa s[20:21], v30, v19 src0_sel:BYTE_3 src1_sel:DWORD
	v_cmp_ne_u16_sdwa s[22:23], v30, v19 src0_sel:BYTE_1 src1_sel:DWORD
	v_lshrrev_b32_e32 v29, 22, v29
	v_lshrrev_b16_e32 v30, 4, v30
	v_cndmask_b32_e64 v31, 0, -1, s[22:23]
	v_cndmask_b32_e64 v33, 0, -1, s[20:21]
	v_bfe_i32 v30, v30, 0, 1
	v_lshlrev_b16_e32 v31, 8, v31
	v_bfe_i32 v29, v29, 0, 1
	v_lshlrev_b16_e32 v33, 8, v33
	v_or_b32_sdwa v32, v30, v31 dst_sel:DWORD dst_unused:UNUSED_PAD src0_sel:BYTE_0 src1_sel:DWORD
	v_or_b32_sdwa v34, v29, v33 dst_sel:WORD_1 dst_unused:UNUSED_PAD src0_sel:BYTE_0 src1_sel:DWORD
	v_or_b32_sdwa v32, v32, v34 dst_sel:DWORD dst_unused:UNUSED_PAD src0_sel:WORD_0 src1_sel:DWORD
	v_xor_b32_e32 v27, v27, v32
	v_and_b32_e32 v32, 0xffffff00, v27
	v_sub_i16 v31, v32, v31 clamp
	v_lshlrev_b16_e32 v32, 8, v27
	v_lshlrev_b16_e32 v30, 8, v30
	v_sub_i16 v30, v32, v30 clamp
	v_perm_b32 v30, v30, v31, s19
	v_and_b32_sdwa v31, v27, s17 dst_sel:DWORD dst_unused:UNUSED_PAD src0_sel:WORD_1 src1_sel:DWORD
	v_lshlrev_b16_sdwa v27, v22, v27 dst_sel:DWORD dst_unused:UNUSED_PAD src0_sel:DWORD src1_sel:WORD_1
	v_lshlrev_b16_e32 v29, 8, v29
	v_sub_i16 v31, v31, v33 clamp
	v_sub_i16 v27, v27, v29 clamp
	v_perm_b32 v27, v27, v31, s19
	v_lshl_or_b32 v27, v27, 16, v30
	v_dot4_i32_i8 v26, v26, v7, 0
	v_dot4_i32_i8 v29, v27, v8, v26
	v_lshrrev_b32_e32 v26, 13, v24
	v_and_b32_e32 v26, 0xff8, v26
	global_load_dwordx2 v[26:27], v26, s[12:13]
	v_lshrrev_b32_e32 v30, 25, v24
	v_bcnt_u32_b32 v30, v30, 0
	v_and_b32_e32 v30, 1, v30
	v_alignbit_b32 v24, v30, v24, 25
	v_mul_lo_u32 v24, v24, s16
	v_and_b32_e32 v30, 0x8040201, v24
	v_cmp_ne_u16_sdwa s[20:21], v30, v19 src0_sel:BYTE_3 src1_sel:DWORD
	v_cmp_ne_u16_sdwa s[22:23], v30, v19 src0_sel:BYTE_1 src1_sel:DWORD
	v_lshrrev_b32_e32 v31, 18, v24
	v_cndmask_b32_e64 v32, 0, -1, s[22:23]
	v_cndmask_b32_e64 v34, 0, -1, s[20:21]
	v_bfe_i32 v30, v24, 0, 1
	v_lshlrev_b16_e32 v32, 8, v32
	v_bfe_i32 v31, v31, 0, 1
	v_lshlrev_b16_e32 v34, 8, v34
	v_or_b32_sdwa v33, v30, v32 dst_sel:DWORD dst_unused:UNUSED_PAD src0_sel:BYTE_0 src1_sel:DWORD
	v_or_b32_sdwa v35, v31, v34 dst_sel:WORD_1 dst_unused:UNUSED_PAD src0_sel:BYTE_0 src1_sel:DWORD
	v_or_b32_sdwa v33, v33, v35 dst_sel:DWORD dst_unused:UNUSED_PAD src0_sel:WORD_0 src1_sel:DWORD
	v_lshlrev_b16_e32 v30, 8, v30
	v_lshlrev_b16_e32 v31, 8, v31
	s_waitcnt vmcnt(0)
	v_xor_b32_e32 v26, v26, v33
	v_and_b32_e32 v33, 0xffffff00, v26
	v_sub_i16 v32, v33, v32 clamp
	v_lshlrev_b16_e32 v33, 8, v26
	v_sub_i16 v30, v33, v30 clamp
	v_perm_b32 v30, v30, v32, s19
	v_and_b32_sdwa v32, v26, s17 dst_sel:DWORD dst_unused:UNUSED_PAD src0_sel:WORD_1 src1_sel:DWORD
	v_lshlrev_b16_sdwa v26, v22, v26 dst_sel:DWORD dst_unused:UNUSED_PAD src0_sel:DWORD src1_sel:WORD_1
	v_sub_i16 v32, v32, v34 clamp
	v_sub_i16 v26, v26, v31 clamp
	v_perm_b32 v26, v26, v32, s19
	v_lshl_or_b32 v26, v26, 16, v30
	v_and_b32_e32 v30, 0x80402010, v24
	v_cmp_ne_u16_sdwa s[20:21], v30, v19 src0_sel:BYTE_3 src1_sel:DWORD
	v_cmp_ne_u16_sdwa s[22:23], v30, v19 src0_sel:BYTE_1 src1_sel:DWORD
	v_lshrrev_b32_e32 v24, 22, v24
	v_lshrrev_b16_e32 v30, 4, v30
	v_cndmask_b32_e64 v31, 0, -1, s[22:23]
	v_cndmask_b32_e64 v33, 0, -1, s[20:21]
	v_bfe_i32 v30, v30, 0, 1
	v_lshlrev_b16_e32 v31, 8, v31
	v_bfe_i32 v24, v24, 0, 1
	v_lshlrev_b16_e32 v33, 8, v33
	v_or_b32_sdwa v32, v30, v31 dst_sel:DWORD dst_unused:UNUSED_PAD src0_sel:BYTE_0 src1_sel:DWORD
	v_or_b32_sdwa v34, v24, v33 dst_sel:WORD_1 dst_unused:UNUSED_PAD src0_sel:BYTE_0 src1_sel:DWORD
	v_or_b32_sdwa v32, v32, v34 dst_sel:DWORD dst_unused:UNUSED_PAD src0_sel:WORD_0 src1_sel:DWORD
	v_xor_b32_e32 v27, v27, v32
	v_and_b32_e32 v32, 0xffffff00, v27
	v_sub_i16 v31, v32, v31 clamp
	v_lshlrev_b16_e32 v32, 8, v27
	v_lshlrev_b16_e32 v30, 8, v30
	v_sub_i16 v30, v32, v30 clamp
	v_perm_b32 v30, v30, v31, s19
	v_and_b32_sdwa v31, v27, s17 dst_sel:DWORD dst_unused:UNUSED_PAD src0_sel:WORD_1 src1_sel:DWORD
	v_lshlrev_b16_sdwa v27, v22, v27 dst_sel:DWORD dst_unused:UNUSED_PAD src0_sel:DWORD src1_sel:WORD_1
	v_lshlrev_b16_e32 v24, 8, v24
	v_sub_i16 v31, v31, v33 clamp
	v_sub_i16 v24, v27, v24 clamp
	v_perm_b32 v24, v24, v31, s19
	v_lshl_or_b32 v24, v24, 16, v30
	v_dot4_i32_i8 v26, v26, v9, v29
	v_dot4_i32_i8 v24, v24, v2, v26
	v_and_b32_e32 v26, 0x1ff, v25
	v_lshlrev_b32_e32 v26, 3, v26
	global_load_dwordx2 v[26:27], v26, s[12:13]
	v_bfe_u32 v29, v25, 9, 7
	v_bcnt_u32_b32 v30, v29, 0
	v_and_b32_e32 v30, 1, v30
	v_lshl_or_b32 v29, v30, 7, v29
	v_mul_lo_u32 v29, v29, s16
	v_and_b32_e32 v30, 0x8040201, v29
	v_cmp_ne_u16_sdwa s[20:21], v30, v19 src0_sel:BYTE_3 src1_sel:DWORD
	v_cmp_ne_u16_sdwa s[22:23], v30, v19 src0_sel:BYTE_1 src1_sel:DWORD
	v_lshrrev_b32_e32 v31, 18, v29
	v_cndmask_b32_e64 v32, 0, -1, s[22:23]
	v_cndmask_b32_e64 v34, 0, -1, s[20:21]
	v_bfe_i32 v30, v29, 0, 1
	v_lshlrev_b16_e32 v32, 8, v32
	v_bfe_i32 v31, v31, 0, 1
	v_lshlrev_b16_e32 v34, 8, v34
	v_or_b32_sdwa v33, v30, v32 dst_sel:DWORD dst_unused:UNUSED_PAD src0_sel:BYTE_0 src1_sel:DWORD
	v_or_b32_sdwa v35, v31, v34 dst_sel:WORD_1 dst_unused:UNUSED_PAD src0_sel:BYTE_0 src1_sel:DWORD
	v_or_b32_sdwa v33, v33, v35 dst_sel:DWORD dst_unused:UNUSED_PAD src0_sel:WORD_0 src1_sel:DWORD
	v_lshlrev_b16_e32 v30, 8, v30
	v_lshlrev_b16_e32 v31, 8, v31
	s_waitcnt vmcnt(0)
	v_xor_b32_e32 v26, v26, v33
	v_and_b32_e32 v33, 0xffffff00, v26
	v_sub_i16 v32, v33, v32 clamp
	v_lshlrev_b16_e32 v33, 8, v26
	v_sub_i16 v30, v33, v30 clamp
	v_perm_b32 v30, v30, v32, s19
	v_and_b32_sdwa v32, v26, s17 dst_sel:DWORD dst_unused:UNUSED_PAD src0_sel:WORD_1 src1_sel:DWORD
	v_lshlrev_b16_sdwa v26, v22, v26 dst_sel:DWORD dst_unused:UNUSED_PAD src0_sel:DWORD src1_sel:WORD_1
	v_sub_i16 v32, v32, v34 clamp
	v_sub_i16 v26, v26, v31 clamp
	v_perm_b32 v26, v26, v32, s19
	v_lshl_or_b32 v26, v26, 16, v30
	v_and_b32_e32 v30, 0x80402010, v29
	v_cmp_ne_u16_sdwa s[20:21], v30, v19 src0_sel:BYTE_3 src1_sel:DWORD
	v_cmp_ne_u16_sdwa s[22:23], v30, v19 src0_sel:BYTE_1 src1_sel:DWORD
	v_lshrrev_b32_e32 v29, 22, v29
	v_lshrrev_b16_e32 v30, 4, v30
	v_cndmask_b32_e64 v31, 0, -1, s[22:23]
	v_cndmask_b32_e64 v33, 0, -1, s[20:21]
	v_bfe_i32 v30, v30, 0, 1
	v_lshlrev_b16_e32 v31, 8, v31
	v_bfe_i32 v29, v29, 0, 1
	v_lshlrev_b16_e32 v33, 8, v33
	v_or_b32_sdwa v32, v30, v31 dst_sel:DWORD dst_unused:UNUSED_PAD src0_sel:BYTE_0 src1_sel:DWORD
	v_or_b32_sdwa v34, v29, v33 dst_sel:WORD_1 dst_unused:UNUSED_PAD src0_sel:BYTE_0 src1_sel:DWORD
	v_or_b32_sdwa v32, v32, v34 dst_sel:DWORD dst_unused:UNUSED_PAD src0_sel:WORD_0 src1_sel:DWORD
	v_xor_b32_e32 v27, v27, v32
	v_and_b32_e32 v32, 0xffffff00, v27
	v_sub_i16 v31, v32, v31 clamp
	v_lshlrev_b16_e32 v32, 8, v27
	v_lshlrev_b16_e32 v30, 8, v30
	v_sub_i16 v30, v32, v30 clamp
	v_perm_b32 v30, v30, v31, s19
	v_and_b32_sdwa v31, v27, s17 dst_sel:DWORD dst_unused:UNUSED_PAD src0_sel:WORD_1 src1_sel:DWORD
	v_lshlrev_b16_sdwa v27, v22, v27 dst_sel:DWORD dst_unused:UNUSED_PAD src0_sel:DWORD src1_sel:WORD_1
	v_lshlrev_b16_e32 v29, 8, v29
	v_sub_i16 v31, v31, v33 clamp
	v_sub_i16 v27, v27, v29 clamp
	v_perm_b32 v27, v27, v31, s19
	v_lshl_or_b32 v27, v27, 16, v30
	v_dot4_i32_i8 v26, v26, v3, 0
	v_dot4_i32_i8 v29, v27, v4, v26
	v_lshrrev_b32_e32 v26, 13, v25
	v_and_b32_e32 v26, 0xff8, v26
	global_load_dwordx2 v[26:27], v26, s[12:13]
	v_lshrrev_b32_e32 v30, 25, v25
	v_bcnt_u32_b32 v30, v30, 0
	v_and_b32_e32 v30, 1, v30
	v_alignbit_b32 v25, v30, v25, 25
	v_mul_lo_u32 v25, v25, s16
	v_and_b32_e32 v30, 0x8040201, v25
	v_cmp_ne_u16_sdwa s[20:21], v30, v19 src0_sel:BYTE_3 src1_sel:DWORD
	v_cmp_ne_u16_sdwa s[22:23], v30, v19 src0_sel:BYTE_1 src1_sel:DWORD
	v_lshrrev_b32_e32 v31, 18, v25
	v_cndmask_b32_e64 v32, 0, -1, s[22:23]
	v_cndmask_b32_e64 v34, 0, -1, s[20:21]
	v_bfe_i32 v30, v25, 0, 1
	v_lshlrev_b16_e32 v32, 8, v32
	v_bfe_i32 v31, v31, 0, 1
	v_lshlrev_b16_e32 v34, 8, v34
	v_or_b32_sdwa v33, v30, v32 dst_sel:DWORD dst_unused:UNUSED_PAD src0_sel:BYTE_0 src1_sel:DWORD
	v_or_b32_sdwa v35, v31, v34 dst_sel:WORD_1 dst_unused:UNUSED_PAD src0_sel:BYTE_0 src1_sel:DWORD
	v_or_b32_sdwa v33, v33, v35 dst_sel:DWORD dst_unused:UNUSED_PAD src0_sel:WORD_0 src1_sel:DWORD
	v_lshlrev_b16_e32 v30, 8, v30
	v_lshlrev_b16_e32 v31, 8, v31
	s_waitcnt vmcnt(0)
	v_xor_b32_e32 v26, v26, v33
	v_and_b32_e32 v33, 0xffffff00, v26
	v_sub_i16 v32, v33, v32 clamp
	v_lshlrev_b16_e32 v33, 8, v26
	v_sub_i16 v30, v33, v30 clamp
	v_perm_b32 v30, v30, v32, s19
	v_and_b32_sdwa v32, v26, s17 dst_sel:DWORD dst_unused:UNUSED_PAD src0_sel:WORD_1 src1_sel:DWORD
	v_lshlrev_b16_sdwa v26, v22, v26 dst_sel:DWORD dst_unused:UNUSED_PAD src0_sel:DWORD src1_sel:WORD_1
	v_sub_i16 v32, v32, v34 clamp
	v_sub_i16 v26, v26, v31 clamp
	v_perm_b32 v26, v26, v32, s19
	v_lshl_or_b32 v26, v26, 16, v30
	v_and_b32_e32 v30, 0x80402010, v25
	v_cmp_ne_u16_sdwa s[20:21], v30, v19 src0_sel:BYTE_3 src1_sel:DWORD
	v_cmp_ne_u16_sdwa s[22:23], v30, v19 src0_sel:BYTE_1 src1_sel:DWORD
	v_lshrrev_b32_e32 v25, 22, v25
	v_lshrrev_b16_e32 v30, 4, v30
	v_cndmask_b32_e64 v31, 0, -1, s[22:23]
	v_cndmask_b32_e64 v33, 0, -1, s[20:21]
	v_bfe_i32 v30, v30, 0, 1
	v_lshlrev_b16_e32 v31, 8, v31
	v_bfe_i32 v25, v25, 0, 1
	v_lshlrev_b16_e32 v33, 8, v33
	v_or_b32_sdwa v32, v30, v31 dst_sel:DWORD dst_unused:UNUSED_PAD src0_sel:BYTE_0 src1_sel:DWORD
	v_or_b32_sdwa v34, v25, v33 dst_sel:WORD_1 dst_unused:UNUSED_PAD src0_sel:BYTE_0 src1_sel:DWORD
	v_or_b32_sdwa v32, v32, v34 dst_sel:DWORD dst_unused:UNUSED_PAD src0_sel:WORD_0 src1_sel:DWORD
	v_xor_b32_e32 v27, v27, v32
	v_and_b32_e32 v32, 0xffffff00, v27
	v_sub_i16 v31, v32, v31 clamp
	v_lshlrev_b16_e32 v32, 8, v27
	v_lshlrev_b16_e32 v30, 8, v30
	v_sub_i16 v30, v32, v30 clamp
	v_perm_b32 v30, v30, v31, s19
	v_and_b32_sdwa v31, v27, s17 dst_sel:DWORD dst_unused:UNUSED_PAD src0_sel:WORD_1 src1_sel:DWORD
	v_lshlrev_b16_sdwa v27, v22, v27 dst_sel:DWORD dst_unused:UNUSED_PAD src0_sel:DWORD src1_sel:WORD_1
	v_lshlrev_b16_e32 v25, 8, v25
	v_sub_i16 v31, v31, v33 clamp
	v_sub_i16 v25, v27, v25 clamp
	v_perm_b32 v25, v25, v31, s19
	v_lshl_or_b32 v25, v25, 16, v30
	v_dot4_i32_i8 v26, v26, v5, v29
	v_dot4_i32_i8 v25, v25, v23, v26
	v_lshrrev_b32_e32 v26, 4, v28
	v_and_b32_e32 v27, 15, v28
	v_mul_lo_u32 v27, v24, v27
	v_mul_lo_u32 v26, v25, v26
	v_add_u32_e32 v24, v25, v24
	v_lshrrev_b32_e32 v25, 31, v24
	v_add_u32_e32 v24, v24, v25
	v_ashrrev_i32_e32 v24, 1, v24
	v_add3_u32 v24, v26, v27, v24
	v_ashrrev_i32_e32 v25, 31, v24
	v_lshrrev_b32_e32 v25, 30, v25
	v_add_u32_e32 v24, v24, v25
	v_ashrrev_i32_e32 v24, 2, v24
	v_cvt_f32_i32_e32 v15, v24
	v_fmac_f32_e32 v17, v14, v15
	v_add_u32_e32 v14, s15, v18
	v_mad_i64_i32 v[14:15], s[20:21], v14, s18, v[12:13]
	v_add_u32_e32 v18, 16, v18
	v_add_co_u32_e32 v24, vcc, v14, v21
	v_addc_co_u32_e32 v25, vcc, 0, v15, vcc
	global_load_dwordx2 v[24:25], v[24:25], off offset:2
	v_add_co_u32_e32 v26, vcc, v14, v20
	v_addc_co_u32_e32 v27, vcc, 0, v15, vcc
	global_load_ubyte v28, v[26:27], off offset:66
	v_add_co_u32_e32 v10, vcc, 0x1200, v10
	v_addc_co_u32_e32 v11, vcc, 0, v11, vcc
	v_cmp_le_u32_e32 vcc, s11, v18
	s_or_b64 s[0:1], vcc, s[0:1]
	s_waitcnt vmcnt(1)
	v_and_b32_e32 v26, 0x1ff, v24
	v_lshlrev_b32_e32 v26, 3, v26
	global_load_dwordx2 v[26:27], v26, s[12:13]
	v_bfe_u32 v29, v24, 9, 7
	v_bcnt_u32_b32 v30, v29, 0
	v_and_b32_e32 v30, 1, v30
	v_lshl_or_b32 v29, v30, 7, v29
	v_mul_lo_u32 v29, v29, s16
	v_and_b32_e32 v30, 0x8040201, v29
	v_cmp_ne_u16_sdwa s[20:21], v30, v19 src0_sel:BYTE_3 src1_sel:DWORD
	v_cmp_ne_u16_sdwa s[22:23], v30, v19 src0_sel:BYTE_1 src1_sel:DWORD
	v_lshrrev_b32_e32 v31, 18, v29
	v_cndmask_b32_e64 v32, 0, -1, s[22:23]
	v_cndmask_b32_e64 v34, 0, -1, s[20:21]
	v_bfe_i32 v30, v29, 0, 1
	v_lshlrev_b16_e32 v32, 8, v32
	v_bfe_i32 v31, v31, 0, 1
	v_lshlrev_b16_e32 v34, 8, v34
	v_or_b32_sdwa v33, v30, v32 dst_sel:DWORD dst_unused:UNUSED_PAD src0_sel:BYTE_0 src1_sel:DWORD
	v_or_b32_sdwa v35, v31, v34 dst_sel:WORD_1 dst_unused:UNUSED_PAD src0_sel:BYTE_0 src1_sel:DWORD
	v_or_b32_sdwa v33, v33, v35 dst_sel:DWORD dst_unused:UNUSED_PAD src0_sel:WORD_0 src1_sel:DWORD
	v_lshlrev_b16_e32 v30, 8, v30
	v_lshlrev_b16_e32 v31, 8, v31
	s_waitcnt vmcnt(0)
	v_xor_b32_e32 v26, v26, v33
	v_and_b32_e32 v33, 0xffffff00, v26
	v_sub_i16 v32, v33, v32 clamp
	v_lshlrev_b16_e32 v33, 8, v26
	v_sub_i16 v30, v33, v30 clamp
	v_perm_b32 v30, v30, v32, s19
	v_and_b32_sdwa v32, v26, s17 dst_sel:DWORD dst_unused:UNUSED_PAD src0_sel:WORD_1 src1_sel:DWORD
	v_lshlrev_b16_sdwa v26, v22, v26 dst_sel:DWORD dst_unused:UNUSED_PAD src0_sel:DWORD src1_sel:WORD_1
	v_sub_i16 v32, v32, v34 clamp
	v_sub_i16 v26, v26, v31 clamp
	v_perm_b32 v26, v26, v32, s19
	v_lshl_or_b32 v26, v26, 16, v30
	v_and_b32_e32 v30, 0x80402010, v29
	v_cmp_ne_u16_sdwa s[20:21], v30, v19 src0_sel:BYTE_3 src1_sel:DWORD
	v_cmp_ne_u16_sdwa s[22:23], v30, v19 src0_sel:BYTE_1 src1_sel:DWORD
	v_lshrrev_b32_e32 v29, 22, v29
	v_lshrrev_b16_e32 v30, 4, v30
	v_cndmask_b32_e64 v31, 0, -1, s[22:23]
	v_cndmask_b32_e64 v33, 0, -1, s[20:21]
	v_bfe_i32 v30, v30, 0, 1
	v_lshlrev_b16_e32 v31, 8, v31
	v_bfe_i32 v29, v29, 0, 1
	v_lshlrev_b16_e32 v33, 8, v33
	v_or_b32_sdwa v32, v30, v31 dst_sel:DWORD dst_unused:UNUSED_PAD src0_sel:BYTE_0 src1_sel:DWORD
	v_or_b32_sdwa v34, v29, v33 dst_sel:WORD_1 dst_unused:UNUSED_PAD src0_sel:BYTE_0 src1_sel:DWORD
	v_or_b32_sdwa v32, v32, v34 dst_sel:DWORD dst_unused:UNUSED_PAD src0_sel:WORD_0 src1_sel:DWORD
	v_xor_b32_e32 v27, v27, v32
	v_and_b32_e32 v32, 0xffffff00, v27
	v_sub_i16 v31, v32, v31 clamp
	v_lshlrev_b16_e32 v32, 8, v27
	v_lshlrev_b16_e32 v30, 8, v30
	v_sub_i16 v30, v32, v30 clamp
	v_perm_b32 v30, v30, v31, s19
	v_and_b32_sdwa v31, v27, s17 dst_sel:DWORD dst_unused:UNUSED_PAD src0_sel:WORD_1 src1_sel:DWORD
	v_lshlrev_b16_sdwa v27, v22, v27 dst_sel:DWORD dst_unused:UNUSED_PAD src0_sel:DWORD src1_sel:WORD_1
	v_lshlrev_b16_e32 v29, 8, v29
	v_sub_i16 v31, v31, v33 clamp
	v_sub_i16 v27, v27, v29 clamp
	v_perm_b32 v27, v27, v31, s19
	v_lshl_or_b32 v27, v27, 16, v30
	v_dot4_i32_i8 v7, v26, v7, 0
	v_dot4_i32_i8 v26, v27, v8, v7
	v_lshrrev_b32_e32 v7, 13, v24
	v_and_b32_e32 v7, 0xff8, v7
	global_load_dwordx2 v[7:8], v7, s[12:13]
	v_lshrrev_b32_e32 v27, 25, v24
	v_bcnt_u32_b32 v27, v27, 0
	v_and_b32_e32 v27, 1, v27
	v_alignbit_b32 v24, v27, v24, 25
	v_mul_lo_u32 v24, v24, s16
	v_and_b32_e32 v27, 0x8040201, v24
	v_cmp_ne_u16_sdwa s[20:21], v27, v19 src0_sel:BYTE_3 src1_sel:DWORD
	v_cmp_ne_u16_sdwa s[22:23], v27, v19 src0_sel:BYTE_1 src1_sel:DWORD
	v_lshrrev_b32_e32 v29, 18, v24
	v_cndmask_b32_e64 v30, 0, -1, s[22:23]
	v_cndmask_b32_e64 v32, 0, -1, s[20:21]
	v_bfe_i32 v27, v24, 0, 1
	v_lshlrev_b16_e32 v30, 8, v30
	v_bfe_i32 v29, v29, 0, 1
	v_lshlrev_b16_e32 v32, 8, v32
	v_or_b32_sdwa v31, v27, v30 dst_sel:DWORD dst_unused:UNUSED_PAD src0_sel:BYTE_0 src1_sel:DWORD
	v_or_b32_sdwa v33, v29, v32 dst_sel:WORD_1 dst_unused:UNUSED_PAD src0_sel:BYTE_0 src1_sel:DWORD
	v_or_b32_sdwa v31, v31, v33 dst_sel:DWORD dst_unused:UNUSED_PAD src0_sel:WORD_0 src1_sel:DWORD
	v_lshlrev_b16_e32 v27, 8, v27
	v_lshlrev_b16_e32 v29, 8, v29
	s_waitcnt vmcnt(0)
	v_xor_b32_e32 v7, v7, v31
	v_and_b32_e32 v31, 0xffffff00, v7
	v_sub_i16 v30, v31, v30 clamp
	v_lshlrev_b16_e32 v31, 8, v7
	v_sub_i16 v27, v31, v27 clamp
	v_perm_b32 v27, v27, v30, s19
	v_and_b32_sdwa v30, v7, s17 dst_sel:DWORD dst_unused:UNUSED_PAD src0_sel:WORD_1 src1_sel:DWORD
	v_lshlrev_b16_sdwa v7, v22, v7 dst_sel:DWORD dst_unused:UNUSED_PAD src0_sel:DWORD src1_sel:WORD_1
	v_sub_i16 v30, v30, v32 clamp
	v_sub_i16 v7, v7, v29 clamp
	v_perm_b32 v7, v7, v30, s19
	v_lshl_or_b32 v7, v7, 16, v27
	v_and_b32_e32 v27, 0x80402010, v24
	v_cmp_ne_u16_sdwa s[20:21], v27, v19 src0_sel:BYTE_3 src1_sel:DWORD
	v_cmp_ne_u16_sdwa s[22:23], v27, v19 src0_sel:BYTE_1 src1_sel:DWORD
	v_lshrrev_b32_e32 v24, 22, v24
	v_lshrrev_b16_e32 v27, 4, v27
	v_cndmask_b32_e64 v29, 0, -1, s[22:23]
	v_cndmask_b32_e64 v31, 0, -1, s[20:21]
	v_bfe_i32 v27, v27, 0, 1
	v_lshlrev_b16_e32 v29, 8, v29
	v_bfe_i32 v24, v24, 0, 1
	v_lshlrev_b16_e32 v31, 8, v31
	v_or_b32_sdwa v30, v27, v29 dst_sel:DWORD dst_unused:UNUSED_PAD src0_sel:BYTE_0 src1_sel:DWORD
	v_or_b32_sdwa v32, v24, v31 dst_sel:WORD_1 dst_unused:UNUSED_PAD src0_sel:BYTE_0 src1_sel:DWORD
	v_or_b32_sdwa v30, v30, v32 dst_sel:DWORD dst_unused:UNUSED_PAD src0_sel:WORD_0 src1_sel:DWORD
	v_xor_b32_e32 v8, v8, v30
	v_and_b32_e32 v30, 0xffffff00, v8
	v_sub_i16 v29, v30, v29 clamp
	v_lshlrev_b16_e32 v30, 8, v8
	v_lshlrev_b16_e32 v27, 8, v27
	v_sub_i16 v27, v30, v27 clamp
	v_perm_b32 v27, v27, v29, s19
	v_and_b32_sdwa v29, v8, s17 dst_sel:DWORD dst_unused:UNUSED_PAD src0_sel:WORD_1 src1_sel:DWORD
	v_lshlrev_b16_sdwa v8, v22, v8 dst_sel:DWORD dst_unused:UNUSED_PAD src0_sel:DWORD src1_sel:WORD_1
	v_lshlrev_b16_e32 v24, 8, v24
	v_sub_i16 v29, v29, v31 clamp
	v_sub_i16 v8, v8, v24 clamp
	v_perm_b32 v8, v8, v29, s19
	v_lshl_or_b32 v8, v8, 16, v27
	v_dot4_i32_i8 v7, v7, v9, v26
	v_dot4_i32_i8 v9, v8, v2, v7
	v_and_b32_e32 v2, 0x1ff, v25
	v_lshlrev_b32_e32 v2, 3, v2
	global_load_dwordx2 v[7:8], v2, s[12:13]
	v_bfe_u32 v2, v25, 9, 7
	v_bcnt_u32_b32 v24, v2, 0
	v_and_b32_e32 v24, 1, v24
	v_lshl_or_b32 v2, v24, 7, v2
	v_mul_lo_u32 v2, v2, s16
	v_and_b32_e32 v24, 0x8040201, v2
	v_cmp_ne_u16_sdwa s[20:21], v24, v19 src0_sel:BYTE_3 src1_sel:DWORD
	v_cmp_ne_u16_sdwa s[22:23], v24, v19 src0_sel:BYTE_1 src1_sel:DWORD
	v_lshrrev_b32_e32 v26, 18, v2
	v_cndmask_b32_e64 v27, 0, -1, s[22:23]
	v_cndmask_b32_e64 v30, 0, -1, s[20:21]
	v_bfe_i32 v24, v2, 0, 1
	v_lshlrev_b16_e32 v27, 8, v27
	v_bfe_i32 v26, v26, 0, 1
	v_lshlrev_b16_e32 v30, 8, v30
	v_or_b32_sdwa v29, v24, v27 dst_sel:DWORD dst_unused:UNUSED_PAD src0_sel:BYTE_0 src1_sel:DWORD
	v_or_b32_sdwa v31, v26, v30 dst_sel:WORD_1 dst_unused:UNUSED_PAD src0_sel:BYTE_0 src1_sel:DWORD
	v_or_b32_sdwa v29, v29, v31 dst_sel:DWORD dst_unused:UNUSED_PAD src0_sel:WORD_0 src1_sel:DWORD
	v_lshlrev_b16_e32 v24, 8, v24
	v_lshlrev_b16_e32 v26, 8, v26
	s_waitcnt vmcnt(0)
	v_xor_b32_e32 v7, v7, v29
	v_and_b32_e32 v29, 0xffffff00, v7
	v_sub_i16 v27, v29, v27 clamp
	v_lshlrev_b16_e32 v29, 8, v7
	v_sub_i16 v24, v29, v24 clamp
	v_perm_b32 v24, v24, v27, s19
	v_and_b32_sdwa v27, v7, s17 dst_sel:DWORD dst_unused:UNUSED_PAD src0_sel:WORD_1 src1_sel:DWORD
	v_lshlrev_b16_sdwa v7, v22, v7 dst_sel:DWORD dst_unused:UNUSED_PAD src0_sel:DWORD src1_sel:WORD_1
	v_sub_i16 v27, v27, v30 clamp
	v_sub_i16 v7, v7, v26 clamp
	v_perm_b32 v7, v7, v27, s19
	v_lshl_or_b32 v7, v7, 16, v24
	v_and_b32_e32 v24, 0x80402010, v2
	v_cmp_ne_u16_sdwa s[20:21], v24, v19 src0_sel:BYTE_3 src1_sel:DWORD
	v_cmp_ne_u16_sdwa s[22:23], v24, v19 src0_sel:BYTE_1 src1_sel:DWORD
	v_lshrrev_b32_e32 v2, 22, v2
	v_lshrrev_b16_e32 v24, 4, v24
	v_cndmask_b32_e64 v26, 0, -1, s[22:23]
	v_cndmask_b32_e64 v29, 0, -1, s[20:21]
	v_bfe_i32 v24, v24, 0, 1
	v_lshlrev_b16_e32 v26, 8, v26
	v_bfe_i32 v2, v2, 0, 1
	v_lshlrev_b16_e32 v29, 8, v29
	v_or_b32_sdwa v27, v24, v26 dst_sel:DWORD dst_unused:UNUSED_PAD src0_sel:BYTE_0 src1_sel:DWORD
	v_or_b32_sdwa v30, v2, v29 dst_sel:WORD_1 dst_unused:UNUSED_PAD src0_sel:BYTE_0 src1_sel:DWORD
	v_or_b32_sdwa v27, v27, v30 dst_sel:DWORD dst_unused:UNUSED_PAD src0_sel:WORD_0 src1_sel:DWORD
	v_xor_b32_e32 v8, v8, v27
	v_and_b32_e32 v27, 0xffffff00, v8
	v_sub_i16 v26, v27, v26 clamp
	v_lshlrev_b16_e32 v27, 8, v8
	v_lshlrev_b16_e32 v24, 8, v24
	v_sub_i16 v24, v27, v24 clamp
	v_perm_b32 v24, v24, v26, s19
	v_and_b32_sdwa v26, v8, s17 dst_sel:DWORD dst_unused:UNUSED_PAD src0_sel:WORD_1 src1_sel:DWORD
	v_lshlrev_b16_sdwa v8, v22, v8 dst_sel:DWORD dst_unused:UNUSED_PAD src0_sel:DWORD src1_sel:WORD_1
	v_lshlrev_b16_e32 v2, 8, v2
	v_sub_i16 v26, v26, v29 clamp
	v_sub_i16 v2, v8, v2 clamp
	v_perm_b32 v2, v2, v26, s19
	v_lshl_or_b32 v2, v2, 16, v24
	v_dot4_i32_i8 v3, v7, v3, 0
	v_dot4_i32_i8 v4, v2, v4, v3
	v_lshrrev_b32_e32 v2, 13, v25
	v_and_b32_e32 v2, 0xff8, v2
	global_load_dwordx2 v[2:3], v2, s[12:13]
	v_lshrrev_b32_e32 v7, 25, v25
	v_bcnt_u32_b32 v7, v7, 0
	v_and_b32_e32 v7, 1, v7
	v_alignbit_b32 v7, v7, v25, 25
	v_mul_lo_u32 v7, v7, s16
	v_and_b32_e32 v8, 0x8040201, v7
	v_cmp_ne_u16_sdwa s[12:13], v8, v19 src0_sel:BYTE_3 src1_sel:DWORD
	v_cmp_ne_u16_sdwa s[20:21], v8, v19 src0_sel:BYTE_1 src1_sel:DWORD
	v_lshrrev_b32_e32 v24, 18, v7
	v_cndmask_b32_e64 v25, 0, -1, s[20:21]
	v_cndmask_b32_e64 v27, 0, -1, s[12:13]
	v_bfe_i32 v8, v7, 0, 1
	v_lshlrev_b16_e32 v25, 8, v25
	v_bfe_i32 v24, v24, 0, 1
	v_lshlrev_b16_e32 v27, 8, v27
	v_or_b32_sdwa v26, v8, v25 dst_sel:DWORD dst_unused:UNUSED_PAD src0_sel:BYTE_0 src1_sel:DWORD
	v_or_b32_sdwa v29, v24, v27 dst_sel:WORD_1 dst_unused:UNUSED_PAD src0_sel:BYTE_0 src1_sel:DWORD
	v_or_b32_sdwa v26, v26, v29 dst_sel:DWORD dst_unused:UNUSED_PAD src0_sel:WORD_0 src1_sel:DWORD
	v_lshlrev_b16_e32 v8, 8, v8
	v_lshlrev_b16_e32 v24, 8, v24
	s_waitcnt vmcnt(0)
	v_xor_b32_e32 v2, v2, v26
	v_and_b32_e32 v26, 0xffffff00, v2
	v_sub_i16 v25, v26, v25 clamp
	v_lshlrev_b16_e32 v26, 8, v2
	v_sub_i16 v8, v26, v8 clamp
	v_perm_b32 v8, v8, v25, s19
	v_and_b32_sdwa v25, v2, s17 dst_sel:DWORD dst_unused:UNUSED_PAD src0_sel:WORD_1 src1_sel:DWORD
	v_lshlrev_b16_sdwa v2, v22, v2 dst_sel:DWORD dst_unused:UNUSED_PAD src0_sel:DWORD src1_sel:WORD_1
	v_sub_i16 v25, v25, v27 clamp
	v_sub_i16 v2, v2, v24 clamp
	v_perm_b32 v2, v2, v25, s19
	v_lshl_or_b32 v2, v2, 16, v8
	v_and_b32_e32 v8, 0x80402010, v7
	v_cmp_ne_u16_sdwa s[12:13], v8, v19 src0_sel:BYTE_3 src1_sel:DWORD
	v_cmp_ne_u16_sdwa s[20:21], v8, v19 src0_sel:BYTE_1 src1_sel:DWORD
	v_lshrrev_b32_e32 v7, 22, v7
	v_lshrrev_b16_e32 v8, 4, v8
	v_cndmask_b32_e64 v24, 0, -1, s[20:21]
	v_cndmask_b32_e64 v26, 0, -1, s[12:13]
	v_bfe_i32 v8, v8, 0, 1
	v_lshlrev_b16_e32 v24, 8, v24
	v_bfe_i32 v7, v7, 0, 1
	v_lshlrev_b16_e32 v26, 8, v26
	v_or_b32_sdwa v25, v8, v24 dst_sel:DWORD dst_unused:UNUSED_PAD src0_sel:BYTE_0 src1_sel:DWORD
	v_or_b32_sdwa v27, v7, v26 dst_sel:WORD_1 dst_unused:UNUSED_PAD src0_sel:BYTE_0 src1_sel:DWORD
	v_or_b32_sdwa v25, v25, v27 dst_sel:DWORD dst_unused:UNUSED_PAD src0_sel:WORD_0 src1_sel:DWORD
	v_xor_b32_e32 v3, v3, v25
	v_and_b32_e32 v25, 0xffffff00, v3
	v_sub_i16 v24, v25, v24 clamp
	v_lshlrev_b16_e32 v25, 8, v3
	v_lshlrev_b16_e32 v8, 8, v8
	v_sub_i16 v8, v25, v8 clamp
	v_perm_b32 v8, v8, v24, s19
	v_and_b32_sdwa v24, v3, s17 dst_sel:DWORD dst_unused:UNUSED_PAD src0_sel:WORD_1 src1_sel:DWORD
	v_lshlrev_b16_sdwa v3, v22, v3 dst_sel:DWORD dst_unused:UNUSED_PAD src0_sel:DWORD src1_sel:WORD_1
	v_lshlrev_b16_e32 v7, 8, v7
	v_sub_i16 v24, v24, v26 clamp
	v_sub_i16 v3, v3, v7 clamp
	v_perm_b32 v3, v3, v24, s19
	v_lshl_or_b32 v3, v3, 16, v8
	v_dot4_i32_i8 v2, v2, v5, v4
	v_dot4_i32_i8 v2, v3, v23, v2
	v_lshrrev_b32_e32 v3, 4, v28
	v_and_b32_e32 v4, 15, v28
	v_mul_lo_u32 v4, v9, v4
	v_mul_lo_u32 v3, v2, v3
	v_add_u32_e32 v2, v2, v9
	v_lshrrev_b32_e32 v5, 31, v2
	v_add_u32_e32 v2, v2, v5
	v_ashrrev_i32_e32 v2, 1, v2
	v_add3_u32 v2, v3, v4, v2
	v_ashrrev_i32_e32 v3, 31, v2
	v_lshrrev_b32_e32 v3, 30, v3
	v_add_u32_e32 v2, v2, v3
	global_load_ushort v3, v[14:15], off
	v_ashrrev_i32_e32 v2, 2, v2
	v_cvt_f32_i32_e32 v2, v2
	s_waitcnt vmcnt(0)
	v_cvt_f32_f16_e32 v3, v3
	v_mul_f32_e32 v3, v3, v6
	v_fmac_f32_e32 v16, v3, v2
	s_andn2_b64 exec, exec, s[0:1]
	s_cbranch_execnz .LBB170_9
; %bb.10:
	s_or_b64 exec, exec, s[0:1]
.LBB170_11:
	s_or_b64 exec, exec, s[6:7]
	v_cmp_eq_u32_e32 vcc, 0, v1
	s_waitcnt lgkmcnt(0)
	v_cmp_ne_u32_e64 s[0:1], 0, v1
	v_lshlrev_b32_e32 v2, 2, v0
	s_and_saveexec_b64 s[6:7], s[0:1]
; %bb.12:
	v_lshl_or_b32 v1, v1, 9, v2
	v_add_u32_e32 v1, 0xfffffe00, v1
	ds_write2st64_b32 v1, v17, v16 offset1:1
; %bb.13:
	s_or_b64 exec, exec, s[6:7]
	s_waitcnt lgkmcnt(0)
	s_barrier
	s_and_saveexec_b64 s[0:1], vcc
	s_cbranch_execz .LBB170_16
; %bb.14:
	v_mbcnt_lo_u32_b32 v1, -1, 0
	v_mbcnt_hi_u32_b32 v1, -1, v1
	v_and_b32_e32 v3, 64, v1
	v_add_u32_e32 v5, 64, v3
	v_xor_b32_e32 v3, 32, v1
	v_cmp_lt_i32_e32 vcc, v3, v5
	v_cndmask_b32_e32 v3, v1, v3, vcc
	v_lshlrev_b32_e32 v6, 2, v3
	v_xor_b32_e32 v3, 16, v1
	v_cmp_lt_i32_e32 vcc, v3, v5
	v_cndmask_b32_e32 v3, v1, v3, vcc
	v_lshlrev_b32_e32 v7, 2, v3
	ds_read2st64_b32 v[3:4], v2 offset1:1
	v_xor_b32_e32 v8, 8, v1
	v_cmp_lt_i32_e32 vcc, v8, v5
	v_cndmask_b32_e32 v8, v1, v8, vcc
	v_lshlrev_b32_e32 v8, 2, v8
	s_waitcnt lgkmcnt(0)
	v_add_f32_e32 v3, v17, v3
	v_add_f32_e32 v4, v16, v4
	ds_bpermute_b32 v10, v6, v3
	ds_bpermute_b32 v6, v6, v4
	v_xor_b32_e32 v9, 4, v1
	v_cmp_lt_i32_e32 vcc, v9, v5
	v_cndmask_b32_e32 v9, v1, v9, vcc
	s_waitcnt lgkmcnt(1)
	v_add_f32_e32 v3, v3, v10
	s_waitcnt lgkmcnt(0)
	v_add_f32_e32 v4, v4, v6
	ds_bpermute_b32 v10, v7, v3
	ds_bpermute_b32 v6, v7, v4
	v_lshlrev_b32_e32 v7, 2, v9
	v_xor_b32_e32 v9, 2, v1
	v_cmp_lt_i32_e32 vcc, v9, v5
	s_waitcnt lgkmcnt(1)
	v_add_f32_e32 v3, v3, v10
	s_waitcnt lgkmcnt(0)
	v_add_f32_e32 v4, v4, v6
	ds_bpermute_b32 v10, v8, v3
	ds_bpermute_b32 v6, v8, v4
	v_cndmask_b32_e32 v8, v1, v9, vcc
	s_load_dword s0, s[4:5], 0x58
	s_mov_b32 s3, 0
	s_waitcnt lgkmcnt(0)
	v_add_f32_e32 v3, v3, v10
	v_add_f32_e32 v4, v4, v6
	ds_bpermute_b32 v9, v7, v3
	ds_bpermute_b32 v6, v7, v4
	v_lshlrev_b32_e32 v7, 2, v8
	v_xor_b32_e32 v8, 1, v1
	v_cmp_lt_i32_e32 vcc, v8, v5
	s_waitcnt lgkmcnt(1)
	v_add_f32_e32 v3, v3, v9
	s_waitcnt lgkmcnt(0)
	v_add_f32_e32 v4, v4, v6
	ds_bpermute_b32 v9, v7, v3
	ds_bpermute_b32 v6, v7, v4
	v_cndmask_b32_e32 v1, v1, v8, vcc
	v_lshlrev_b32_e32 v5, 2, v1
	s_waitcnt lgkmcnt(1)
	v_add_f32_e32 v1, v3, v9
	s_waitcnt lgkmcnt(0)
	v_add_f32_e32 v4, v4, v6
	ds_bpermute_b32 v3, v5, v1
	ds_bpermute_b32 v5, v5, v4
	v_or_b32_e32 v6, s9, v0
	v_cmp_gt_u32_e32 vcc, s0, v6
	v_cmp_gt_u32_e64 s[0:1], 2, v0
	s_and_b64 s[0:1], s[0:1], vcc
	s_and_b64 exec, exec, s[0:1]
	s_cbranch_execz .LBB170_16
; %bb.15:
	s_load_dwordx2 s[0:1], s[4:5], 0x38
	s_mul_i32 s2, s2, s10
	s_add_i32 s2, s2, s9
	s_mul_i32 s4, s14, s8
	s_add_i32 s2, s2, s4
	s_lshl_b64 s[2:3], s[2:3], 2
	s_waitcnt lgkmcnt(0)
	s_add_u32 s0, s0, s2
	v_add_f32_e32 v4, v4, v5
	v_add_f32_e32 v1, v1, v3
	v_cmp_eq_u32_e32 vcc, 1, v0
	s_addc_u32 s1, s1, s3
	v_cndmask_b32_e32 v0, v1, v4, vcc
	global_store_dword v2, v0, s[0:1]
.LBB170_16:
	s_endpgm
	.section	.rodata,"a",@progbits
	.p2align	6, 0x0
	.amdhsa_kernel _ZL13mul_mat_vec_qIL9ggml_type17ELi1ELb0ELb1EEvPKvS2_PKi31ggml_cuda_mm_fusion_args_devicePfj15HIP_vector_typeIjLj3EEjjjS8_jjjS8_jjjj
		.amdhsa_group_segment_fixed_size 512
		.amdhsa_private_segment_fixed_size 0
		.amdhsa_kernarg_size 144
		.amdhsa_user_sgpr_count 6
		.amdhsa_user_sgpr_private_segment_buffer 1
		.amdhsa_user_sgpr_dispatch_ptr 0
		.amdhsa_user_sgpr_queue_ptr 0
		.amdhsa_user_sgpr_kernarg_segment_ptr 1
		.amdhsa_user_sgpr_dispatch_id 0
		.amdhsa_user_sgpr_flat_scratch_init 0
		.amdhsa_user_sgpr_private_segment_size 0
		.amdhsa_uses_dynamic_stack 0
		.amdhsa_system_sgpr_private_segment_wavefront_offset 0
		.amdhsa_system_sgpr_workgroup_id_x 1
		.amdhsa_system_sgpr_workgroup_id_y 1
		.amdhsa_system_sgpr_workgroup_id_z 1
		.amdhsa_system_sgpr_workgroup_info 0
		.amdhsa_system_vgpr_workitem_id 1
		.amdhsa_next_free_vgpr 36
		.amdhsa_next_free_sgpr 24
		.amdhsa_reserve_vcc 1
		.amdhsa_reserve_flat_scratch 0
		.amdhsa_float_round_mode_32 0
		.amdhsa_float_round_mode_16_64 0
		.amdhsa_float_denorm_mode_32 3
		.amdhsa_float_denorm_mode_16_64 3
		.amdhsa_dx10_clamp 1
		.amdhsa_ieee_mode 1
		.amdhsa_fp16_overflow 0
		.amdhsa_exception_fp_ieee_invalid_op 0
		.amdhsa_exception_fp_denorm_src 0
		.amdhsa_exception_fp_ieee_div_zero 0
		.amdhsa_exception_fp_ieee_overflow 0
		.amdhsa_exception_fp_ieee_underflow 0
		.amdhsa_exception_fp_ieee_inexact 0
		.amdhsa_exception_int_div_zero 0
	.end_amdhsa_kernel
	.section	.text._ZL13mul_mat_vec_qIL9ggml_type17ELi1ELb0ELb1EEvPKvS2_PKi31ggml_cuda_mm_fusion_args_devicePfj15HIP_vector_typeIjLj3EEjjjS8_jjjS8_jjjj,"axG",@progbits,_ZL13mul_mat_vec_qIL9ggml_type17ELi1ELb0ELb1EEvPKvS2_PKi31ggml_cuda_mm_fusion_args_devicePfj15HIP_vector_typeIjLj3EEjjjS8_jjjS8_jjjj,comdat
.Lfunc_end170:
	.size	_ZL13mul_mat_vec_qIL9ggml_type17ELi1ELb0ELb1EEvPKvS2_PKi31ggml_cuda_mm_fusion_args_devicePfj15HIP_vector_typeIjLj3EEjjjS8_jjjS8_jjjj, .Lfunc_end170-_ZL13mul_mat_vec_qIL9ggml_type17ELi1ELb0ELb1EEvPKvS2_PKi31ggml_cuda_mm_fusion_args_devicePfj15HIP_vector_typeIjLj3EEjjjS8_jjjS8_jjjj
                                        ; -- End function
	.set _ZL13mul_mat_vec_qIL9ggml_type17ELi1ELb0ELb1EEvPKvS2_PKi31ggml_cuda_mm_fusion_args_devicePfj15HIP_vector_typeIjLj3EEjjjS8_jjjS8_jjjj.num_vgpr, 36
	.set _ZL13mul_mat_vec_qIL9ggml_type17ELi1ELb0ELb1EEvPKvS2_PKi31ggml_cuda_mm_fusion_args_devicePfj15HIP_vector_typeIjLj3EEjjjS8_jjjS8_jjjj.num_agpr, 0
	.set _ZL13mul_mat_vec_qIL9ggml_type17ELi1ELb0ELb1EEvPKvS2_PKi31ggml_cuda_mm_fusion_args_devicePfj15HIP_vector_typeIjLj3EEjjjS8_jjjS8_jjjj.numbered_sgpr, 24
	.set _ZL13mul_mat_vec_qIL9ggml_type17ELi1ELb0ELb1EEvPKvS2_PKi31ggml_cuda_mm_fusion_args_devicePfj15HIP_vector_typeIjLj3EEjjjS8_jjjS8_jjjj.num_named_barrier, 0
	.set _ZL13mul_mat_vec_qIL9ggml_type17ELi1ELb0ELb1EEvPKvS2_PKi31ggml_cuda_mm_fusion_args_devicePfj15HIP_vector_typeIjLj3EEjjjS8_jjjS8_jjjj.private_seg_size, 0
	.set _ZL13mul_mat_vec_qIL9ggml_type17ELi1ELb0ELb1EEvPKvS2_PKi31ggml_cuda_mm_fusion_args_devicePfj15HIP_vector_typeIjLj3EEjjjS8_jjjS8_jjjj.uses_vcc, 1
	.set _ZL13mul_mat_vec_qIL9ggml_type17ELi1ELb0ELb1EEvPKvS2_PKi31ggml_cuda_mm_fusion_args_devicePfj15HIP_vector_typeIjLj3EEjjjS8_jjjS8_jjjj.uses_flat_scratch, 0
	.set _ZL13mul_mat_vec_qIL9ggml_type17ELi1ELb0ELb1EEvPKvS2_PKi31ggml_cuda_mm_fusion_args_devicePfj15HIP_vector_typeIjLj3EEjjjS8_jjjS8_jjjj.has_dyn_sized_stack, 0
	.set _ZL13mul_mat_vec_qIL9ggml_type17ELi1ELb0ELb1EEvPKvS2_PKi31ggml_cuda_mm_fusion_args_devicePfj15HIP_vector_typeIjLj3EEjjjS8_jjjS8_jjjj.has_recursion, 0
	.set _ZL13mul_mat_vec_qIL9ggml_type17ELi1ELb0ELb1EEvPKvS2_PKi31ggml_cuda_mm_fusion_args_devicePfj15HIP_vector_typeIjLj3EEjjjS8_jjjS8_jjjj.has_indirect_call, 0
	.section	.AMDGPU.csdata,"",@progbits
; Kernel info:
; codeLenInByte = 4932
; TotalNumSgprs: 28
; NumVgprs: 36
; ScratchSize: 0
; MemoryBound: 0
; FloatMode: 240
; IeeeMode: 1
; LDSByteSize: 512 bytes/workgroup (compile time only)
; SGPRBlocks: 3
; VGPRBlocks: 8
; NumSGPRsForWavesPerEU: 28
; NumVGPRsForWavesPerEU: 36
; Occupancy: 7
; WaveLimiterHint : 0
; COMPUTE_PGM_RSRC2:SCRATCH_EN: 0
; COMPUTE_PGM_RSRC2:USER_SGPR: 6
; COMPUTE_PGM_RSRC2:TRAP_HANDLER: 0
; COMPUTE_PGM_RSRC2:TGID_X_EN: 1
; COMPUTE_PGM_RSRC2:TGID_Y_EN: 1
; COMPUTE_PGM_RSRC2:TGID_Z_EN: 1
; COMPUTE_PGM_RSRC2:TIDIG_COMP_CNT: 1
	.section	.text._ZL13mul_mat_vec_qIL9ggml_type17ELi1ELb1ELb0EEvPKvS2_PKi31ggml_cuda_mm_fusion_args_devicePfj15HIP_vector_typeIjLj3EEjjjS8_jjjS8_jjjj,"axG",@progbits,_ZL13mul_mat_vec_qIL9ggml_type17ELi1ELb1ELb0EEvPKvS2_PKi31ggml_cuda_mm_fusion_args_devicePfj15HIP_vector_typeIjLj3EEjjjS8_jjjS8_jjjj,comdat
	.globl	_ZL13mul_mat_vec_qIL9ggml_type17ELi1ELb1ELb0EEvPKvS2_PKi31ggml_cuda_mm_fusion_args_devicePfj15HIP_vector_typeIjLj3EEjjjS8_jjjS8_jjjj ; -- Begin function _ZL13mul_mat_vec_qIL9ggml_type17ELi1ELb1ELb0EEvPKvS2_PKi31ggml_cuda_mm_fusion_args_devicePfj15HIP_vector_typeIjLj3EEjjjS8_jjjS8_jjjj
	.p2align	8
	.type	_ZL13mul_mat_vec_qIL9ggml_type17ELi1ELb1ELb0EEvPKvS2_PKi31ggml_cuda_mm_fusion_args_devicePfj15HIP_vector_typeIjLj3EEjjjS8_jjjS8_jjjj,@function
_ZL13mul_mat_vec_qIL9ggml_type17ELi1ELb1ELb0EEvPKvS2_PKi31ggml_cuda_mm_fusion_args_devicePfj15HIP_vector_typeIjLj3EEjjjS8_jjjS8_jjjj: ; @_ZL13mul_mat_vec_qIL9ggml_type17ELi1ELb1ELb0EEvPKvS2_PKi31ggml_cuda_mm_fusion_args_devicePfj15HIP_vector_typeIjLj3EEjjjS8_jjjS8_jjjj
; %bb.0:
	s_load_dwordx8 s[12:19], s[4:5], 0x0
	s_load_dwordx4 s[28:31], s[4:5], 0x20
	s_load_dwordx4 s[36:39], s[4:5], 0x40
	;; [unrolled: 1-line block ×3, first 2 shown]
	s_mov_b32 s34, s7
	s_waitcnt lgkmcnt(0)
	s_cmp_lg_u64 s[16:17], 0
	s_cselect_b64 s[0:1], -1, 0
	s_cmp_eq_u64 s[16:17], 0
	s_mov_b64 s[2:3], 0
	s_cbranch_scc1 .LBB171_5
; %bb.1:
	s_mov_b32 s35, 0
	s_lshl_b64 s[10:11], s[34:35], 2
	s_add_u32 s10, s16, s10
	s_addc_u32 s11, s17, s11
	s_load_dword s9, s[10:11], 0x0
	s_load_dword s33, s[4:5], 0x50
	;; [unrolled: 1-line block ×3, first 2 shown]
	s_andn2_b64 vcc, exec, s[2:3]
	s_cbranch_vccnz .LBB171_3
.LBB171_2:
	s_load_dwordx2 s[2:3], s[4:5], 0x5c
	s_waitcnt lgkmcnt(0)
	s_mul_hi_u32 s2, s2, s34
	s_add_i32 s2, s34, s2
	s_lshr_b32 s9, s2, s3
.LBB171_3:
	s_andn2_b64 vcc, exec, s[0:1]
	s_cbranch_vccnz .LBB171_6
; %bb.4:
	s_mul_hi_u32 s0, s37, s34
	s_add_i32 s0, s34, s0
	s_lshr_b32 s0, s0, s38
	s_mul_i32 s0, s0, s39
	s_sub_i32 s37, s34, s0
	s_waitcnt lgkmcnt(0)
	s_mov_b32 s2, s9
	s_branch .LBB171_7
.LBB171_5:
                                        ; implicit-def: $sgpr9
	s_load_dword s33, s[4:5], 0x50
	s_load_dword s35, s[4:5], 0x78
	s_branch .LBB171_2
.LBB171_6:
	s_mov_b32 s2, s34
	s_mov_b32 s37, s34
.LBB171_7:
	s_load_dwordx4 s[24:27], s[4:5], 0x80
	s_cmp_lg_u64 s[18:19], 0
	v_or_b32_e32 v2, v0, v1
	s_cselect_b64 s[0:1], -1, 0
	v_cmp_eq_u32_e32 vcc, 0, v2
	s_mov_b32 s17, 0
	s_and_b64 s[38:39], s[0:1], vcc
	v_mov_b32_e32 v29, 0
	s_mul_i32 s10, s2, s22
	v_lshlrev_b32_e32 v28, 2, v0
	v_mov_b32_e32 v30, 0
	s_and_saveexec_b64 s[2:3], s[38:39]
	s_cbranch_execz .LBB171_9
; %bb.8:
	s_waitcnt lgkmcnt(0)
	s_mul_i32 s16, s26, s8
	s_lshl_b64 s[38:39], s[16:17], 2
	s_add_u32 s7, s18, s38
	s_mov_b32 s11, s17
	s_addc_u32 s18, s19, s39
	s_lshl_b64 s[16:17], s[10:11], 2
	s_add_u32 s11, s7, s16
	s_addc_u32 s18, s18, s17
	s_ashr_i32 s7, s6, 31
	s_lshl_b64 s[16:17], s[6:7], 2
	s_add_u32 s16, s11, s16
	s_addc_u32 s17, s18, s17
	global_load_dword v30, v28, s[16:17]
.LBB171_9:
	s_or_b64 exec, exec, s[2:3]
	s_cmp_lg_u64 s[28:29], 0
	s_cselect_b64 s[16:17], -1, 0
	s_cmp_lg_u64 s[30:31], 0
	s_cselect_b64 s[2:3], -1, 0
	s_and_b64 s[18:19], s[2:3], s[16:17]
	s_and_b64 s[38:39], s[18:19], vcc
	s_and_saveexec_b64 s[18:19], s[38:39]
	s_cbranch_execz .LBB171_11
; %bb.10:
	s_waitcnt lgkmcnt(0)
	s_mul_i32 s38, s26, s8
	s_mov_b32 s39, 0
	s_lshl_b64 s[40:41], s[38:39], 2
	s_add_u32 s7, s30, s40
	s_mov_b32 s11, s39
	s_addc_u32 s27, s31, s41
	s_lshl_b64 s[10:11], s[10:11], 2
	s_add_u32 s30, s7, s10
	s_addc_u32 s27, s27, s11
	s_ashr_i32 s7, s6, 31
	s_lshl_b64 s[10:11], s[6:7], 2
	s_add_u32 s10, s30, s10
	s_addc_u32 s11, s27, s11
	global_load_dword v29, v28, s[10:11]
.LBB171_11:
	s_or_b64 exec, exec, s[18:19]
	v_lshl_add_u32 v2, v1, 6, v0
	s_lshr_b32 s7, s36, 8
	v_lshrrev_b32_e32 v34, 3, v2
	v_cmp_gt_u32_e32 vcc, s7, v34
	v_mov_b32_e32 v33, 0
	v_cndmask_b32_e64 v32, 0, 1, s[16:17]
	v_mov_b32_e32 v31, 0
	s_and_saveexec_b64 s[18:19], vcc
	s_cbranch_execz .LBB171_17
; %bb.12:
	s_mul_hi_u32 s10, s23, s8
	s_add_i32 s10, s8, s10
	s_waitcnt lgkmcnt(0)
	s_lshr_b32 s10, s10, s35
	s_mul_i32 s9, s9, s20
	s_mul_i32 s20, s10, s24
	;; [unrolled: 1-line block ×3, first 2 shown]
	v_lshlrev_b32_e32 v3, 1, v0
	s_mul_hi_u32 s11, s10, 36
	s_mul_i32 s10, s10, 36
	v_and_b32_e32 v4, 14, v3
	v_lshrrev_b32_e32 v5, 3, v2
	v_mov_b32_e32 v2, s10
	v_mov_b32_e32 v3, s11
	s_movk_i32 s10, 0x120
	v_mad_u64_u32 v[2:3], s[10:11], v5, s10, v[2:3]
	s_mul_i32 s23, s25, s8
	v_and_b32_e32 v35, 7, v0
	v_mad_u64_u32 v[2:3], s[10:11], s23, 36, v[2:3]
	v_mov_b32_e32 v5, s15
	s_mul_i32 s33, s33, s6
	v_mad_u64_u32 v[2:3], s[10:11], v35, 36, v[2:3]
	s_add_i32 s20, s20, s33
	v_lshlrev_b32_e32 v4, 1, v4
	v_add_co_u32_e32 v2, vcc, s14, v2
	v_addc_co_u32_e32 v3, vcc, v5, v3, vcc
	v_add_co_u32_e32 v10, vcc, 32, v2
	v_mov_b32_e32 v12, s12
	s_add_i32 s9, s9, s20
	v_mov_b32_e32 v36, 0
	v_addc_co_u32_e32 v11, vcc, 0, v3, vcc
	s_mov_b64 s[14:15], 0
	s_movk_i32 s20, 0x4a
	v_mov_b32_e32 v13, s13
	v_lshlrev_b32_e32 v37, 1, v4
	s_mov_b32 s21, 0x1010101
	s_movk_i32 s23, 0xff00
	s_mov_b32 s24, 0xc0c0105
	v_cmp_ne_u32_e64 s[10:11], 1, v32
	v_mov_b32_e32 v38, 8
	v_mov_b32_e32 v33, 0
	;; [unrolled: 1-line block ×3, first 2 shown]
	s_branch .LBB171_14
.LBB171_13:                             ;   in Loop: Header=BB171_14 Depth=1
	v_bfe_u32 v24, v14, 9, 7
	v_bcnt_u32_b32 v25, v24, 0
	v_and_b32_e32 v25, 1, v25
	v_lshl_or_b32 v24, v25, 7, v24
	v_mul_lo_u32 v24, v24, s21
	v_add_u32_e32 v34, 16, v34
	v_add_co_u32_e32 v10, vcc, 0x1200, v10
	v_and_b32_e32 v25, 0x8040201, v24
	v_cmp_ne_u16_sdwa s[12:13], v25, v36 src0_sel:BYTE_1 src1_sel:DWORD
	v_cndmask_b32_e64 v42, 0, -1, s[12:13]
	v_cmp_ne_u16_sdwa s[12:13], v25, v36 src0_sel:BYTE_3 src1_sel:DWORD
	v_lshrrev_b32_e32 v26, 18, v24
	v_cndmask_b32_e64 v25, 0, -1, s[12:13]
	v_bfe_i32 v27, v24, 0, 1
	v_lshlrev_b16_e32 v42, 8, v42
	v_bfe_i32 v26, v26, 0, 1
	v_lshlrev_b16_e32 v25, 8, v25
	v_or_b32_sdwa v43, v27, v42 dst_sel:DWORD dst_unused:UNUSED_PAD src0_sel:BYTE_0 src1_sel:DWORD
	v_or_b32_sdwa v44, v26, v25 dst_sel:WORD_1 dst_unused:UNUSED_PAD src0_sel:BYTE_0 src1_sel:DWORD
	v_or_b32_sdwa v43, v43, v44 dst_sel:DWORD dst_unused:UNUSED_PAD src0_sel:WORD_0 src1_sel:DWORD
	s_waitcnt vmcnt(4)
	v_xor_b32_e32 v22, v22, v43
	v_and_b32_e32 v43, 0xffffff00, v22
	v_sub_i16 v42, v43, v42 clamp
	v_lshlrev_b16_e32 v43, 8, v22
	v_lshlrev_b16_e32 v27, 8, v27
	v_sub_i16 v27, v43, v27 clamp
	v_perm_b32 v27, v27, v42, s24
	v_and_b32_sdwa v42, v22, s23 dst_sel:DWORD dst_unused:UNUSED_PAD src0_sel:WORD_1 src1_sel:DWORD
	v_lshlrev_b16_sdwa v22, v38, v22 dst_sel:DWORD dst_unused:UNUSED_PAD src0_sel:DWORD src1_sel:WORD_1
	v_lshlrev_b16_e32 v26, 8, v26
	v_sub_i16 v25, v42, v25 clamp
	v_sub_i16 v22, v22, v26 clamp
	v_perm_b32 v22, v22, v25, s24
	v_and_b32_e32 v25, 0x80402010, v24
	v_cmp_ne_u16_sdwa s[12:13], v25, v36 src0_sel:BYTE_1 src1_sel:DWORD
	v_lshl_or_b32 v22, v22, 16, v27
	v_cndmask_b32_e64 v27, 0, -1, s[12:13]
	v_cmp_ne_u16_sdwa s[12:13], v25, v36 src0_sel:BYTE_3 src1_sel:DWORD
	v_lshrrev_b32_e32 v24, 22, v24
	v_lshrrev_b16_e32 v26, 4, v25
	v_cndmask_b32_e64 v25, 0, -1, s[12:13]
	v_bfe_i32 v26, v26, 0, 1
	v_lshlrev_b16_e32 v27, 8, v27
	v_bfe_i32 v24, v24, 0, 1
	v_lshlrev_b16_e32 v25, 8, v25
	v_or_b32_sdwa v42, v26, v27 dst_sel:DWORD dst_unused:UNUSED_PAD src0_sel:BYTE_0 src1_sel:DWORD
	v_or_b32_sdwa v43, v24, v25 dst_sel:WORD_1 dst_unused:UNUSED_PAD src0_sel:BYTE_0 src1_sel:DWORD
	v_or_b32_sdwa v42, v42, v43 dst_sel:DWORD dst_unused:UNUSED_PAD src0_sel:WORD_0 src1_sel:DWORD
	v_xor_b32_e32 v23, v23, v42
	v_and_b32_e32 v42, 0xffffff00, v23
	v_sub_i16 v27, v42, v27 clamp
	v_lshlrev_b16_e32 v42, 8, v23
	v_lshlrev_b16_e32 v26, 8, v26
	v_sub_i16 v26, v42, v26 clamp
	v_perm_b32 v26, v26, v27, s24
	v_and_b32_sdwa v27, v23, s23 dst_sel:DWORD dst_unused:UNUSED_PAD src0_sel:WORD_1 src1_sel:DWORD
	v_lshlrev_b16_sdwa v23, v38, v23 dst_sel:DWORD dst_unused:UNUSED_PAD src0_sel:DWORD src1_sel:WORD_1
	v_lshlrev_b16_e32 v24, 8, v24
	v_sub_i16 v23, v23, v24 clamp
	v_lshrrev_b32_e32 v24, 25, v14
	v_bcnt_u32_b32 v24, v24, 0
	v_and_b32_e32 v24, 1, v24
	v_alignbit_b32 v14, v24, v14, 25
	v_mul_lo_u32 v14, v14, s21
	v_sub_i16 v25, v27, v25 clamp
	v_perm_b32 v23, v23, v25, s24
	v_lshl_or_b32 v23, v23, 16, v26
	v_dot4_i32_i8 v7, v22, v7, 0
	v_dot4_i32_i8 v7, v23, v8, v7
	v_and_b32_e32 v8, 0x8040201, v14
	v_cmp_ne_u16_sdwa s[12:13], v8, v36 src0_sel:BYTE_1 src1_sel:DWORD
	v_cndmask_b32_e64 v24, 0, -1, s[12:13]
	v_cmp_ne_u16_sdwa s[12:13], v8, v36 src0_sel:BYTE_3 src1_sel:DWORD
	v_lshrrev_b32_e32 v22, 18, v14
	v_cndmask_b32_e64 v8, 0, -1, s[12:13]
	v_bfe_i32 v23, v14, 0, 1
	v_lshlrev_b16_e32 v24, 8, v24
	v_bfe_i32 v22, v22, 0, 1
	v_lshlrev_b16_e32 v8, 8, v8
	v_or_b32_sdwa v25, v23, v24 dst_sel:DWORD dst_unused:UNUSED_PAD src0_sel:BYTE_0 src1_sel:DWORD
	v_or_b32_sdwa v26, v22, v8 dst_sel:WORD_1 dst_unused:UNUSED_PAD src0_sel:BYTE_0 src1_sel:DWORD
	v_or_b32_sdwa v25, v25, v26 dst_sel:DWORD dst_unused:UNUSED_PAD src0_sel:WORD_0 src1_sel:DWORD
	s_waitcnt vmcnt(3)
	v_xor_b32_e32 v20, v20, v25
	v_and_b32_e32 v25, 0xffffff00, v20
	v_sub_i16 v24, v25, v24 clamp
	v_lshlrev_b16_e32 v25, 8, v20
	v_lshlrev_b16_e32 v23, 8, v23
	v_sub_i16 v23, v25, v23 clamp
	v_perm_b32 v23, v23, v24, s24
	v_and_b32_sdwa v24, v20, s23 dst_sel:DWORD dst_unused:UNUSED_PAD src0_sel:WORD_1 src1_sel:DWORD
	v_lshlrev_b16_sdwa v20, v38, v20 dst_sel:DWORD dst_unused:UNUSED_PAD src0_sel:DWORD src1_sel:WORD_1
	v_lshlrev_b16_e32 v22, 8, v22
	v_sub_i16 v8, v24, v8 clamp
	v_sub_i16 v20, v20, v22 clamp
	v_perm_b32 v8, v20, v8, s24
	v_and_b32_e32 v20, 0x80402010, v14
	v_cmp_ne_u16_sdwa s[12:13], v20, v36 src0_sel:BYTE_1 src1_sel:DWORD
	v_lshl_or_b32 v8, v8, 16, v23
	v_cndmask_b32_e64 v23, 0, -1, s[12:13]
	v_cmp_ne_u16_sdwa s[12:13], v20, v36 src0_sel:BYTE_3 src1_sel:DWORD
	v_lshrrev_b32_e32 v14, 22, v14
	v_lshrrev_b16_e32 v22, 4, v20
	v_cndmask_b32_e64 v20, 0, -1, s[12:13]
	v_bfe_i32 v22, v22, 0, 1
	v_lshlrev_b16_e32 v23, 8, v23
	v_bfe_i32 v14, v14, 0, 1
	v_lshlrev_b16_e32 v20, 8, v20
	v_or_b32_sdwa v24, v22, v23 dst_sel:DWORD dst_unused:UNUSED_PAD src0_sel:BYTE_0 src1_sel:DWORD
	v_or_b32_sdwa v25, v14, v20 dst_sel:WORD_1 dst_unused:UNUSED_PAD src0_sel:BYTE_0 src1_sel:DWORD
	v_or_b32_sdwa v24, v24, v25 dst_sel:DWORD dst_unused:UNUSED_PAD src0_sel:WORD_0 src1_sel:DWORD
	v_xor_b32_e32 v21, v21, v24
	v_and_b32_e32 v24, 0xffffff00, v21
	v_sub_i16 v23, v24, v23 clamp
	v_lshlrev_b16_e32 v24, 8, v21
	v_lshlrev_b16_e32 v22, 8, v22
	v_sub_i16 v22, v24, v22 clamp
	v_perm_b32 v22, v22, v23, s24
	v_and_b32_sdwa v23, v21, s23 dst_sel:DWORD dst_unused:UNUSED_PAD src0_sel:WORD_1 src1_sel:DWORD
	v_lshlrev_b16_sdwa v21, v38, v21 dst_sel:DWORD dst_unused:UNUSED_PAD src0_sel:DWORD src1_sel:WORD_1
	v_lshlrev_b16_e32 v14, 8, v14
	v_sub_i16 v20, v23, v20 clamp
	v_sub_i16 v14, v21, v14 clamp
	v_perm_b32 v14, v14, v20, s24
	v_bfe_u32 v20, v15, 9, 7
	v_bcnt_u32_b32 v21, v20, 0
	v_and_b32_e32 v21, 1, v21
	v_lshl_or_b32 v20, v21, 7, v20
	v_mul_lo_u32 v20, v20, s21
	v_lshl_or_b32 v14, v14, 16, v22
	v_dot4_i32_i8 v7, v8, v9, v7
	s_waitcnt vmcnt(0)
	v_dot4_i32_i8 v2, v14, v2, v7
	v_and_b32_e32 v7, 0x8040201, v20
	v_cmp_ne_u16_sdwa s[12:13], v7, v36 src0_sel:BYTE_1 src1_sel:DWORD
	v_cndmask_b32_e64 v14, 0, -1, s[12:13]
	v_cmp_ne_u16_sdwa s[12:13], v7, v36 src0_sel:BYTE_3 src1_sel:DWORD
	v_lshrrev_b32_e32 v8, 18, v20
	v_cndmask_b32_e64 v7, 0, -1, s[12:13]
	v_bfe_i32 v9, v20, 0, 1
	v_lshlrev_b16_e32 v14, 8, v14
	v_bfe_i32 v8, v8, 0, 1
	v_lshlrev_b16_e32 v7, 8, v7
	v_or_b32_sdwa v21, v9, v14 dst_sel:DWORD dst_unused:UNUSED_PAD src0_sel:BYTE_0 src1_sel:DWORD
	v_or_b32_sdwa v22, v8, v7 dst_sel:WORD_1 dst_unused:UNUSED_PAD src0_sel:BYTE_0 src1_sel:DWORD
	v_or_b32_sdwa v21, v21, v22 dst_sel:DWORD dst_unused:UNUSED_PAD src0_sel:WORD_0 src1_sel:DWORD
	v_xor_b32_e32 v18, v18, v21
	v_and_b32_e32 v21, 0xffffff00, v18
	v_sub_i16 v14, v21, v14 clamp
	v_lshlrev_b16_e32 v21, 8, v18
	v_lshlrev_b16_e32 v9, 8, v9
	v_sub_i16 v9, v21, v9 clamp
	v_perm_b32 v9, v9, v14, s24
	v_and_b32_sdwa v14, v18, s23 dst_sel:DWORD dst_unused:UNUSED_PAD src0_sel:WORD_1 src1_sel:DWORD
	v_sub_i16 v7, v14, v7 clamp
	v_lshlrev_b16_sdwa v14, v38, v18 dst_sel:DWORD dst_unused:UNUSED_PAD src0_sel:DWORD src1_sel:WORD_1
	v_lshlrev_b16_e32 v8, 8, v8
	v_sub_i16 v8, v14, v8 clamp
	v_perm_b32 v7, v8, v7, s24
	v_and_b32_e32 v8, 0x80402010, v20
	v_cmp_ne_u16_sdwa s[12:13], v8, v36 src0_sel:BYTE_1 src1_sel:DWORD
	v_cndmask_b32_e64 v18, 0, -1, s[12:13]
	v_cmp_ne_u16_sdwa s[12:13], v8, v36 src0_sel:BYTE_3 src1_sel:DWORD
	v_lshl_or_b32 v7, v7, 16, v9
	v_lshrrev_b32_e32 v9, 22, v20
	v_lshrrev_b16_e32 v14, 4, v8
	v_cndmask_b32_e64 v8, 0, -1, s[12:13]
	v_bfe_i32 v14, v14, 0, 1
	v_lshlrev_b16_e32 v18, 8, v18
	v_bfe_i32 v9, v9, 0, 1
	v_lshlrev_b16_e32 v8, 8, v8
	v_or_b32_sdwa v20, v14, v18 dst_sel:DWORD dst_unused:UNUSED_PAD src0_sel:BYTE_0 src1_sel:DWORD
	v_or_b32_sdwa v21, v9, v8 dst_sel:WORD_1 dst_unused:UNUSED_PAD src0_sel:BYTE_0 src1_sel:DWORD
	v_or_b32_sdwa v20, v20, v21 dst_sel:DWORD dst_unused:UNUSED_PAD src0_sel:WORD_0 src1_sel:DWORD
	v_xor_b32_e32 v19, v19, v20
	v_and_b32_e32 v20, 0xffffff00, v19
	v_sub_i16 v18, v20, v18 clamp
	v_lshlrev_b16_e32 v20, 8, v19
	v_lshlrev_b16_e32 v14, 8, v14
	v_sub_i16 v14, v20, v14 clamp
	v_perm_b32 v14, v14, v18, s24
	v_and_b32_sdwa v18, v19, s23 dst_sel:DWORD dst_unused:UNUSED_PAD src0_sel:WORD_1 src1_sel:DWORD
	v_sub_i16 v8, v18, v8 clamp
	v_lshlrev_b16_sdwa v18, v38, v19 dst_sel:DWORD dst_unused:UNUSED_PAD src0_sel:DWORD src1_sel:WORD_1
	v_lshlrev_b16_e32 v9, 8, v9
	v_sub_i16 v9, v18, v9 clamp
	v_perm_b32 v8, v9, v8, s24
	v_lshrrev_b32_e32 v9, 25, v15
	v_bcnt_u32_b32 v9, v9, 0
	v_and_b32_e32 v9, 1, v9
	v_alignbit_b32 v9, v9, v15, 25
	v_mul_lo_u32 v9, v9, s21
	v_lshl_or_b32 v8, v8, 16, v14
	v_dot4_i32_i8 v3, v7, v3, 0
	v_dot4_i32_i8 v3, v8, v4, v3
	v_and_b32_e32 v4, 0x8040201, v9
	v_cmp_ne_u16_sdwa s[12:13], v4, v36 src0_sel:BYTE_1 src1_sel:DWORD
	v_cndmask_b32_e64 v14, 0, -1, s[12:13]
	v_cmp_ne_u16_sdwa s[12:13], v4, v36 src0_sel:BYTE_3 src1_sel:DWORD
	v_lshrrev_b32_e32 v7, 18, v9
	v_cndmask_b32_e64 v4, 0, -1, s[12:13]
	v_bfe_i32 v8, v9, 0, 1
	v_lshlrev_b16_e32 v14, 8, v14
	v_bfe_i32 v7, v7, 0, 1
	v_lshlrev_b16_e32 v4, 8, v4
	v_or_b32_sdwa v15, v8, v14 dst_sel:DWORD dst_unused:UNUSED_PAD src0_sel:BYTE_0 src1_sel:DWORD
	v_or_b32_sdwa v18, v7, v4 dst_sel:WORD_1 dst_unused:UNUSED_PAD src0_sel:BYTE_0 src1_sel:DWORD
	v_or_b32_sdwa v15, v15, v18 dst_sel:DWORD dst_unused:UNUSED_PAD src0_sel:WORD_0 src1_sel:DWORD
	v_xor_b32_e32 v15, v16, v15
	v_and_b32_e32 v16, 0xffffff00, v15
	v_sub_i16 v14, v16, v14 clamp
	v_lshlrev_b16_e32 v16, 8, v15
	v_lshlrev_b16_e32 v8, 8, v8
	v_sub_i16 v8, v16, v8 clamp
	v_perm_b32 v8, v8, v14, s24
	v_and_b32_sdwa v14, v15, s23 dst_sel:DWORD dst_unused:UNUSED_PAD src0_sel:WORD_1 src1_sel:DWORD
	v_sub_i16 v4, v14, v4 clamp
	v_lshlrev_b16_sdwa v14, v38, v15 dst_sel:DWORD dst_unused:UNUSED_PAD src0_sel:DWORD src1_sel:WORD_1
	v_lshlrev_b16_e32 v7, 8, v7
	v_sub_i16 v7, v14, v7 clamp
	v_perm_b32 v4, v7, v4, s24
	v_and_b32_e32 v7, 0x80402010, v9
	v_cmp_ne_u16_sdwa s[12:13], v7, v36 src0_sel:BYTE_1 src1_sel:DWORD
	v_cndmask_b32_e64 v14, 0, -1, s[12:13]
	v_cmp_ne_u16_sdwa s[12:13], v7, v36 src0_sel:BYTE_3 src1_sel:DWORD
	v_lshl_or_b32 v4, v4, 16, v8
	v_lshrrev_b32_e32 v8, 22, v9
	v_lshrrev_b16_e32 v9, 4, v7
	v_cndmask_b32_e64 v7, 0, -1, s[12:13]
	v_bfe_i32 v9, v9, 0, 1
	v_lshlrev_b16_e32 v14, 8, v14
	v_bfe_i32 v8, v8, 0, 1
	v_lshlrev_b16_e32 v7, 8, v7
	v_or_b32_sdwa v15, v9, v14 dst_sel:DWORD dst_unused:UNUSED_PAD src0_sel:BYTE_0 src1_sel:DWORD
	v_or_b32_sdwa v16, v8, v7 dst_sel:WORD_1 dst_unused:UNUSED_PAD src0_sel:BYTE_0 src1_sel:DWORD
	v_or_b32_sdwa v15, v15, v16 dst_sel:DWORD dst_unused:UNUSED_PAD src0_sel:WORD_0 src1_sel:DWORD
	v_xor_b32_e32 v15, v17, v15
	v_and_b32_e32 v16, 0xffffff00, v15
	v_sub_i16 v14, v16, v14 clamp
	v_lshlrev_b16_e32 v16, 8, v15
	v_lshlrev_b16_e32 v9, 8, v9
	v_sub_i16 v9, v16, v9 clamp
	v_perm_b32 v9, v9, v14, s24
	v_and_b32_sdwa v14, v15, s23 dst_sel:DWORD dst_unused:UNUSED_PAD src0_sel:WORD_1 src1_sel:DWORD
	v_sub_i16 v7, v14, v7 clamp
	v_lshlrev_b16_sdwa v14, v38, v15 dst_sel:DWORD dst_unused:UNUSED_PAD src0_sel:DWORD src1_sel:WORD_1
	v_lshlrev_b16_e32 v8, 8, v8
	v_sub_i16 v8, v14, v8 clamp
	v_perm_b32 v7, v8, v7, s24
	v_lshl_or_b32 v7, v7, 16, v9
	v_dot4_i32_i8 v3, v4, v5, v3
	v_dot4_i32_i8 v3, v7, v39, v3
	v_bfe_u32 v4, v41, 4, 4
	v_and_b32_e32 v5, 15, v41
	v_mul_lo_u32 v5, v2, v5
	v_mul_lo_u32 v4, v3, v4
	v_add_u32_e32 v2, v3, v2
	v_lshrrev_b32_e32 v3, 31, v2
	v_add_u32_e32 v2, v2, v3
	v_ashrrev_i32_e32 v2, 1, v2
	v_add3_u32 v2, v4, v5, v2
	v_ashrrev_i32_e32 v3, 31, v2
	v_lshrrev_b32_e32 v3, 30, v3
	v_add_u32_e32 v2, v2, v3
	v_ashrrev_i32_e32 v2, 2, v2
	v_cvt_f32_f16_e32 v3, v40
	v_cvt_f32_i32_e32 v2, v2
	v_cmp_le_u32_e64 s[12:13], s7, v34
	s_or_b64 s[14:15], s[12:13], s[14:15]
	v_mul_f32_e32 v3, v3, v6
	v_fmac_f32_e32 v33, v3, v2
	v_addc_co_u32_e32 v11, vcc, 0, v11, vcc
	s_andn2_b64 exec, exec, s[14:15]
	s_cbranch_execz .LBB171_16
.LBB171_14:                             ; =>This Inner Loop Header: Depth=1
	v_add_u32_e32 v24, s9, v34
	v_mad_i64_i32 v[2:3], s[12:13], v24, s20, v[12:13]
	s_getpc_b64 s[12:13]
	s_add_u32 s12, s12, _ZL10iq2xs_grid@rel32@lo+4
	s_addc_u32 s13, s13, _ZL10iq2xs_grid@rel32@hi+12
	v_add_co_u32_e32 v4, vcc, v2, v37
	v_addc_co_u32_e32 v5, vcc, 0, v3, vcc
	global_load_dwordx2 v[14:15], v[4:5], off offset:2
	v_add_co_u32_e32 v4, vcc, v2, v35
	v_addc_co_u32_e32 v5, vcc, 0, v3, vcc
	global_load_dword v39, v[10:11], off
	global_load_dwordx4 v[6:9], v[10:11], off offset:-32
	global_load_ubyte v41, v[4:5], off offset:66
	global_load_ushort v40, v[2:3], off
	s_and_b64 vcc, exec, s[10:11]
	s_waitcnt vmcnt(4)
	v_and_b32_e32 v2, 0x1ff, v14
	v_lshrrev_b32_e32 v3, 13, v14
	v_and_b32_e32 v4, 0x1ff, v15
	v_lshrrev_b32_e32 v5, 13, v15
	v_lshlrev_b32_e32 v25, 3, v2
	v_and_b32_e32 v26, 0xff8, v3
	v_lshlrev_b32_e32 v27, 3, v4
	v_and_b32_e32 v42, 0xff8, v5
	global_load_dwordx2 v[22:23], v25, s[12:13]
	global_load_dwordx2 v[20:21], v26, s[12:13]
	;; [unrolled: 1-line block ×4, first 2 shown]
	global_load_dwordx4 v[2:5], v[10:11], off offset:-16
	s_waitcnt vmcnt(7)
	v_cvt_f32_f16_e32 v6, v6
	s_cbranch_vccnz .LBB171_13
; %bb.15:                               ;   in Loop: Header=BB171_14 Depth=1
	v_mov_b32_e32 v25, s28
	v_mov_b32_e32 v26, s29
	v_mad_i64_i32 v[24:25], s[30:31], v24, s20, v[25:26]
	v_add_co_u32_e32 v43, vcc, v24, v35
	v_addc_co_u32_e32 v44, vcc, 0, v25, vcc
	v_add_co_u32_e32 v45, vcc, v24, v37
	v_addc_co_u32_e32 v46, vcc, 0, v25, vcc
	global_load_dwordx2 v[26:27], v[45:46], off offset:2
	global_load_ubyte v42, v[43:44], off offset:66
	s_waitcnt vmcnt(1)
	v_and_b32_e32 v43, 0x1ff, v26
	v_lshlrev_b32_e32 v43, 3, v43
	global_load_dwordx2 v[43:44], v43, s[12:13]
	v_bfe_u32 v45, v26, 9, 7
	v_bcnt_u32_b32 v46, v45, 0
	v_and_b32_e32 v46, 1, v46
	v_lshl_or_b32 v45, v46, 7, v45
	v_mul_lo_u32 v45, v45, s21
	global_load_ushort v24, v[24:25], off
	v_and_b32_e32 v46, 0x8040201, v45
	v_cmp_ne_u16_sdwa s[30:31], v46, v36 src0_sel:BYTE_3 src1_sel:DWORD
	v_cmp_ne_u16_sdwa s[36:37], v46, v36 src0_sel:BYTE_1 src1_sel:DWORD
	v_lshrrev_b32_e32 v47, 18, v45
	v_cndmask_b32_e64 v48, 0, -1, s[36:37]
	v_cndmask_b32_e64 v50, 0, -1, s[30:31]
	v_bfe_i32 v46, v45, 0, 1
	v_lshlrev_b16_e32 v48, 8, v48
	v_bfe_i32 v47, v47, 0, 1
	v_lshlrev_b16_e32 v50, 8, v50
	v_or_b32_sdwa v49, v46, v48 dst_sel:DWORD dst_unused:UNUSED_PAD src0_sel:BYTE_0 src1_sel:DWORD
	v_or_b32_sdwa v51, v47, v50 dst_sel:WORD_1 dst_unused:UNUSED_PAD src0_sel:BYTE_0 src1_sel:DWORD
	v_or_b32_sdwa v49, v49, v51 dst_sel:DWORD dst_unused:UNUSED_PAD src0_sel:WORD_0 src1_sel:DWORD
	v_lshlrev_b16_e32 v46, 8, v46
	v_lshlrev_b16_e32 v47, 8, v47
	s_waitcnt vmcnt(1)
	v_xor_b32_e32 v43, v43, v49
	v_and_b32_e32 v49, 0xffffff00, v43
	v_sub_i16 v48, v49, v48 clamp
	v_lshlrev_b16_e32 v49, 8, v43
	v_sub_i16 v46, v49, v46 clamp
	v_perm_b32 v46, v46, v48, s24
	v_and_b32_sdwa v48, v43, s23 dst_sel:DWORD dst_unused:UNUSED_PAD src0_sel:WORD_1 src1_sel:DWORD
	v_lshlrev_b16_sdwa v43, v38, v43 dst_sel:DWORD dst_unused:UNUSED_PAD src0_sel:DWORD src1_sel:WORD_1
	v_sub_i16 v48, v48, v50 clamp
	v_sub_i16 v43, v43, v47 clamp
	v_perm_b32 v43, v43, v48, s24
	v_lshl_or_b32 v43, v43, 16, v46
	v_and_b32_e32 v46, 0x80402010, v45
	v_cmp_ne_u16_sdwa s[30:31], v46, v36 src0_sel:BYTE_3 src1_sel:DWORD
	v_cmp_ne_u16_sdwa s[36:37], v46, v36 src0_sel:BYTE_1 src1_sel:DWORD
	v_lshrrev_b32_e32 v45, 22, v45
	v_lshrrev_b16_e32 v46, 4, v46
	v_cndmask_b32_e64 v47, 0, -1, s[36:37]
	v_cndmask_b32_e64 v49, 0, -1, s[30:31]
	v_bfe_i32 v46, v46, 0, 1
	v_lshlrev_b16_e32 v47, 8, v47
	v_bfe_i32 v45, v45, 0, 1
	v_lshlrev_b16_e32 v49, 8, v49
	v_or_b32_sdwa v48, v46, v47 dst_sel:DWORD dst_unused:UNUSED_PAD src0_sel:BYTE_0 src1_sel:DWORD
	v_or_b32_sdwa v50, v45, v49 dst_sel:WORD_1 dst_unused:UNUSED_PAD src0_sel:BYTE_0 src1_sel:DWORD
	v_or_b32_sdwa v48, v48, v50 dst_sel:DWORD dst_unused:UNUSED_PAD src0_sel:WORD_0 src1_sel:DWORD
	v_xor_b32_e32 v44, v44, v48
	v_and_b32_e32 v48, 0xffffff00, v44
	v_sub_i16 v47, v48, v47 clamp
	v_lshlrev_b16_e32 v48, 8, v44
	v_lshlrev_b16_e32 v46, 8, v46
	v_sub_i16 v46, v48, v46 clamp
	v_perm_b32 v46, v46, v47, s24
	v_and_b32_sdwa v47, v44, s23 dst_sel:DWORD dst_unused:UNUSED_PAD src0_sel:WORD_1 src1_sel:DWORD
	v_lshlrev_b16_sdwa v44, v38, v44 dst_sel:DWORD dst_unused:UNUSED_PAD src0_sel:DWORD src1_sel:WORD_1
	v_lshlrev_b16_e32 v45, 8, v45
	v_sub_i16 v47, v47, v49 clamp
	v_sub_i16 v44, v44, v45 clamp
	v_perm_b32 v44, v44, v47, s24
	v_lshl_or_b32 v44, v44, 16, v46
	v_dot4_i32_i8 v43, v43, v7, 0
	v_dot4_i32_i8 v45, v44, v8, v43
	v_lshrrev_b32_e32 v43, 13, v26
	v_and_b32_e32 v43, 0xff8, v43
	global_load_dwordx2 v[43:44], v43, s[12:13]
	v_lshrrev_b32_e32 v46, 25, v26
	v_bcnt_u32_b32 v46, v46, 0
	v_and_b32_e32 v46, 1, v46
	v_alignbit_b32 v26, v46, v26, 25
	v_mul_lo_u32 v26, v26, s21
	s_waitcnt vmcnt(1)
	v_cvt_f32_f16_e32 v24, v24
	v_and_b32_e32 v46, 0x8040201, v26
	v_cmp_ne_u16_sdwa s[30:31], v46, v36 src0_sel:BYTE_3 src1_sel:DWORD
	v_cmp_ne_u16_sdwa s[36:37], v46, v36 src0_sel:BYTE_1 src1_sel:DWORD
	v_lshrrev_b32_e32 v47, 18, v26
	v_cndmask_b32_e64 v48, 0, -1, s[36:37]
	v_cndmask_b32_e64 v50, 0, -1, s[30:31]
	v_bfe_i32 v46, v26, 0, 1
	v_lshlrev_b16_e32 v48, 8, v48
	v_bfe_i32 v47, v47, 0, 1
	v_lshlrev_b16_e32 v50, 8, v50
	v_or_b32_sdwa v49, v46, v48 dst_sel:DWORD dst_unused:UNUSED_PAD src0_sel:BYTE_0 src1_sel:DWORD
	v_or_b32_sdwa v51, v47, v50 dst_sel:WORD_1 dst_unused:UNUSED_PAD src0_sel:BYTE_0 src1_sel:DWORD
	v_or_b32_sdwa v49, v49, v51 dst_sel:DWORD dst_unused:UNUSED_PAD src0_sel:WORD_0 src1_sel:DWORD
	v_lshlrev_b16_e32 v46, 8, v46
	v_lshlrev_b16_e32 v47, 8, v47
	v_mul_f32_e32 v24, v6, v24
	s_waitcnt vmcnt(0)
	v_xor_b32_e32 v43, v43, v49
	v_and_b32_e32 v49, 0xffffff00, v43
	v_sub_i16 v48, v49, v48 clamp
	v_lshlrev_b16_e32 v49, 8, v43
	v_sub_i16 v46, v49, v46 clamp
	v_perm_b32 v46, v46, v48, s24
	v_and_b32_sdwa v48, v43, s23 dst_sel:DWORD dst_unused:UNUSED_PAD src0_sel:WORD_1 src1_sel:DWORD
	v_lshlrev_b16_sdwa v43, v38, v43 dst_sel:DWORD dst_unused:UNUSED_PAD src0_sel:DWORD src1_sel:WORD_1
	v_sub_i16 v48, v48, v50 clamp
	v_sub_i16 v43, v43, v47 clamp
	v_perm_b32 v43, v43, v48, s24
	v_lshl_or_b32 v43, v43, 16, v46
	v_and_b32_e32 v46, 0x80402010, v26
	v_cmp_ne_u16_sdwa s[30:31], v46, v36 src0_sel:BYTE_3 src1_sel:DWORD
	v_cmp_ne_u16_sdwa s[36:37], v46, v36 src0_sel:BYTE_1 src1_sel:DWORD
	v_lshrrev_b32_e32 v26, 22, v26
	v_lshrrev_b16_e32 v46, 4, v46
	v_cndmask_b32_e64 v47, 0, -1, s[36:37]
	v_cndmask_b32_e64 v49, 0, -1, s[30:31]
	v_bfe_i32 v46, v46, 0, 1
	v_lshlrev_b16_e32 v47, 8, v47
	v_bfe_i32 v26, v26, 0, 1
	v_lshlrev_b16_e32 v49, 8, v49
	v_or_b32_sdwa v48, v46, v47 dst_sel:DWORD dst_unused:UNUSED_PAD src0_sel:BYTE_0 src1_sel:DWORD
	v_or_b32_sdwa v50, v26, v49 dst_sel:WORD_1 dst_unused:UNUSED_PAD src0_sel:BYTE_0 src1_sel:DWORD
	v_or_b32_sdwa v48, v48, v50 dst_sel:DWORD dst_unused:UNUSED_PAD src0_sel:WORD_0 src1_sel:DWORD
	v_xor_b32_e32 v44, v44, v48
	v_and_b32_e32 v48, 0xffffff00, v44
	v_sub_i16 v47, v48, v47 clamp
	v_lshlrev_b16_e32 v48, 8, v44
	v_lshlrev_b16_e32 v46, 8, v46
	v_sub_i16 v46, v48, v46 clamp
	v_perm_b32 v46, v46, v47, s24
	v_and_b32_sdwa v47, v44, s23 dst_sel:DWORD dst_unused:UNUSED_PAD src0_sel:WORD_1 src1_sel:DWORD
	v_lshlrev_b16_sdwa v44, v38, v44 dst_sel:DWORD dst_unused:UNUSED_PAD src0_sel:DWORD src1_sel:WORD_1
	v_lshlrev_b16_e32 v26, 8, v26
	v_sub_i16 v47, v47, v49 clamp
	v_sub_i16 v26, v44, v26 clamp
	v_perm_b32 v26, v26, v47, s24
	v_lshl_or_b32 v26, v26, 16, v46
	v_dot4_i32_i8 v43, v43, v9, v45
	v_dot4_i32_i8 v26, v26, v2, v43
	v_and_b32_e32 v43, 0x1ff, v27
	v_lshlrev_b32_e32 v43, 3, v43
	global_load_dwordx2 v[43:44], v43, s[12:13]
	v_bfe_u32 v45, v27, 9, 7
	v_bcnt_u32_b32 v46, v45, 0
	v_and_b32_e32 v46, 1, v46
	v_lshl_or_b32 v45, v46, 7, v45
	v_mul_lo_u32 v45, v45, s21
	v_and_b32_e32 v46, 0x8040201, v45
	v_cmp_ne_u16_sdwa s[30:31], v46, v36 src0_sel:BYTE_3 src1_sel:DWORD
	v_cmp_ne_u16_sdwa s[36:37], v46, v36 src0_sel:BYTE_1 src1_sel:DWORD
	v_lshrrev_b32_e32 v47, 18, v45
	v_cndmask_b32_e64 v48, 0, -1, s[36:37]
	v_cndmask_b32_e64 v50, 0, -1, s[30:31]
	v_bfe_i32 v46, v45, 0, 1
	v_lshlrev_b16_e32 v48, 8, v48
	v_bfe_i32 v47, v47, 0, 1
	v_lshlrev_b16_e32 v50, 8, v50
	v_or_b32_sdwa v49, v46, v48 dst_sel:DWORD dst_unused:UNUSED_PAD src0_sel:BYTE_0 src1_sel:DWORD
	v_or_b32_sdwa v51, v47, v50 dst_sel:WORD_1 dst_unused:UNUSED_PAD src0_sel:BYTE_0 src1_sel:DWORD
	v_or_b32_sdwa v49, v49, v51 dst_sel:DWORD dst_unused:UNUSED_PAD src0_sel:WORD_0 src1_sel:DWORD
	v_lshlrev_b16_e32 v46, 8, v46
	v_lshlrev_b16_e32 v47, 8, v47
	s_waitcnt vmcnt(0)
	v_xor_b32_e32 v43, v43, v49
	v_and_b32_e32 v49, 0xffffff00, v43
	v_sub_i16 v48, v49, v48 clamp
	v_lshlrev_b16_e32 v49, 8, v43
	v_sub_i16 v46, v49, v46 clamp
	v_perm_b32 v46, v46, v48, s24
	v_and_b32_sdwa v48, v43, s23 dst_sel:DWORD dst_unused:UNUSED_PAD src0_sel:WORD_1 src1_sel:DWORD
	v_lshlrev_b16_sdwa v43, v38, v43 dst_sel:DWORD dst_unused:UNUSED_PAD src0_sel:DWORD src1_sel:WORD_1
	v_sub_i16 v48, v48, v50 clamp
	v_sub_i16 v43, v43, v47 clamp
	v_perm_b32 v43, v43, v48, s24
	v_lshl_or_b32 v43, v43, 16, v46
	v_and_b32_e32 v46, 0x80402010, v45
	v_cmp_ne_u16_sdwa s[30:31], v46, v36 src0_sel:BYTE_3 src1_sel:DWORD
	v_cmp_ne_u16_sdwa s[36:37], v46, v36 src0_sel:BYTE_1 src1_sel:DWORD
	v_lshrrev_b32_e32 v45, 22, v45
	v_lshrrev_b16_e32 v46, 4, v46
	v_cndmask_b32_e64 v47, 0, -1, s[36:37]
	v_cndmask_b32_e64 v49, 0, -1, s[30:31]
	v_bfe_i32 v46, v46, 0, 1
	v_lshlrev_b16_e32 v47, 8, v47
	v_bfe_i32 v45, v45, 0, 1
	v_lshlrev_b16_e32 v49, 8, v49
	v_or_b32_sdwa v48, v46, v47 dst_sel:DWORD dst_unused:UNUSED_PAD src0_sel:BYTE_0 src1_sel:DWORD
	v_or_b32_sdwa v50, v45, v49 dst_sel:WORD_1 dst_unused:UNUSED_PAD src0_sel:BYTE_0 src1_sel:DWORD
	v_or_b32_sdwa v48, v48, v50 dst_sel:DWORD dst_unused:UNUSED_PAD src0_sel:WORD_0 src1_sel:DWORD
	v_xor_b32_e32 v44, v44, v48
	v_and_b32_e32 v48, 0xffffff00, v44
	v_sub_i16 v47, v48, v47 clamp
	v_lshlrev_b16_e32 v48, 8, v44
	v_lshlrev_b16_e32 v46, 8, v46
	v_sub_i16 v46, v48, v46 clamp
	v_perm_b32 v46, v46, v47, s24
	v_and_b32_sdwa v47, v44, s23 dst_sel:DWORD dst_unused:UNUSED_PAD src0_sel:WORD_1 src1_sel:DWORD
	v_lshlrev_b16_sdwa v44, v38, v44 dst_sel:DWORD dst_unused:UNUSED_PAD src0_sel:DWORD src1_sel:WORD_1
	v_lshlrev_b16_e32 v45, 8, v45
	v_sub_i16 v47, v47, v49 clamp
	v_sub_i16 v44, v44, v45 clamp
	v_perm_b32 v44, v44, v47, s24
	v_lshl_or_b32 v44, v44, 16, v46
	v_dot4_i32_i8 v43, v43, v3, 0
	v_dot4_i32_i8 v45, v44, v4, v43
	v_lshrrev_b32_e32 v43, 13, v27
	v_and_b32_e32 v43, 0xff8, v43
	global_load_dwordx2 v[43:44], v43, s[12:13]
	v_lshrrev_b32_e32 v46, 25, v27
	v_bcnt_u32_b32 v46, v46, 0
	v_and_b32_e32 v46, 1, v46
	v_alignbit_b32 v27, v46, v27, 25
	v_mul_lo_u32 v27, v27, s21
	v_and_b32_e32 v46, 0x8040201, v27
	v_cmp_ne_u16_sdwa s[12:13], v46, v36 src0_sel:BYTE_3 src1_sel:DWORD
	v_cmp_ne_u16_sdwa s[30:31], v46, v36 src0_sel:BYTE_1 src1_sel:DWORD
	v_lshrrev_b32_e32 v47, 18, v27
	v_cndmask_b32_e64 v48, 0, -1, s[30:31]
	v_cndmask_b32_e64 v50, 0, -1, s[12:13]
	v_bfe_i32 v46, v27, 0, 1
	v_lshlrev_b16_e32 v48, 8, v48
	v_bfe_i32 v47, v47, 0, 1
	v_lshlrev_b16_e32 v50, 8, v50
	v_or_b32_sdwa v49, v46, v48 dst_sel:DWORD dst_unused:UNUSED_PAD src0_sel:BYTE_0 src1_sel:DWORD
	v_or_b32_sdwa v51, v47, v50 dst_sel:WORD_1 dst_unused:UNUSED_PAD src0_sel:BYTE_0 src1_sel:DWORD
	v_or_b32_sdwa v49, v49, v51 dst_sel:DWORD dst_unused:UNUSED_PAD src0_sel:WORD_0 src1_sel:DWORD
	v_lshlrev_b16_e32 v46, 8, v46
	v_lshlrev_b16_e32 v47, 8, v47
	s_waitcnt vmcnt(0)
	v_xor_b32_e32 v43, v43, v49
	v_and_b32_e32 v49, 0xffffff00, v43
	v_sub_i16 v48, v49, v48 clamp
	v_lshlrev_b16_e32 v49, 8, v43
	v_sub_i16 v46, v49, v46 clamp
	v_perm_b32 v46, v46, v48, s24
	v_and_b32_sdwa v48, v43, s23 dst_sel:DWORD dst_unused:UNUSED_PAD src0_sel:WORD_1 src1_sel:DWORD
	v_lshlrev_b16_sdwa v43, v38, v43 dst_sel:DWORD dst_unused:UNUSED_PAD src0_sel:DWORD src1_sel:WORD_1
	v_sub_i16 v48, v48, v50 clamp
	v_sub_i16 v43, v43, v47 clamp
	v_perm_b32 v43, v43, v48, s24
	v_lshl_or_b32 v43, v43, 16, v46
	v_and_b32_e32 v46, 0x80402010, v27
	v_cmp_ne_u16_sdwa s[12:13], v46, v36 src0_sel:BYTE_3 src1_sel:DWORD
	v_cmp_ne_u16_sdwa s[30:31], v46, v36 src0_sel:BYTE_1 src1_sel:DWORD
	v_lshrrev_b32_e32 v27, 22, v27
	v_lshrrev_b16_e32 v46, 4, v46
	v_cndmask_b32_e64 v47, 0, -1, s[30:31]
	v_cndmask_b32_e64 v49, 0, -1, s[12:13]
	v_bfe_i32 v46, v46, 0, 1
	v_lshlrev_b16_e32 v47, 8, v47
	v_bfe_i32 v27, v27, 0, 1
	v_lshlrev_b16_e32 v49, 8, v49
	v_or_b32_sdwa v48, v46, v47 dst_sel:DWORD dst_unused:UNUSED_PAD src0_sel:BYTE_0 src1_sel:DWORD
	v_or_b32_sdwa v50, v27, v49 dst_sel:WORD_1 dst_unused:UNUSED_PAD src0_sel:BYTE_0 src1_sel:DWORD
	v_or_b32_sdwa v48, v48, v50 dst_sel:DWORD dst_unused:UNUSED_PAD src0_sel:WORD_0 src1_sel:DWORD
	v_xor_b32_e32 v44, v44, v48
	v_and_b32_e32 v48, 0xffffff00, v44
	v_sub_i16 v47, v48, v47 clamp
	v_lshlrev_b16_e32 v48, 8, v44
	v_lshlrev_b16_e32 v46, 8, v46
	v_sub_i16 v46, v48, v46 clamp
	v_perm_b32 v46, v46, v47, s24
	v_and_b32_sdwa v47, v44, s23 dst_sel:DWORD dst_unused:UNUSED_PAD src0_sel:WORD_1 src1_sel:DWORD
	v_lshlrev_b16_sdwa v44, v38, v44 dst_sel:DWORD dst_unused:UNUSED_PAD src0_sel:DWORD src1_sel:WORD_1
	v_lshlrev_b16_e32 v27, 8, v27
	v_sub_i16 v47, v47, v49 clamp
	v_sub_i16 v27, v44, v27 clamp
	v_perm_b32 v27, v27, v47, s24
	v_lshl_or_b32 v27, v27, 16, v46
	v_dot4_i32_i8 v43, v43, v5, v45
	v_dot4_i32_i8 v27, v27, v39, v43
	v_lshrrev_b32_e32 v43, 4, v42
	v_and_b32_e32 v42, 15, v42
	v_mul_lo_u32 v42, v26, v42
	v_mul_lo_u32 v43, v27, v43
	v_add_u32_e32 v26, v27, v26
	v_lshrrev_b32_e32 v27, 31, v26
	v_add_u32_e32 v26, v26, v27
	v_ashrrev_i32_e32 v26, 1, v26
	v_add3_u32 v26, v43, v42, v26
	v_ashrrev_i32_e32 v27, 31, v26
	v_lshrrev_b32_e32 v27, 30, v27
	v_add_u32_e32 v26, v26, v27
	v_ashrrev_i32_e32 v26, 2, v26
	v_cvt_f32_i32_e32 v25, v26
	v_fmac_f32_e32 v31, v24, v25
	s_branch .LBB171_13
.LBB171_16:
	s_or_b64 exec, exec, s[14:15]
.LBB171_17:
	s_or_b64 exec, exec, s[18:19]
	s_load_dword s7, s[4:5], 0x30
	v_cmp_eq_u32_e64 s[10:11], 0, v1
	v_cmp_ne_u32_e32 vcc, 0, v1
	s_and_saveexec_b64 s[12:13], vcc
	s_cbranch_execz .LBB171_21
; %bb.18:
	s_and_b64 vcc, exec, s[16:17]
	s_cbranch_vccz .LBB171_20
; %bb.19:
	v_lshl_add_u32 v2, v1, 8, v28
	ds_write_b32 v2, v31
.LBB171_20:
	v_lshlrev_b32_e32 v1, 8, v1
	s_waitcnt lgkmcnt(0)
	s_movk_i32 s9, 0xff00
	v_add3_u32 v1, v1, v28, s9
	ds_write_b32 v1, v33
.LBB171_21:
	s_or_b64 exec, exec, s[12:13]
	s_waitcnt vmcnt(0) lgkmcnt(0)
	s_barrier
	s_and_saveexec_b64 s[12:13], s[10:11]
	s_cbranch_execz .LBB171_50
; %bb.22:
	ds_read_b32 v2, v28
	v_cmp_ne_u32_e64 s[10:11], 1, v32
	s_and_b64 vcc, exec, s[10:11]
	s_cbranch_vccnz .LBB171_24
; %bb.23:
	ds_read_b32 v1, v28 offset:256
	s_waitcnt lgkmcnt(0)
	v_add_f32_e32 v31, v31, v1
.LBB171_24:
	v_mbcnt_lo_u32_b32 v1, -1, 0
	v_mbcnt_hi_u32_b32 v3, -1, v1
	v_and_b32_e32 v1, 64, v3
	v_add_u32_e32 v4, 64, v1
	v_xor_b32_e32 v1, 32, v3
	v_cmp_lt_i32_e32 vcc, v1, v4
	v_cndmask_b32_e32 v1, v3, v1, vcc
	v_lshlrev_b32_e32 v1, 2, v1
	s_waitcnt lgkmcnt(0)
	v_add_f32_e32 v5, v33, v2
	ds_bpermute_b32 v6, v1, v5
	v_xor_b32_e32 v2, 16, v3
	v_cmp_lt_i32_e32 vcc, v2, v4
	v_cndmask_b32_e32 v2, v3, v2, vcc
	v_lshlrev_b32_e32 v2, 2, v2
	s_waitcnt lgkmcnt(0)
	v_add_f32_e32 v6, v5, v6
	ds_bpermute_b32 v7, v2, v6
	;; [unrolled: 7-line block ×6, first 2 shown]
	s_and_b64 vcc, exec, s[10:11]
	s_cbranch_vccnz .LBB171_26
; %bb.25:
	ds_bpermute_b32 v1, v1, v31
	s_waitcnt lgkmcnt(0)
	v_add_f32_e32 v1, v31, v1
	ds_bpermute_b32 v2, v2, v1
	s_waitcnt lgkmcnt(0)
	v_add_f32_e32 v1, v1, v2
	;; [unrolled: 3-line block ×6, first 2 shown]
.LBB171_26:
	v_cmp_eq_u32_e32 vcc, 0, v0
	s_and_b64 exec, exec, vcc
	s_cbranch_execz .LBB171_50
; %bb.27:
	s_waitcnt lgkmcnt(0)
	v_add_f32_e32 v0, v3, v4
	v_add_f32_e32 v1, v30, v0
	s_and_b64 vcc, exec, s[10:11]
	v_cndmask_b32_e64 v0, v0, v1, s[0:1]
	s_cbranch_vccnz .LBB171_49
; %bb.28:
	v_add_f32_e32 v1, v29, v31
	v_cndmask_b32_e64 v1, v31, v1, s[2:3]
	s_cmp_lt_i32 s7, 2
	s_mov_b64 s[0:1], 0
	s_cbranch_scc1 .LBB171_32
; %bb.29:
	s_cmp_gt_i32 s7, 2
	s_cbranch_scc0 .LBB171_33
; %bb.30:
	s_cmp_eq_u32 s7, 3
	s_cbranch_scc0 .LBB171_34
; %bb.31:
	v_max_f32_e32 v2, v1, v1
	v_min_f32_e32 v2, 0x40e00000, v2
	v_mul_f32_e32 v3, 0xbfd9db23, v2
	s_mov_b32 s2, 0x3fb8aa3b
	v_mul_f32_e32 v4, 0x3fb8aa3b, v3
	v_fma_f32 v5, v3, s2, -v4
	v_rndne_f32_e32 v6, v4
	v_fmac_f32_e32 v5, 0x32a5705f, v3
	v_sub_f32_e32 v4, v4, v6
	v_add_f32_e32 v4, v4, v5
	v_exp_f32_e32 v4, v4
	v_cvt_i32_f32_e32 v5, v6
	s_mov_b32 s2, 0xc2ce8ed0
	v_cmp_ngt_f32_e32 vcc, s2, v3
	s_mov_b32 s2, 0x42b17218
	v_ldexp_f32 v4, v4, v5
	v_cndmask_b32_e32 v4, 0, v4, vcc
	v_mov_b32_e32 v5, 0x7f800000
	v_cmp_nlt_f32_e32 vcc, s2, v3
	v_cndmask_b32_e32 v3, v5, v4, vcc
	v_add_f32_e32 v3, 1.0, v3
	v_div_scale_f32 v4, s[2:3], v3, v3, v2
	v_div_scale_f32 v5, vcc, v2, v3, v2
	s_mov_b64 s[2:3], 0
	v_rcp_f32_e32 v6, v4
	v_fma_f32 v7, -v4, v6, 1.0
	v_fmac_f32_e32 v6, v7, v6
	v_mul_f32_e32 v7, v5, v6
	v_fma_f32 v8, -v4, v7, v5
	v_fmac_f32_e32 v7, v8, v6
	v_fma_f32 v4, -v4, v7, v5
	v_div_fmas_f32 v4, v4, v6, v7
	v_max_f32_e32 v5, v0, v0
	v_min_f32_e32 v5, 0x40e00000, v5
	v_max_f32_e32 v5, 0xc0e00000, v5
	v_add_f32_e32 v5, 1.0, v5
	v_div_fixup_f32 v2, v4, v3, v2
	v_mul_f32_e32 v2, v5, v2
	s_branch .LBB171_35
.LBB171_32:
                                        ; implicit-def: $vgpr2
	s_mov_b64 s[2:3], 0
	s_cbranch_execnz .LBB171_39
	s_branch .LBB171_40
.LBB171_33:
	s_mov_b64 s[10:11], -1
	s_mov_b64 s[2:3], 0
                                        ; implicit-def: $vgpr2
	s_branch .LBB171_36
.LBB171_34:
	s_mov_b64 s[2:3], -1
                                        ; implicit-def: $vgpr2
.LBB171_35:
	s_mov_b64 s[10:11], 0
.LBB171_36:
	s_and_b64 vcc, exec, s[10:11]
	s_cbranch_vccz .LBB171_38
; %bb.37:
	v_mul_f32_e32 v2, 0xbfb8aa3b, v1
	s_mov_b32 s9, 0xbfb8aa3b
	v_rndne_f32_e32 v3, v2
	v_sub_f32_e32 v4, v2, v3
	v_fma_f32 v2, v1, s9, -v2
	v_fmac_f32_e32 v2, 0xb2a5705f, v1
	v_add_f32_e32 v2, v4, v2
	v_exp_f32_e32 v2, v2
	v_cvt_i32_f32_e32 v3, v3
	s_mov_b32 s9, 0x42ce8ed0
	v_cmp_nlt_f32_e32 vcc, s9, v1
	s_mov_b32 s9, 0xc2b17218
	v_ldexp_f32 v2, v2, v3
	v_cndmask_b32_e32 v2, 0, v2, vcc
	v_mov_b32_e32 v3, 0x7f800000
	v_cmp_ngt_f32_e32 vcc, s9, v1
	v_cndmask_b32_e32 v2, v3, v2, vcc
	v_add_f32_e32 v2, 1.0, v2
	v_div_scale_f32 v3, s[10:11], v2, v2, v1
	v_div_scale_f32 v4, vcc, v1, v2, v1
	v_rcp_f32_e32 v5, v3
	v_fma_f32 v6, -v3, v5, 1.0
	v_fmac_f32_e32 v5, v6, v5
	v_mul_f32_e32 v6, v4, v5
	v_fma_f32 v7, -v3, v6, v4
	v_fmac_f32_e32 v6, v7, v5
	v_fma_f32 v3, -v3, v6, v4
	v_div_fmas_f32 v3, v3, v5, v6
	v_div_fixup_f32 v2, v3, v2, v1
	v_mul_f32_e32 v2, v0, v2
.LBB171_38:
	s_branch .LBB171_40
.LBB171_39:
	s_cmp_lg_u32 s7, 1
	s_mov_b64 s[0:1], -1
	s_cselect_b64 s[2:3], -1, 0
.LBB171_40:
	s_andn2_b64 vcc, exec, s[2:3]
	s_cbranch_vccz .LBB171_42
; %bb.41:
	s_andn2_b64 vcc, exec, s[0:1]
	s_cbranch_vccz .LBB171_43
	s_branch .LBB171_48
.LBB171_42:
	v_mul_f32_e32 v2, v1, v0
	s_cbranch_execnz .LBB171_48
.LBB171_43:
	v_mul_f32_e32 v3, 0x3d372713, v1
	v_mul_f32_e32 v2, 0x3f4c422a, v1
	v_fma_f32 v3, v1, v3, 1.0
	v_mul_f32_e32 v2, v2, v3
	s_mov_b32 s0, 0x3f200000
	v_cmp_nlt_f32_e64 s[0:1], |v2|, s0
                                        ; implicit-def: $vgpr3
	s_and_saveexec_b64 s[2:3], s[0:1]
	s_xor_b64 s[0:1], exec, s[2:3]
	s_cbranch_execz .LBB171_45
; %bb.44:
	v_add_f32_e64 v3, |v2|, |v2|
	v_mul_f32_e32 v4, 0x3fb8aa3b, v3
	s_mov_b32 s2, 0x3fb8aa3b
	v_rndne_f32_e32 v5, v4
	v_sub_f32_e32 v6, v4, v5
	v_fma_f32 v4, v3, s2, -v4
	v_fmac_f32_e32 v4, 0x32a5705f, v3
	v_add_f32_e32 v4, v6, v4
	v_exp_f32_e32 v4, v4
	v_cvt_i32_f32_e32 v5, v5
	s_mov_b32 s2, 0xc2ce8ed0
	v_cmp_ngt_f32_e32 vcc, s2, v3
	s_mov_b32 s2, 0x42b17218
	v_ldexp_f32 v4, v4, v5
	v_cndmask_b32_e32 v4, 0, v4, vcc
	v_mov_b32_e32 v5, 0x7f800000
	v_cmp_nlt_f32_e32 vcc, s2, v3
	v_cndmask_b32_e32 v3, v5, v4, vcc
	v_add_f32_e32 v3, 1.0, v3
	v_rcp_f32_e32 v3, v3
	v_fma_f32 v3, v3, -2.0, 1.0
.LBB171_45:
	s_andn2_saveexec_b64 s[0:1], s[0:1]
	s_cbranch_execz .LBB171_47
; %bb.46:
	v_mul_f32_e32 v3, v2, v2
	v_mov_b32_e32 v4, 0x3ca908c9
	v_fmac_f32_e32 v4, 0xbbbac73d, v3
	v_mov_b32_e32 v5, 0xbd5c1c4e
	v_fmac_f32_e32 v5, v3, v4
	;; [unrolled: 2-line block ×4, first 2 shown]
	v_mul_f32_e64 v4, |v2|, v5
	v_fma_f32 v3, v3, v4, |v2|
.LBB171_47:
	s_or_b64 exec, exec, s[0:1]
	s_brev_b32 s0, -2
	v_bfi_b32 v2, s0, v3, v2
	v_mul_f32_e32 v1, 0.5, v1
	v_add_f32_e32 v2, 1.0, v2
	v_mul_f32_e32 v1, v1, v2
	v_mul_f32_e32 v2, v0, v1
.LBB171_48:
	v_mov_b32_e32 v0, v2
.LBB171_49:
	s_load_dwordx2 s[0:1], s[4:5], 0x38
	s_mul_i32 s3, s22, s34
	s_mul_i32 s2, s26, s8
	s_add_i32 s3, s3, s6
	s_add_i32 s2, s3, s2
	s_mov_b32 s3, 0
	s_lshl_b64 s[2:3], s[2:3], 2
	s_waitcnt lgkmcnt(0)
	s_add_u32 s0, s0, s2
	s_addc_u32 s1, s1, s3
	global_store_dword v28, v0, s[0:1]
.LBB171_50:
	s_endpgm
	.section	.rodata,"a",@progbits
	.p2align	6, 0x0
	.amdhsa_kernel _ZL13mul_mat_vec_qIL9ggml_type17ELi1ELb1ELb0EEvPKvS2_PKi31ggml_cuda_mm_fusion_args_devicePfj15HIP_vector_typeIjLj3EEjjjS8_jjjS8_jjjj
		.amdhsa_group_segment_fixed_size 512
		.amdhsa_private_segment_fixed_size 0
		.amdhsa_kernarg_size 144
		.amdhsa_user_sgpr_count 6
		.amdhsa_user_sgpr_private_segment_buffer 1
		.amdhsa_user_sgpr_dispatch_ptr 0
		.amdhsa_user_sgpr_queue_ptr 0
		.amdhsa_user_sgpr_kernarg_segment_ptr 1
		.amdhsa_user_sgpr_dispatch_id 0
		.amdhsa_user_sgpr_flat_scratch_init 0
		.amdhsa_user_sgpr_private_segment_size 0
		.amdhsa_uses_dynamic_stack 0
		.amdhsa_system_sgpr_private_segment_wavefront_offset 0
		.amdhsa_system_sgpr_workgroup_id_x 1
		.amdhsa_system_sgpr_workgroup_id_y 1
		.amdhsa_system_sgpr_workgroup_id_z 1
		.amdhsa_system_sgpr_workgroup_info 0
		.amdhsa_system_vgpr_workitem_id 1
		.amdhsa_next_free_vgpr 52
		.amdhsa_next_free_sgpr 42
		.amdhsa_reserve_vcc 1
		.amdhsa_reserve_flat_scratch 0
		.amdhsa_float_round_mode_32 0
		.amdhsa_float_round_mode_16_64 0
		.amdhsa_float_denorm_mode_32 3
		.amdhsa_float_denorm_mode_16_64 3
		.amdhsa_dx10_clamp 1
		.amdhsa_ieee_mode 1
		.amdhsa_fp16_overflow 0
		.amdhsa_exception_fp_ieee_invalid_op 0
		.amdhsa_exception_fp_denorm_src 0
		.amdhsa_exception_fp_ieee_div_zero 0
		.amdhsa_exception_fp_ieee_overflow 0
		.amdhsa_exception_fp_ieee_underflow 0
		.amdhsa_exception_fp_ieee_inexact 0
		.amdhsa_exception_int_div_zero 0
	.end_amdhsa_kernel
	.section	.text._ZL13mul_mat_vec_qIL9ggml_type17ELi1ELb1ELb0EEvPKvS2_PKi31ggml_cuda_mm_fusion_args_devicePfj15HIP_vector_typeIjLj3EEjjjS8_jjjS8_jjjj,"axG",@progbits,_ZL13mul_mat_vec_qIL9ggml_type17ELi1ELb1ELb0EEvPKvS2_PKi31ggml_cuda_mm_fusion_args_devicePfj15HIP_vector_typeIjLj3EEjjjS8_jjjS8_jjjj,comdat
.Lfunc_end171:
	.size	_ZL13mul_mat_vec_qIL9ggml_type17ELi1ELb1ELb0EEvPKvS2_PKi31ggml_cuda_mm_fusion_args_devicePfj15HIP_vector_typeIjLj3EEjjjS8_jjjS8_jjjj, .Lfunc_end171-_ZL13mul_mat_vec_qIL9ggml_type17ELi1ELb1ELb0EEvPKvS2_PKi31ggml_cuda_mm_fusion_args_devicePfj15HIP_vector_typeIjLj3EEjjjS8_jjjS8_jjjj
                                        ; -- End function
	.set _ZL13mul_mat_vec_qIL9ggml_type17ELi1ELb1ELb0EEvPKvS2_PKi31ggml_cuda_mm_fusion_args_devicePfj15HIP_vector_typeIjLj3EEjjjS8_jjjS8_jjjj.num_vgpr, 52
	.set _ZL13mul_mat_vec_qIL9ggml_type17ELi1ELb1ELb0EEvPKvS2_PKi31ggml_cuda_mm_fusion_args_devicePfj15HIP_vector_typeIjLj3EEjjjS8_jjjS8_jjjj.num_agpr, 0
	.set _ZL13mul_mat_vec_qIL9ggml_type17ELi1ELb1ELb0EEvPKvS2_PKi31ggml_cuda_mm_fusion_args_devicePfj15HIP_vector_typeIjLj3EEjjjS8_jjjS8_jjjj.numbered_sgpr, 42
	.set _ZL13mul_mat_vec_qIL9ggml_type17ELi1ELb1ELb0EEvPKvS2_PKi31ggml_cuda_mm_fusion_args_devicePfj15HIP_vector_typeIjLj3EEjjjS8_jjjS8_jjjj.num_named_barrier, 0
	.set _ZL13mul_mat_vec_qIL9ggml_type17ELi1ELb1ELb0EEvPKvS2_PKi31ggml_cuda_mm_fusion_args_devicePfj15HIP_vector_typeIjLj3EEjjjS8_jjjS8_jjjj.private_seg_size, 0
	.set _ZL13mul_mat_vec_qIL9ggml_type17ELi1ELb1ELb0EEvPKvS2_PKi31ggml_cuda_mm_fusion_args_devicePfj15HIP_vector_typeIjLj3EEjjjS8_jjjS8_jjjj.uses_vcc, 1
	.set _ZL13mul_mat_vec_qIL9ggml_type17ELi1ELb1ELb0EEvPKvS2_PKi31ggml_cuda_mm_fusion_args_devicePfj15HIP_vector_typeIjLj3EEjjjS8_jjjS8_jjjj.uses_flat_scratch, 0
	.set _ZL13mul_mat_vec_qIL9ggml_type17ELi1ELb1ELb0EEvPKvS2_PKi31ggml_cuda_mm_fusion_args_devicePfj15HIP_vector_typeIjLj3EEjjjS8_jjjS8_jjjj.has_dyn_sized_stack, 0
	.set _ZL13mul_mat_vec_qIL9ggml_type17ELi1ELb1ELb0EEvPKvS2_PKi31ggml_cuda_mm_fusion_args_devicePfj15HIP_vector_typeIjLj3EEjjjS8_jjjS8_jjjj.has_recursion, 0
	.set _ZL13mul_mat_vec_qIL9ggml_type17ELi1ELb1ELb0EEvPKvS2_PKi31ggml_cuda_mm_fusion_args_devicePfj15HIP_vector_typeIjLj3EEjjjS8_jjjS8_jjjj.has_indirect_call, 0
	.section	.AMDGPU.csdata,"",@progbits
; Kernel info:
; codeLenInByte = 6068
; TotalNumSgprs: 46
; NumVgprs: 52
; ScratchSize: 0
; MemoryBound: 0
; FloatMode: 240
; IeeeMode: 1
; LDSByteSize: 512 bytes/workgroup (compile time only)
; SGPRBlocks: 5
; VGPRBlocks: 12
; NumSGPRsForWavesPerEU: 46
; NumVGPRsForWavesPerEU: 52
; Occupancy: 4
; WaveLimiterHint : 0
; COMPUTE_PGM_RSRC2:SCRATCH_EN: 0
; COMPUTE_PGM_RSRC2:USER_SGPR: 6
; COMPUTE_PGM_RSRC2:TRAP_HANDLER: 0
; COMPUTE_PGM_RSRC2:TGID_X_EN: 1
; COMPUTE_PGM_RSRC2:TGID_Y_EN: 1
; COMPUTE_PGM_RSRC2:TGID_Z_EN: 1
; COMPUTE_PGM_RSRC2:TIDIG_COMP_CNT: 1
	.section	.text._ZL13mul_mat_vec_qIL9ggml_type17ELi1ELb0ELb0EEvPKvS2_PKi31ggml_cuda_mm_fusion_args_devicePfj15HIP_vector_typeIjLj3EEjjjS8_jjjS8_jjjj,"axG",@progbits,_ZL13mul_mat_vec_qIL9ggml_type17ELi1ELb0ELb0EEvPKvS2_PKi31ggml_cuda_mm_fusion_args_devicePfj15HIP_vector_typeIjLj3EEjjjS8_jjjS8_jjjj,comdat
	.globl	_ZL13mul_mat_vec_qIL9ggml_type17ELi1ELb0ELb0EEvPKvS2_PKi31ggml_cuda_mm_fusion_args_devicePfj15HIP_vector_typeIjLj3EEjjjS8_jjjS8_jjjj ; -- Begin function _ZL13mul_mat_vec_qIL9ggml_type17ELi1ELb0ELb0EEvPKvS2_PKi31ggml_cuda_mm_fusion_args_devicePfj15HIP_vector_typeIjLj3EEjjjS8_jjjS8_jjjj
	.p2align	8
	.type	_ZL13mul_mat_vec_qIL9ggml_type17ELi1ELb0ELb0EEvPKvS2_PKi31ggml_cuda_mm_fusion_args_devicePfj15HIP_vector_typeIjLj3EEjjjS8_jjjS8_jjjj,@function
_ZL13mul_mat_vec_qIL9ggml_type17ELi1ELb0ELb0EEvPKvS2_PKi31ggml_cuda_mm_fusion_args_devicePfj15HIP_vector_typeIjLj3EEjjjS8_jjjS8_jjjj: ; @_ZL13mul_mat_vec_qIL9ggml_type17ELi1ELb0ELb0EEvPKvS2_PKi31ggml_cuda_mm_fusion_args_devicePfj15HIP_vector_typeIjLj3EEjjjS8_jjjS8_jjjj
; %bb.0:
	s_load_dwordx2 s[0:1], s[4:5], 0x10
	s_load_dwordx4 s[16:19], s[4:5], 0x40
	s_mov_b32 s10, s7
	s_mov_b64 s[14:15], 0
	s_waitcnt lgkmcnt(0)
	s_cmp_lg_u64 s[0:1], 0
	s_cselect_b64 s[12:13], -1, 0
	s_cmp_eq_u64 s[0:1], 0
	s_cbranch_scc1 .LBB172_5
; %bb.1:
	s_mov_b32 s11, 0
	s_lshl_b64 s[2:3], s[10:11], 2
	s_add_u32 s0, s0, s2
	s_addc_u32 s1, s1, s3
	s_load_dword s9, s[0:1], 0x0
	s_nop 0
	s_load_dwordx4 s[0:3], s[4:5], 0x68
	s_load_dword s11, s[4:5], 0x50
	s_andn2_b64 vcc, exec, s[14:15]
	s_cbranch_vccnz .LBB172_3
.LBB172_2:
	s_load_dwordx2 s[14:15], s[4:5], 0x5c
	s_waitcnt lgkmcnt(0)
	s_mul_hi_u32 s7, s14, s10
	s_add_i32 s7, s10, s7
	s_lshr_b32 s9, s7, s15
.LBB172_3:
	s_load_dword s20, s[4:5], 0x78
	s_andn2_b64 vcc, exec, s[12:13]
	s_cbranch_vccnz .LBB172_6
; %bb.4:
	s_mul_hi_u32 s7, s17, s10
	s_add_i32 s7, s10, s7
	s_lshr_b32 s7, s7, s18
	s_mul_i32 s7, s7, s19
	s_sub_i32 s18, s10, s7
	s_branch .LBB172_7
.LBB172_5:
                                        ; implicit-def: $sgpr9
	s_load_dwordx4 s[0:3], s[4:5], 0x68
	s_load_dword s11, s[4:5], 0x50
	s_branch .LBB172_2
.LBB172_6:
	s_mov_b32 s18, s10
.LBB172_7:
	s_load_dwordx4 s[12:15], s[4:5], 0x80
	v_lshl_add_u32 v2, v1, 6, v0
	s_lshr_b32 s7, s16, 8
	v_lshrrev_b32_e32 v13, 3, v2
	v_cmp_gt_u32_e32 vcc, s7, v13
	v_mov_b32_e32 v12, 0
	s_and_saveexec_b64 s[16:17], vcc
	s_cbranch_execz .LBB172_11
; %bb.8:
	s_waitcnt lgkmcnt(0)
	s_mul_i32 s9, s9, s0
	s_mul_hi_u32 s0, s3, s8
	s_add_i32 s0, s8, s0
	s_lshr_b32 s0, s0, s20
	s_mul_i32 s3, s0, s12
	s_mul_i32 s0, s18, s1
	v_lshlrev_b32_e32 v3, 1, v0
	s_mul_hi_u32 s1, s0, 36
	s_mul_i32 s0, s0, 36
	v_and_b32_e32 v4, 14, v3
	v_lshrrev_b32_e32 v5, 3, v2
	v_mov_b32_e32 v2, s0
	v_mov_b32_e32 v3, s1
	s_movk_i32 s0, 0x120
	v_mad_u64_u32 v[2:3], s[0:1], v5, s0, v[2:3]
	s_mul_i32 s12, s13, s8
	s_load_dwordx4 s[24:27], s[4:5], 0x0
	v_mad_u64_u32 v[2:3], s[0:1], s12, 36, v[2:3]
	v_and_b32_e32 v14, 7, v0
	s_mul_i32 s11, s11, s6
	v_mad_u64_u32 v[2:3], s[0:1], v14, 36, v[2:3]
	s_waitcnt lgkmcnt(0)
	v_mov_b32_e32 v5, s27
	s_add_i32 s3, s3, s11
	v_add_co_u32_e32 v2, vcc, s26, v2
	v_addc_co_u32_e32 v3, vcc, v5, v3, vcc
	v_lshlrev_b32_e32 v4, 1, v4
	v_add_co_u32_e32 v6, vcc, 32, v2
	v_mov_b32_e32 v8, s24
	s_add_i32 s3, s9, s3
	v_mov_b32_e32 v15, 0
	v_addc_co_u32_e32 v7, vcc, 0, v3, vcc
	s_mov_b64 s[0:1], 0
	s_movk_i32 s9, 0x4a
	v_mov_b32_e32 v9, s25
	v_lshlrev_b32_e32 v16, 1, v4
	s_mov_b32 s11, 0x1010101
	s_movk_i32 s15, 0xff00
	s_mov_b32 s18, 0xc0c0105
	v_mov_b32_e32 v17, 8
	v_mov_b32_e32 v12, 0
.LBB172_9:                              ; =>This Inner Loop Header: Depth=1
	v_add_u32_e32 v2, s3, v13
	v_mad_i64_i32 v[10:11], s[12:13], v2, s9, v[8:9]
	s_getpc_b64 s[12:13]
	s_add_u32 s12, s12, _ZL10iq2xs_grid@rel32@lo+4
	s_addc_u32 s13, s13, _ZL10iq2xs_grid@rel32@hi+12
	v_add_u32_e32 v13, 16, v13
	v_add_co_u32_e32 v2, vcc, v10, v16
	v_addc_co_u32_e32 v3, vcc, 0, v11, vcc
	global_load_dwordx2 v[22:23], v[2:3], off offset:2
	v_add_co_u32_e32 v2, vcc, v10, v14
	v_addc_co_u32_e32 v3, vcc, 0, v11, vcc
	global_load_ubyte v26, v[2:3], off offset:66
	s_waitcnt vmcnt(1)
	v_and_b32_e32 v2, 0x1ff, v22
	v_lshlrev_b32_e32 v2, 3, v2
	global_load_dwordx2 v[24:25], v2, s[12:13]
	v_bfe_u32 v2, v22, 9, 7
	v_bcnt_u32_b32 v3, v2, 0
	v_and_b32_e32 v3, 1, v3
	v_lshl_or_b32 v2, v3, 7, v2
	v_mul_lo_u32 v27, v2, s11
	v_and_b32_e32 v2, 0x8040201, v27
	v_cmp_ne_u16_sdwa s[20:21], v2, v15 src0_sel:BYTE_3 src1_sel:DWORD
	v_cmp_ne_u16_sdwa s[22:23], v2, v15 src0_sel:BYTE_1 src1_sel:DWORD
	v_lshrrev_b32_e32 v3, 18, v27
	v_cndmask_b32_e64 v4, 0, -1, s[22:23]
	v_cndmask_b32_e64 v18, 0, -1, s[20:21]
	v_bfe_i32 v2, v27, 0, 1
	v_lshlrev_b16_e32 v4, 8, v4
	v_bfe_i32 v3, v3, 0, 1
	v_lshlrev_b16_e32 v18, 8, v18
	v_or_b32_sdwa v5, v2, v4 dst_sel:DWORD dst_unused:UNUSED_PAD src0_sel:BYTE_0 src1_sel:DWORD
	v_or_b32_sdwa v19, v3, v18 dst_sel:WORD_1 dst_unused:UNUSED_PAD src0_sel:BYTE_0 src1_sel:DWORD
	v_or_b32_sdwa v5, v5, v19 dst_sel:DWORD dst_unused:UNUSED_PAD src0_sel:WORD_0 src1_sel:DWORD
	v_lshlrev_b16_e32 v2, 8, v2
	v_lshlrev_b16_e32 v3, 8, v3
	v_and_b32_e32 v29, 0x80402010, v27
	v_cmp_ne_u16_sdwa s[20:21], v29, v15 src0_sel:BYTE_3 src1_sel:DWORD
	v_cmp_ne_u16_sdwa s[22:23], v29, v15 src0_sel:BYTE_1 src1_sel:DWORD
	v_lshrrev_b32_e32 v27, 22, v27
	v_lshrrev_b16_e32 v29, 4, v29
	v_cndmask_b32_e64 v30, 0, -1, s[22:23]
	v_cndmask_b32_e64 v32, 0, -1, s[20:21]
	v_bfe_i32 v29, v29, 0, 1
	v_lshlrev_b16_e32 v30, 8, v30
	v_bfe_i32 v27, v27, 0, 1
	v_lshlrev_b16_e32 v32, 8, v32
	v_or_b32_sdwa v31, v29, v30 dst_sel:DWORD dst_unused:UNUSED_PAD src0_sel:BYTE_0 src1_sel:DWORD
	v_or_b32_sdwa v33, v27, v32 dst_sel:WORD_1 dst_unused:UNUSED_PAD src0_sel:BYTE_0 src1_sel:DWORD
	v_or_b32_sdwa v31, v31, v33 dst_sel:DWORD dst_unused:UNUSED_PAD src0_sel:WORD_0 src1_sel:DWORD
	v_lshlrev_b16_e32 v29, 8, v29
	v_lshlrev_b16_e32 v27, 8, v27
	s_waitcnt vmcnt(0)
	v_xor_b32_e32 v5, v24, v5
	v_and_b32_e32 v19, 0xffffff00, v5
	v_sub_i16 v4, v19, v4 clamp
	v_lshlrev_b16_e32 v19, 8, v5
	v_sub_i16 v2, v19, v2 clamp
	v_perm_b32 v2, v2, v4, s18
	v_and_b32_sdwa v4, v5, s15 dst_sel:DWORD dst_unused:UNUSED_PAD src0_sel:WORD_1 src1_sel:DWORD
	v_lshlrev_b16_sdwa v5, v17, v5 dst_sel:DWORD dst_unused:UNUSED_PAD src0_sel:DWORD src1_sel:WORD_1
	v_sub_i16 v4, v4, v18 clamp
	v_sub_i16 v3, v5, v3 clamp
	v_perm_b32 v3, v3, v4, s18
	v_lshl_or_b32 v24, v3, 16, v2
	global_load_dwordx4 v[2:5], v[6:7], off offset:-32
	global_load_dword v28, v[6:7], off
	global_load_dwordx4 v[18:21], v[6:7], off offset:-16
	v_xor_b32_e32 v25, v25, v31
	v_and_b32_e32 v31, 0xffffff00, v25
	v_sub_i16 v30, v31, v30 clamp
	v_lshlrev_b16_e32 v31, 8, v25
	v_sub_i16 v29, v31, v29 clamp
	v_perm_b32 v29, v29, v30, s18
	v_and_b32_sdwa v30, v25, s15 dst_sel:DWORD dst_unused:UNUSED_PAD src0_sel:WORD_1 src1_sel:DWORD
	v_lshlrev_b16_sdwa v25, v17, v25 dst_sel:DWORD dst_unused:UNUSED_PAD src0_sel:DWORD src1_sel:WORD_1
	v_sub_i16 v30, v30, v32 clamp
	v_sub_i16 v25, v25, v27 clamp
	v_perm_b32 v25, v25, v30, s18
	v_lshl_or_b32 v25, v25, 16, v29
	v_add_co_u32_e32 v6, vcc, 0x1200, v6
	v_addc_co_u32_e32 v7, vcc, 0, v7, vcc
	v_cmp_le_u32_e32 vcc, s7, v13
	s_or_b64 s[0:1], vcc, s[0:1]
	s_waitcnt vmcnt(2)
	v_dot4_i32_i8 v3, v24, v3, 0
	v_dot4_i32_i8 v24, v25, v4, v3
	v_lshrrev_b32_e32 v3, 13, v22
	v_and_b32_e32 v3, 0xff8, v3
	global_load_dwordx2 v[3:4], v3, s[12:13]
	v_lshrrev_b32_e32 v25, 25, v22
	v_bcnt_u32_b32 v25, v25, 0
	v_and_b32_e32 v25, 1, v25
	v_alignbit_b32 v22, v25, v22, 25
	v_mul_lo_u32 v22, v22, s11
	v_cvt_f32_f16_e32 v2, v2
	v_and_b32_e32 v25, 0x8040201, v22
	v_cmp_ne_u16_sdwa s[20:21], v25, v15 src0_sel:BYTE_3 src1_sel:DWORD
	v_cmp_ne_u16_sdwa s[22:23], v25, v15 src0_sel:BYTE_1 src1_sel:DWORD
	v_lshrrev_b32_e32 v27, 18, v22
	v_cndmask_b32_e64 v29, 0, -1, s[22:23]
	v_cndmask_b32_e64 v31, 0, -1, s[20:21]
	v_bfe_i32 v25, v22, 0, 1
	v_lshlrev_b16_e32 v29, 8, v29
	v_bfe_i32 v27, v27, 0, 1
	v_lshlrev_b16_e32 v31, 8, v31
	v_or_b32_sdwa v30, v25, v29 dst_sel:DWORD dst_unused:UNUSED_PAD src0_sel:BYTE_0 src1_sel:DWORD
	v_or_b32_sdwa v32, v27, v31 dst_sel:WORD_1 dst_unused:UNUSED_PAD src0_sel:BYTE_0 src1_sel:DWORD
	v_or_b32_sdwa v30, v30, v32 dst_sel:DWORD dst_unused:UNUSED_PAD src0_sel:WORD_0 src1_sel:DWORD
	v_lshlrev_b16_e32 v25, 8, v25
	v_lshlrev_b16_e32 v27, 8, v27
	s_waitcnt vmcnt(0)
	v_xor_b32_e32 v3, v3, v30
	v_and_b32_e32 v30, 0xffffff00, v3
	v_sub_i16 v29, v30, v29 clamp
	v_lshlrev_b16_e32 v30, 8, v3
	v_sub_i16 v25, v30, v25 clamp
	v_perm_b32 v25, v25, v29, s18
	v_and_b32_sdwa v29, v3, s15 dst_sel:DWORD dst_unused:UNUSED_PAD src0_sel:WORD_1 src1_sel:DWORD
	v_lshlrev_b16_sdwa v3, v17, v3 dst_sel:DWORD dst_unused:UNUSED_PAD src0_sel:DWORD src1_sel:WORD_1
	v_sub_i16 v29, v29, v31 clamp
	v_sub_i16 v3, v3, v27 clamp
	v_perm_b32 v3, v3, v29, s18
	v_lshl_or_b32 v3, v3, 16, v25
	v_and_b32_e32 v25, 0x80402010, v22
	v_cmp_ne_u16_sdwa s[20:21], v25, v15 src0_sel:BYTE_3 src1_sel:DWORD
	v_cmp_ne_u16_sdwa s[22:23], v25, v15 src0_sel:BYTE_1 src1_sel:DWORD
	v_lshrrev_b32_e32 v22, 22, v22
	v_lshrrev_b16_e32 v25, 4, v25
	v_cndmask_b32_e64 v27, 0, -1, s[22:23]
	v_cndmask_b32_e64 v30, 0, -1, s[20:21]
	v_bfe_i32 v25, v25, 0, 1
	v_lshlrev_b16_e32 v27, 8, v27
	v_bfe_i32 v22, v22, 0, 1
	v_lshlrev_b16_e32 v30, 8, v30
	v_or_b32_sdwa v29, v25, v27 dst_sel:DWORD dst_unused:UNUSED_PAD src0_sel:BYTE_0 src1_sel:DWORD
	v_or_b32_sdwa v31, v22, v30 dst_sel:WORD_1 dst_unused:UNUSED_PAD src0_sel:BYTE_0 src1_sel:DWORD
	v_or_b32_sdwa v29, v29, v31 dst_sel:DWORD dst_unused:UNUSED_PAD src0_sel:WORD_0 src1_sel:DWORD
	v_xor_b32_e32 v4, v4, v29
	v_and_b32_e32 v29, 0xffffff00, v4
	v_sub_i16 v27, v29, v27 clamp
	v_lshlrev_b16_e32 v29, 8, v4
	v_lshlrev_b16_e32 v25, 8, v25
	v_sub_i16 v25, v29, v25 clamp
	v_perm_b32 v25, v25, v27, s18
	v_and_b32_sdwa v27, v4, s15 dst_sel:DWORD dst_unused:UNUSED_PAD src0_sel:WORD_1 src1_sel:DWORD
	v_lshlrev_b16_sdwa v4, v17, v4 dst_sel:DWORD dst_unused:UNUSED_PAD src0_sel:DWORD src1_sel:WORD_1
	v_lshlrev_b16_e32 v22, 8, v22
	v_sub_i16 v27, v27, v30 clamp
	v_sub_i16 v4, v4, v22 clamp
	v_perm_b32 v4, v4, v27, s18
	v_lshl_or_b32 v4, v4, 16, v25
	v_dot4_i32_i8 v3, v3, v5, v24
	v_dot4_i32_i8 v5, v4, v18, v3
	v_and_b32_e32 v3, 0x1ff, v23
	v_lshlrev_b32_e32 v3, 3, v3
	global_load_dwordx2 v[3:4], v3, s[12:13]
	v_bfe_u32 v18, v23, 9, 7
	v_bcnt_u32_b32 v22, v18, 0
	v_and_b32_e32 v22, 1, v22
	v_lshl_or_b32 v18, v22, 7, v18
	v_mul_lo_u32 v18, v18, s11
	v_and_b32_e32 v22, 0x8040201, v18
	v_cmp_ne_u16_sdwa s[20:21], v22, v15 src0_sel:BYTE_3 src1_sel:DWORD
	v_cmp_ne_u16_sdwa s[22:23], v22, v15 src0_sel:BYTE_1 src1_sel:DWORD
	v_lshrrev_b32_e32 v24, 18, v18
	v_cndmask_b32_e64 v25, 0, -1, s[22:23]
	v_cndmask_b32_e64 v29, 0, -1, s[20:21]
	v_bfe_i32 v22, v18, 0, 1
	v_lshlrev_b16_e32 v25, 8, v25
	v_bfe_i32 v24, v24, 0, 1
	v_lshlrev_b16_e32 v29, 8, v29
	v_or_b32_sdwa v27, v22, v25 dst_sel:DWORD dst_unused:UNUSED_PAD src0_sel:BYTE_0 src1_sel:DWORD
	v_or_b32_sdwa v30, v24, v29 dst_sel:WORD_1 dst_unused:UNUSED_PAD src0_sel:BYTE_0 src1_sel:DWORD
	v_or_b32_sdwa v27, v27, v30 dst_sel:DWORD dst_unused:UNUSED_PAD src0_sel:WORD_0 src1_sel:DWORD
	v_lshlrev_b16_e32 v22, 8, v22
	v_lshlrev_b16_e32 v24, 8, v24
	s_waitcnt vmcnt(0)
	v_xor_b32_e32 v3, v3, v27
	v_and_b32_e32 v27, 0xffffff00, v3
	v_sub_i16 v25, v27, v25 clamp
	v_lshlrev_b16_e32 v27, 8, v3
	v_sub_i16 v22, v27, v22 clamp
	v_perm_b32 v22, v22, v25, s18
	v_and_b32_sdwa v25, v3, s15 dst_sel:DWORD dst_unused:UNUSED_PAD src0_sel:WORD_1 src1_sel:DWORD
	v_lshlrev_b16_sdwa v3, v17, v3 dst_sel:DWORD dst_unused:UNUSED_PAD src0_sel:DWORD src1_sel:WORD_1
	v_sub_i16 v25, v25, v29 clamp
	v_sub_i16 v3, v3, v24 clamp
	v_perm_b32 v3, v3, v25, s18
	v_lshl_or_b32 v3, v3, 16, v22
	v_and_b32_e32 v22, 0x80402010, v18
	v_cmp_ne_u16_sdwa s[20:21], v22, v15 src0_sel:BYTE_3 src1_sel:DWORD
	v_cmp_ne_u16_sdwa s[22:23], v22, v15 src0_sel:BYTE_1 src1_sel:DWORD
	v_lshrrev_b32_e32 v18, 22, v18
	v_lshrrev_b16_e32 v22, 4, v22
	v_cndmask_b32_e64 v24, 0, -1, s[22:23]
	v_cndmask_b32_e64 v27, 0, -1, s[20:21]
	v_bfe_i32 v22, v22, 0, 1
	v_lshlrev_b16_e32 v24, 8, v24
	v_bfe_i32 v18, v18, 0, 1
	v_lshlrev_b16_e32 v27, 8, v27
	v_or_b32_sdwa v25, v22, v24 dst_sel:DWORD dst_unused:UNUSED_PAD src0_sel:BYTE_0 src1_sel:DWORD
	v_or_b32_sdwa v29, v18, v27 dst_sel:WORD_1 dst_unused:UNUSED_PAD src0_sel:BYTE_0 src1_sel:DWORD
	v_or_b32_sdwa v25, v25, v29 dst_sel:DWORD dst_unused:UNUSED_PAD src0_sel:WORD_0 src1_sel:DWORD
	v_xor_b32_e32 v4, v4, v25
	v_and_b32_e32 v25, 0xffffff00, v4
	v_sub_i16 v24, v25, v24 clamp
	v_lshlrev_b16_e32 v25, 8, v4
	v_lshlrev_b16_e32 v22, 8, v22
	v_sub_i16 v22, v25, v22 clamp
	v_perm_b32 v22, v22, v24, s18
	v_and_b32_sdwa v24, v4, s15 dst_sel:DWORD dst_unused:UNUSED_PAD src0_sel:WORD_1 src1_sel:DWORD
	v_lshlrev_b16_sdwa v4, v17, v4 dst_sel:DWORD dst_unused:UNUSED_PAD src0_sel:DWORD src1_sel:WORD_1
	v_lshlrev_b16_e32 v18, 8, v18
	v_sub_i16 v24, v24, v27 clamp
	v_sub_i16 v4, v4, v18 clamp
	v_perm_b32 v4, v4, v24, s18
	v_lshl_or_b32 v4, v4, 16, v22
	v_dot4_i32_i8 v3, v3, v19, 0
	v_dot4_i32_i8 v18, v4, v20, v3
	v_lshrrev_b32_e32 v3, 13, v23
	v_and_b32_e32 v3, 0xff8, v3
	global_load_dwordx2 v[3:4], v3, s[12:13]
	v_lshrrev_b32_e32 v19, 25, v23
	v_bcnt_u32_b32 v19, v19, 0
	v_and_b32_e32 v19, 1, v19
	v_alignbit_b32 v19, v19, v23, 25
	v_mul_lo_u32 v19, v19, s11
	v_and_b32_e32 v20, 0x8040201, v19
	v_cmp_ne_u16_sdwa s[12:13], v20, v15 src0_sel:BYTE_3 src1_sel:DWORD
	v_cmp_ne_u16_sdwa s[20:21], v20, v15 src0_sel:BYTE_1 src1_sel:DWORD
	v_lshrrev_b32_e32 v22, 18, v19
	v_cndmask_b32_e64 v23, 0, -1, s[20:21]
	v_cndmask_b32_e64 v25, 0, -1, s[12:13]
	v_bfe_i32 v20, v19, 0, 1
	v_lshlrev_b16_e32 v23, 8, v23
	v_bfe_i32 v22, v22, 0, 1
	v_lshlrev_b16_e32 v25, 8, v25
	v_or_b32_sdwa v24, v20, v23 dst_sel:DWORD dst_unused:UNUSED_PAD src0_sel:BYTE_0 src1_sel:DWORD
	v_or_b32_sdwa v27, v22, v25 dst_sel:WORD_1 dst_unused:UNUSED_PAD src0_sel:BYTE_0 src1_sel:DWORD
	v_or_b32_sdwa v24, v24, v27 dst_sel:DWORD dst_unused:UNUSED_PAD src0_sel:WORD_0 src1_sel:DWORD
	v_lshlrev_b16_e32 v20, 8, v20
	v_lshlrev_b16_e32 v22, 8, v22
	s_waitcnt vmcnt(0)
	v_xor_b32_e32 v3, v3, v24
	v_and_b32_e32 v24, 0xffffff00, v3
	v_sub_i16 v23, v24, v23 clamp
	v_lshlrev_b16_e32 v24, 8, v3
	v_sub_i16 v20, v24, v20 clamp
	v_perm_b32 v20, v20, v23, s18
	v_and_b32_sdwa v23, v3, s15 dst_sel:DWORD dst_unused:UNUSED_PAD src0_sel:WORD_1 src1_sel:DWORD
	v_lshlrev_b16_sdwa v3, v17, v3 dst_sel:DWORD dst_unused:UNUSED_PAD src0_sel:DWORD src1_sel:WORD_1
	v_sub_i16 v23, v23, v25 clamp
	v_sub_i16 v3, v3, v22 clamp
	v_perm_b32 v3, v3, v23, s18
	v_lshl_or_b32 v3, v3, 16, v20
	v_and_b32_e32 v20, 0x80402010, v19
	v_cmp_ne_u16_sdwa s[12:13], v20, v15 src0_sel:BYTE_3 src1_sel:DWORD
	v_cmp_ne_u16_sdwa s[20:21], v20, v15 src0_sel:BYTE_1 src1_sel:DWORD
	v_lshrrev_b32_e32 v19, 22, v19
	v_lshrrev_b16_e32 v20, 4, v20
	v_cndmask_b32_e64 v22, 0, -1, s[20:21]
	v_cndmask_b32_e64 v24, 0, -1, s[12:13]
	v_bfe_i32 v20, v20, 0, 1
	v_lshlrev_b16_e32 v22, 8, v22
	v_bfe_i32 v19, v19, 0, 1
	v_lshlrev_b16_e32 v24, 8, v24
	v_or_b32_sdwa v23, v20, v22 dst_sel:DWORD dst_unused:UNUSED_PAD src0_sel:BYTE_0 src1_sel:DWORD
	v_or_b32_sdwa v25, v19, v24 dst_sel:WORD_1 dst_unused:UNUSED_PAD src0_sel:BYTE_0 src1_sel:DWORD
	v_or_b32_sdwa v23, v23, v25 dst_sel:DWORD dst_unused:UNUSED_PAD src0_sel:WORD_0 src1_sel:DWORD
	v_xor_b32_e32 v4, v4, v23
	v_and_b32_e32 v23, 0xffffff00, v4
	v_sub_i16 v22, v23, v22 clamp
	v_lshlrev_b16_e32 v23, 8, v4
	v_lshlrev_b16_e32 v20, 8, v20
	v_sub_i16 v20, v23, v20 clamp
	v_perm_b32 v20, v20, v22, s18
	v_and_b32_sdwa v22, v4, s15 dst_sel:DWORD dst_unused:UNUSED_PAD src0_sel:WORD_1 src1_sel:DWORD
	v_lshlrev_b16_sdwa v4, v17, v4 dst_sel:DWORD dst_unused:UNUSED_PAD src0_sel:DWORD src1_sel:WORD_1
	v_lshlrev_b16_e32 v19, 8, v19
	v_sub_i16 v22, v22, v24 clamp
	v_sub_i16 v4, v4, v19 clamp
	v_perm_b32 v4, v4, v22, s18
	v_lshl_or_b32 v4, v4, 16, v20
	v_dot4_i32_i8 v3, v3, v21, v18
	v_dot4_i32_i8 v3, v4, v28, v3
	v_lshrrev_b32_e32 v4, 4, v26
	v_and_b32_e32 v18, 15, v26
	v_mul_lo_u32 v18, v5, v18
	v_mul_lo_u32 v4, v3, v4
	v_add_u32_e32 v3, v3, v5
	v_lshrrev_b32_e32 v5, 31, v3
	v_add_u32_e32 v3, v3, v5
	v_ashrrev_i32_e32 v3, 1, v3
	v_add3_u32 v3, v4, v18, v3
	v_ashrrev_i32_e32 v4, 31, v3
	v_lshrrev_b32_e32 v4, 30, v4
	v_add_u32_e32 v3, v3, v4
	global_load_ushort v4, v[10:11], off
	v_ashrrev_i32_e32 v3, 2, v3
	v_cvt_f32_i32_e32 v3, v3
	s_waitcnt vmcnt(0)
	v_cvt_f32_f16_e32 v4, v4
	v_mul_f32_e32 v2, v4, v2
	v_fmac_f32_e32 v12, v2, v3
	s_andn2_b64 exec, exec, s[0:1]
	s_cbranch_execnz .LBB172_9
; %bb.10:
	s_or_b64 exec, exec, s[0:1]
.LBB172_11:
	s_or_b64 exec, exec, s[16:17]
	v_cmp_eq_u32_e32 vcc, 0, v1
	s_waitcnt lgkmcnt(0)
	v_cmp_ne_u32_e64 s[0:1], 0, v1
	v_lshlrev_b32_e32 v2, 2, v0
	s_and_saveexec_b64 s[12:13], s[0:1]
; %bb.12:
	v_lshlrev_b32_e32 v1, 8, v1
	s_movk_i32 s0, 0xff00
	v_add3_u32 v1, v1, v2, s0
	ds_write_b32 v1, v12
; %bb.13:
	s_or_b64 exec, exec, s[12:13]
	s_waitcnt lgkmcnt(0)
	s_barrier
	s_and_saveexec_b64 s[0:1], vcc
	s_cbranch_execz .LBB172_16
; %bb.14:
	ds_read_b32 v1, v2
	v_mbcnt_lo_u32_b32 v2, -1, 0
	v_mbcnt_hi_u32_b32 v2, -1, v2
	v_and_b32_e32 v3, 64, v2
	v_add_u32_e32 v3, 64, v3
	v_xor_b32_e32 v4, 32, v2
	v_cmp_lt_i32_e32 vcc, v4, v3
	v_cndmask_b32_e32 v4, v2, v4, vcc
	v_lshlrev_b32_e32 v4, 2, v4
	s_waitcnt lgkmcnt(0)
	v_add_f32_e32 v1, v12, v1
	ds_bpermute_b32 v4, v4, v1
	v_xor_b32_e32 v5, 16, v2
	v_cmp_lt_i32_e32 vcc, v5, v3
	v_cndmask_b32_e32 v5, v2, v5, vcc
	v_lshlrev_b32_e32 v5, 2, v5
	s_waitcnt lgkmcnt(0)
	v_add_f32_e32 v1, v1, v4
	ds_bpermute_b32 v4, v5, v1
	;; [unrolled: 7-line block ×6, first 2 shown]
	s_mov_b32 s1, 0
	v_cmp_eq_u32_e32 vcc, 0, v0
	s_and_b64 exec, exec, vcc
	s_cbranch_execz .LBB172_16
; %bb.15:
	s_load_dwordx2 s[4:5], s[4:5], 0x38
	s_mul_i32 s0, s2, s10
	s_add_i32 s0, s0, s6
	s_mul_i32 s2, s14, s8
	s_add_i32 s0, s0, s2
	s_lshl_b64 s[0:1], s[0:1], 2
	s_waitcnt lgkmcnt(0)
	s_add_u32 s0, s4, s0
	v_add_f32_e32 v0, v1, v2
	s_addc_u32 s1, s5, s1
	v_mov_b32_e32 v1, 0
	global_store_dword v1, v0, s[0:1]
.LBB172_16:
	s_endpgm
	.section	.rodata,"a",@progbits
	.p2align	6, 0x0
	.amdhsa_kernel _ZL13mul_mat_vec_qIL9ggml_type17ELi1ELb0ELb0EEvPKvS2_PKi31ggml_cuda_mm_fusion_args_devicePfj15HIP_vector_typeIjLj3EEjjjS8_jjjS8_jjjj
		.amdhsa_group_segment_fixed_size 256
		.amdhsa_private_segment_fixed_size 0
		.amdhsa_kernarg_size 144
		.amdhsa_user_sgpr_count 6
		.amdhsa_user_sgpr_private_segment_buffer 1
		.amdhsa_user_sgpr_dispatch_ptr 0
		.amdhsa_user_sgpr_queue_ptr 0
		.amdhsa_user_sgpr_kernarg_segment_ptr 1
		.amdhsa_user_sgpr_dispatch_id 0
		.amdhsa_user_sgpr_flat_scratch_init 0
		.amdhsa_user_sgpr_private_segment_size 0
		.amdhsa_uses_dynamic_stack 0
		.amdhsa_system_sgpr_private_segment_wavefront_offset 0
		.amdhsa_system_sgpr_workgroup_id_x 1
		.amdhsa_system_sgpr_workgroup_id_y 1
		.amdhsa_system_sgpr_workgroup_id_z 1
		.amdhsa_system_sgpr_workgroup_info 0
		.amdhsa_system_vgpr_workitem_id 1
		.amdhsa_next_free_vgpr 34
		.amdhsa_next_free_sgpr 28
		.amdhsa_reserve_vcc 1
		.amdhsa_reserve_flat_scratch 0
		.amdhsa_float_round_mode_32 0
		.amdhsa_float_round_mode_16_64 0
		.amdhsa_float_denorm_mode_32 3
		.amdhsa_float_denorm_mode_16_64 3
		.amdhsa_dx10_clamp 1
		.amdhsa_ieee_mode 1
		.amdhsa_fp16_overflow 0
		.amdhsa_exception_fp_ieee_invalid_op 0
		.amdhsa_exception_fp_denorm_src 0
		.amdhsa_exception_fp_ieee_div_zero 0
		.amdhsa_exception_fp_ieee_overflow 0
		.amdhsa_exception_fp_ieee_underflow 0
		.amdhsa_exception_fp_ieee_inexact 0
		.amdhsa_exception_int_div_zero 0
	.end_amdhsa_kernel
	.section	.text._ZL13mul_mat_vec_qIL9ggml_type17ELi1ELb0ELb0EEvPKvS2_PKi31ggml_cuda_mm_fusion_args_devicePfj15HIP_vector_typeIjLj3EEjjjS8_jjjS8_jjjj,"axG",@progbits,_ZL13mul_mat_vec_qIL9ggml_type17ELi1ELb0ELb0EEvPKvS2_PKi31ggml_cuda_mm_fusion_args_devicePfj15HIP_vector_typeIjLj3EEjjjS8_jjjS8_jjjj,comdat
.Lfunc_end172:
	.size	_ZL13mul_mat_vec_qIL9ggml_type17ELi1ELb0ELb0EEvPKvS2_PKi31ggml_cuda_mm_fusion_args_devicePfj15HIP_vector_typeIjLj3EEjjjS8_jjjS8_jjjj, .Lfunc_end172-_ZL13mul_mat_vec_qIL9ggml_type17ELi1ELb0ELb0EEvPKvS2_PKi31ggml_cuda_mm_fusion_args_devicePfj15HIP_vector_typeIjLj3EEjjjS8_jjjS8_jjjj
                                        ; -- End function
	.set _ZL13mul_mat_vec_qIL9ggml_type17ELi1ELb0ELb0EEvPKvS2_PKi31ggml_cuda_mm_fusion_args_devicePfj15HIP_vector_typeIjLj3EEjjjS8_jjjS8_jjjj.num_vgpr, 34
	.set _ZL13mul_mat_vec_qIL9ggml_type17ELi1ELb0ELb0EEvPKvS2_PKi31ggml_cuda_mm_fusion_args_devicePfj15HIP_vector_typeIjLj3EEjjjS8_jjjS8_jjjj.num_agpr, 0
	.set _ZL13mul_mat_vec_qIL9ggml_type17ELi1ELb0ELb0EEvPKvS2_PKi31ggml_cuda_mm_fusion_args_devicePfj15HIP_vector_typeIjLj3EEjjjS8_jjjS8_jjjj.numbered_sgpr, 28
	.set _ZL13mul_mat_vec_qIL9ggml_type17ELi1ELb0ELb0EEvPKvS2_PKi31ggml_cuda_mm_fusion_args_devicePfj15HIP_vector_typeIjLj3EEjjjS8_jjjS8_jjjj.num_named_barrier, 0
	.set _ZL13mul_mat_vec_qIL9ggml_type17ELi1ELb0ELb0EEvPKvS2_PKi31ggml_cuda_mm_fusion_args_devicePfj15HIP_vector_typeIjLj3EEjjjS8_jjjS8_jjjj.private_seg_size, 0
	.set _ZL13mul_mat_vec_qIL9ggml_type17ELi1ELb0ELb0EEvPKvS2_PKi31ggml_cuda_mm_fusion_args_devicePfj15HIP_vector_typeIjLj3EEjjjS8_jjjS8_jjjj.uses_vcc, 1
	.set _ZL13mul_mat_vec_qIL9ggml_type17ELi1ELb0ELb0EEvPKvS2_PKi31ggml_cuda_mm_fusion_args_devicePfj15HIP_vector_typeIjLj3EEjjjS8_jjjS8_jjjj.uses_flat_scratch, 0
	.set _ZL13mul_mat_vec_qIL9ggml_type17ELi1ELb0ELb0EEvPKvS2_PKi31ggml_cuda_mm_fusion_args_devicePfj15HIP_vector_typeIjLj3EEjjjS8_jjjS8_jjjj.has_dyn_sized_stack, 0
	.set _ZL13mul_mat_vec_qIL9ggml_type17ELi1ELb0ELb0EEvPKvS2_PKi31ggml_cuda_mm_fusion_args_devicePfj15HIP_vector_typeIjLj3EEjjjS8_jjjS8_jjjj.has_recursion, 0
	.set _ZL13mul_mat_vec_qIL9ggml_type17ELi1ELb0ELb0EEvPKvS2_PKi31ggml_cuda_mm_fusion_args_devicePfj15HIP_vector_typeIjLj3EEjjjS8_jjjS8_jjjj.has_indirect_call, 0
	.section	.AMDGPU.csdata,"",@progbits
; Kernel info:
; codeLenInByte = 2832
; TotalNumSgprs: 32
; NumVgprs: 34
; ScratchSize: 0
; MemoryBound: 0
; FloatMode: 240
; IeeeMode: 1
; LDSByteSize: 256 bytes/workgroup (compile time only)
; SGPRBlocks: 3
; VGPRBlocks: 8
; NumSGPRsForWavesPerEU: 32
; NumVGPRsForWavesPerEU: 34
; Occupancy: 7
; WaveLimiterHint : 0
; COMPUTE_PGM_RSRC2:SCRATCH_EN: 0
; COMPUTE_PGM_RSRC2:USER_SGPR: 6
; COMPUTE_PGM_RSRC2:TRAP_HANDLER: 0
; COMPUTE_PGM_RSRC2:TGID_X_EN: 1
; COMPUTE_PGM_RSRC2:TGID_Y_EN: 1
; COMPUTE_PGM_RSRC2:TGID_Z_EN: 1
; COMPUTE_PGM_RSRC2:TIDIG_COMP_CNT: 1
	.section	.text._ZL13mul_mat_vec_qIL9ggml_type17ELi2ELb0ELb0EEvPKvS2_PKi31ggml_cuda_mm_fusion_args_devicePfj15HIP_vector_typeIjLj3EEjjjS8_jjjS8_jjjj,"axG",@progbits,_ZL13mul_mat_vec_qIL9ggml_type17ELi2ELb0ELb0EEvPKvS2_PKi31ggml_cuda_mm_fusion_args_devicePfj15HIP_vector_typeIjLj3EEjjjS8_jjjS8_jjjj,comdat
	.globl	_ZL13mul_mat_vec_qIL9ggml_type17ELi2ELb0ELb0EEvPKvS2_PKi31ggml_cuda_mm_fusion_args_devicePfj15HIP_vector_typeIjLj3EEjjjS8_jjjS8_jjjj ; -- Begin function _ZL13mul_mat_vec_qIL9ggml_type17ELi2ELb0ELb0EEvPKvS2_PKi31ggml_cuda_mm_fusion_args_devicePfj15HIP_vector_typeIjLj3EEjjjS8_jjjS8_jjjj
	.p2align	8
	.type	_ZL13mul_mat_vec_qIL9ggml_type17ELi2ELb0ELb0EEvPKvS2_PKi31ggml_cuda_mm_fusion_args_devicePfj15HIP_vector_typeIjLj3EEjjjS8_jjjS8_jjjj,@function
_ZL13mul_mat_vec_qIL9ggml_type17ELi2ELb0ELb0EEvPKvS2_PKi31ggml_cuda_mm_fusion_args_devicePfj15HIP_vector_typeIjLj3EEjjjS8_jjjS8_jjjj: ; @_ZL13mul_mat_vec_qIL9ggml_type17ELi2ELb0ELb0EEvPKvS2_PKi31ggml_cuda_mm_fusion_args_devicePfj15HIP_vector_typeIjLj3EEjjjS8_jjjS8_jjjj
; %bb.0:
	s_load_dword s9, s[4:5], 0x40
	s_load_dwordx4 s[0:3], s[4:5], 0x50
	s_load_dword s25, s[4:5], 0x60
	s_load_dwordx4 s[12:15], s[4:5], 0x68
	;; [unrolled: 2-line block ×3, first 2 shown]
	v_lshl_add_u32 v2, v1, 6, v0
	s_waitcnt lgkmcnt(0)
	s_lshr_b32 s9, s9, 8
	v_lshrrev_b32_e32 v22, 3, v2
	s_lshl_b32 s6, s6, 1
	v_cmp_gt_u32_e32 vcc, s9, v22
	v_mov_b32_e32 v19, 0
	v_mov_b32_e32 v20, 0
	;; [unrolled: 1-line block ×4, first 2 shown]
	s_and_saveexec_b64 s[10:11], vcc
	s_cbranch_execz .LBB173_4
; %bb.1:
	s_mul_hi_u32 s3, s3, s7
	s_add_i32 s3, s7, s3
	s_load_dwordx4 s[20:23], s[4:5], 0x0
	s_lshr_b32 s3, s3, s25
	s_mul_i32 s3, s3, s12
	s_mul_hi_u32 s12, s15, s8
	s_add_i32 s12, s8, s12
	s_lshr_b32 s12, s12, s24
	s_mul_i32 s19, s17, s8
	s_mul_i32 s15, s12, s16
	;; [unrolled: 1-line block ×3, first 2 shown]
	s_mul_hi_u32 s12, s19, 36
	s_waitcnt lgkmcnt(0)
	s_add_u32 s16, s22, s16
	s_addc_u32 s17, s23, s12
	s_mul_i32 s12, s13, s7
	s_mul_hi_u32 s13, s12, 36
	s_mul_i32 s12, s12, 36
	s_add_u32 s16, s16, s12
	v_lshlrev_b32_e32 v2, 1, v0
	s_addc_u32 s17, s17, s13
	v_and_b32_e32 v2, 14, v2
	v_and_b32_e32 v24, 7, v0
	v_lshlrev_b32_e32 v4, 1, v2
	v_mad_u64_u32 v[10:11], s[16:17], v24, 36, s[16:17]
	v_mov_b32_e32 v2, s12
	s_movk_i32 s16, 0x120
	v_mov_b32_e32 v3, s13
	v_mad_u64_u32 v[2:3], s[12:13], v22, s16, v[2:3]
	v_mov_b32_e32 v5, s23
	s_add_i32 s16, s6, 1
	v_mad_u64_u32 v[2:3], s[12:13], s19, 36, v[2:3]
	s_add_i32 s15, s15, s3
	s_mul_i32 s3, s6, s0
	v_mad_u64_u32 v[2:3], s[12:13], v24, 36, v[2:3]
	s_mul_i32 s0, s0, s16
	v_mov_b32_e32 v14, s20
	v_add_co_u32_e32 v2, vcc, s22, v2
	v_addc_co_u32_e32 v3, vcc, v5, v3, vcc
	v_add_co_u32_e32 v12, vcc, 32, v2
	v_mov_b32_e32 v23, 0
	s_add_i32 s3, s15, s3
	s_add_i32 s15, s15, s0
	v_lshl_add_u32 v25, v22, 3, s1
	v_addc_co_u32_e32 v13, vcc, 0, v3, vcc
	s_mov_b64 s[0:1], 0
	s_movk_i32 s16, 0x4a
	v_mov_b32_e32 v15, s21
	v_lshlrev_b32_e32 v26, 1, v4
	s_mov_b32 s17, 0x1010101
	s_movk_i32 s19, 0xff00
	s_mov_b32 s20, 0xc0c0105
	v_mov_b32_e32 v27, 8
	v_mov_b32_e32 v18, 0
	;; [unrolled: 1-line block ×5, first 2 shown]
.LBB173_2:                              ; =>This Inner Loop Header: Depth=1
	v_add_u32_e32 v16, s3, v22
	v_mad_i64_i32 v[16:17], s[12:13], v16, s16, v[14:15]
	global_load_dword v41, v[12:13], off
	global_load_dwordx4 v[2:5], v[12:13], off offset:-16
	global_load_dwordx4 v[6:9], v[12:13], off offset:-32
	s_getpc_b64 s[12:13]
	s_add_u32 s12, s12, _ZL10iq2xs_grid@rel32@lo+4
	s_addc_u32 s13, s13, _ZL10iq2xs_grid@rel32@hi+12
	v_add_co_u32_e32 v28, vcc, v16, v26
	v_addc_co_u32_e32 v29, vcc, 0, v17, vcc
	global_load_dwordx2 v[32:33], v[28:29], off offset:2
	v_add_co_u32_e32 v28, vcc, v16, v24
	v_addc_co_u32_e32 v29, vcc, 0, v17, vcc
	global_load_ubyte v37, v[28:29], off offset:66
	s_waitcnt vmcnt(2)
	v_cvt_f32_f16_e32 v38, v6
	global_load_ushort v16, v[16:17], off
	s_waitcnt vmcnt(2)
	v_and_b32_e32 v6, 0x1ff, v32
	v_lshlrev_b32_e32 v6, 3, v6
	global_load_dwordx2 v[28:29], v6, s[12:13]
	v_bfe_u32 v6, v32, 9, 7
	v_bcnt_u32_b32 v30, v6, 0
	v_and_b32_e32 v30, 1, v30
	v_lshl_or_b32 v6, v30, 7, v6
	v_mul_lo_u32 v30, v6, s17
	v_and_b32_e32 v6, 0x8040201, v30
	v_cmp_ne_u16_sdwa s[22:23], v6, v23 src0_sel:BYTE_3 src1_sel:DWORD
	v_cmp_ne_u16_sdwa s[24:25], v6, v23 src0_sel:BYTE_1 src1_sel:DWORD
	v_lshrrev_b32_e32 v31, 18, v30
	v_cndmask_b32_e64 v34, 0, -1, s[24:25]
	v_cndmask_b32_e64 v36, 0, -1, s[22:23]
	v_bfe_i32 v6, v30, 0, 1
	v_lshlrev_b16_e32 v34, 8, v34
	v_bfe_i32 v31, v31, 0, 1
	v_lshlrev_b16_e32 v36, 8, v36
	v_or_b32_sdwa v35, v6, v34 dst_sel:DWORD dst_unused:UNUSED_PAD src0_sel:BYTE_0 src1_sel:DWORD
	v_or_b32_sdwa v39, v31, v36 dst_sel:WORD_1 dst_unused:UNUSED_PAD src0_sel:BYTE_0 src1_sel:DWORD
	v_or_b32_sdwa v35, v35, v39 dst_sel:DWORD dst_unused:UNUSED_PAD src0_sel:WORD_0 src1_sel:DWORD
	v_lshlrev_b16_e32 v6, 8, v6
	v_lshlrev_b16_e32 v31, 8, v31
	s_waitcnt vmcnt(0)
	v_xor_b32_e32 v28, v28, v35
	v_and_b32_e32 v35, 0xffffff00, v28
	v_sub_i16 v34, v35, v34 clamp
	v_lshlrev_b16_e32 v35, 8, v28
	v_sub_i16 v6, v35, v6 clamp
	v_perm_b32 v6, v6, v34, s20
	v_and_b32_sdwa v34, v28, s19 dst_sel:DWORD dst_unused:UNUSED_PAD src0_sel:WORD_1 src1_sel:DWORD
	v_lshlrev_b16_sdwa v28, v27, v28 dst_sel:DWORD dst_unused:UNUSED_PAD src0_sel:DWORD src1_sel:WORD_1
	v_sub_i16 v34, v34, v36 clamp
	v_sub_i16 v28, v28, v31 clamp
	v_perm_b32 v28, v28, v34, s20
	v_lshl_or_b32 v6, v28, 16, v6
	v_and_b32_e32 v28, 0x80402010, v30
	v_cmp_ne_u16_sdwa s[22:23], v28, v23 src0_sel:BYTE_3 src1_sel:DWORD
	v_cmp_ne_u16_sdwa s[24:25], v28, v23 src0_sel:BYTE_1 src1_sel:DWORD
	v_lshrrev_b32_e32 v30, 22, v30
	v_lshrrev_b16_e32 v28, 4, v28
	v_cndmask_b32_e64 v31, 0, -1, s[24:25]
	v_cndmask_b32_e64 v35, 0, -1, s[22:23]
	v_bfe_i32 v28, v28, 0, 1
	v_lshlrev_b16_e32 v31, 8, v31
	v_bfe_i32 v30, v30, 0, 1
	v_lshlrev_b16_e32 v35, 8, v35
	v_or_b32_sdwa v34, v28, v31 dst_sel:DWORD dst_unused:UNUSED_PAD src0_sel:BYTE_0 src1_sel:DWORD
	v_or_b32_sdwa v36, v30, v35 dst_sel:WORD_1 dst_unused:UNUSED_PAD src0_sel:BYTE_0 src1_sel:DWORD
	v_or_b32_sdwa v34, v34, v36 dst_sel:DWORD dst_unused:UNUSED_PAD src0_sel:WORD_0 src1_sel:DWORD
	v_xor_b32_e32 v29, v29, v34
	v_and_b32_e32 v34, 0xffffff00, v29
	v_sub_i16 v31, v34, v31 clamp
	v_lshlrev_b16_e32 v34, 8, v29
	v_lshlrev_b16_e32 v28, 8, v28
	v_sub_i16 v28, v34, v28 clamp
	v_perm_b32 v28, v28, v31, s20
	v_and_b32_sdwa v31, v29, s19 dst_sel:DWORD dst_unused:UNUSED_PAD src0_sel:WORD_1 src1_sel:DWORD
	v_lshlrev_b16_sdwa v29, v27, v29 dst_sel:DWORD dst_unused:UNUSED_PAD src0_sel:DWORD src1_sel:WORD_1
	v_lshlrev_b16_e32 v30, 8, v30
	v_sub_i16 v31, v31, v35 clamp
	v_sub_i16 v29, v29, v30 clamp
	v_perm_b32 v29, v29, v31, s20
	v_lshl_or_b32 v28, v29, 16, v28
	v_dot4_i32_i8 v29, v6, v7, 0
	v_dot4_i32_i8 v31, v28, v8, v29
	v_lshrrev_b32_e32 v29, 13, v32
	v_and_b32_e32 v29, 0xff8, v29
	global_load_dwordx2 v[29:30], v29, s[12:13]
	v_lshrrev_b32_e32 v34, 25, v32
	v_bcnt_u32_b32 v34, v34, 0
	v_and_b32_e32 v34, 1, v34
	v_alignbit_b32 v32, v34, v32, 25
	v_mul_lo_u32 v32, v32, s17
	v_and_b32_e32 v34, 0x8040201, v32
	v_cmp_ne_u16_sdwa s[22:23], v34, v23 src0_sel:BYTE_3 src1_sel:DWORD
	v_cmp_ne_u16_sdwa s[24:25], v34, v23 src0_sel:BYTE_1 src1_sel:DWORD
	v_lshrrev_b32_e32 v35, 18, v32
	v_cndmask_b32_e64 v36, 0, -1, s[24:25]
	v_cndmask_b32_e64 v40, 0, -1, s[22:23]
	v_bfe_i32 v34, v32, 0, 1
	v_lshlrev_b16_e32 v36, 8, v36
	v_bfe_i32 v35, v35, 0, 1
	v_lshlrev_b16_e32 v40, 8, v40
	v_or_b32_sdwa v39, v34, v36 dst_sel:DWORD dst_unused:UNUSED_PAD src0_sel:BYTE_0 src1_sel:DWORD
	v_or_b32_sdwa v42, v35, v40 dst_sel:WORD_1 dst_unused:UNUSED_PAD src0_sel:BYTE_0 src1_sel:DWORD
	v_or_b32_sdwa v39, v39, v42 dst_sel:DWORD dst_unused:UNUSED_PAD src0_sel:WORD_0 src1_sel:DWORD
	v_lshlrev_b16_e32 v34, 8, v34
	v_lshlrev_b16_e32 v35, 8, v35
	s_waitcnt vmcnt(0)
	v_xor_b32_e32 v29, v29, v39
	v_and_b32_e32 v39, 0xffffff00, v29
	v_sub_i16 v36, v39, v36 clamp
	v_lshlrev_b16_e32 v39, 8, v29
	v_sub_i16 v34, v39, v34 clamp
	v_perm_b32 v34, v34, v36, s20
	v_and_b32_sdwa v36, v29, s19 dst_sel:DWORD dst_unused:UNUSED_PAD src0_sel:WORD_1 src1_sel:DWORD
	v_lshlrev_b16_sdwa v29, v27, v29 dst_sel:DWORD dst_unused:UNUSED_PAD src0_sel:DWORD src1_sel:WORD_1
	v_sub_i16 v36, v36, v40 clamp
	v_sub_i16 v29, v29, v35 clamp
	v_perm_b32 v29, v29, v36, s20
	v_lshl_or_b32 v29, v29, 16, v34
	v_and_b32_e32 v34, 0x80402010, v32
	v_cmp_ne_u16_sdwa s[22:23], v34, v23 src0_sel:BYTE_3 src1_sel:DWORD
	v_cmp_ne_u16_sdwa s[24:25], v34, v23 src0_sel:BYTE_1 src1_sel:DWORD
	v_lshrrev_b32_e32 v32, 22, v32
	v_lshrrev_b16_e32 v34, 4, v34
	v_cndmask_b32_e64 v35, 0, -1, s[24:25]
	v_cndmask_b32_e64 v39, 0, -1, s[22:23]
	v_bfe_i32 v34, v34, 0, 1
	v_lshlrev_b16_e32 v35, 8, v35
	v_bfe_i32 v32, v32, 0, 1
	v_lshlrev_b16_e32 v39, 8, v39
	v_or_b32_sdwa v36, v34, v35 dst_sel:DWORD dst_unused:UNUSED_PAD src0_sel:BYTE_0 src1_sel:DWORD
	v_or_b32_sdwa v40, v32, v39 dst_sel:WORD_1 dst_unused:UNUSED_PAD src0_sel:BYTE_0 src1_sel:DWORD
	v_or_b32_sdwa v36, v36, v40 dst_sel:DWORD dst_unused:UNUSED_PAD src0_sel:WORD_0 src1_sel:DWORD
	v_xor_b32_e32 v30, v30, v36
	v_and_b32_e32 v36, 0xffffff00, v30
	v_sub_i16 v35, v36, v35 clamp
	v_lshlrev_b16_e32 v36, 8, v30
	v_lshlrev_b16_e32 v34, 8, v34
	v_sub_i16 v34, v36, v34 clamp
	v_perm_b32 v34, v34, v35, s20
	v_and_b32_sdwa v35, v30, s19 dst_sel:DWORD dst_unused:UNUSED_PAD src0_sel:WORD_1 src1_sel:DWORD
	v_lshlrev_b16_sdwa v30, v27, v30 dst_sel:DWORD dst_unused:UNUSED_PAD src0_sel:DWORD src1_sel:WORD_1
	v_lshlrev_b16_e32 v32, 8, v32
	v_sub_i16 v35, v35, v39 clamp
	v_sub_i16 v30, v30, v32 clamp
	v_perm_b32 v30, v30, v35, s20
	v_lshl_or_b32 v30, v30, 16, v34
	v_dot4_i32_i8 v31, v29, v9, v31
	v_dot4_i32_i8 v39, v30, v2, v31
	v_and_b32_e32 v31, 0x1ff, v33
	v_lshlrev_b32_e32 v31, 3, v31
	global_load_dwordx2 v[31:32], v31, s[12:13]
	v_bfe_u32 v34, v33, 9, 7
	v_bcnt_u32_b32 v35, v34, 0
	v_and_b32_e32 v35, 1, v35
	v_lshl_or_b32 v34, v35, 7, v34
	v_mul_lo_u32 v34, v34, s17
	v_and_b32_e32 v35, 0x8040201, v34
	v_cmp_ne_u16_sdwa s[22:23], v35, v23 src0_sel:BYTE_3 src1_sel:DWORD
	v_cmp_ne_u16_sdwa s[24:25], v35, v23 src0_sel:BYTE_1 src1_sel:DWORD
	v_lshrrev_b32_e32 v36, 18, v34
	v_cndmask_b32_e64 v40, 0, -1, s[24:25]
	v_cndmask_b32_e64 v43, 0, -1, s[22:23]
	v_bfe_i32 v35, v34, 0, 1
	v_lshlrev_b16_e32 v40, 8, v40
	v_bfe_i32 v36, v36, 0, 1
	v_lshlrev_b16_e32 v43, 8, v43
	v_or_b32_sdwa v42, v35, v40 dst_sel:DWORD dst_unused:UNUSED_PAD src0_sel:BYTE_0 src1_sel:DWORD
	v_or_b32_sdwa v44, v36, v43 dst_sel:WORD_1 dst_unused:UNUSED_PAD src0_sel:BYTE_0 src1_sel:DWORD
	v_or_b32_sdwa v42, v42, v44 dst_sel:DWORD dst_unused:UNUSED_PAD src0_sel:WORD_0 src1_sel:DWORD
	v_lshlrev_b16_e32 v35, 8, v35
	v_lshlrev_b16_e32 v36, 8, v36
	s_waitcnt vmcnt(0)
	v_xor_b32_e32 v31, v31, v42
	v_and_b32_e32 v42, 0xffffff00, v31
	v_sub_i16 v40, v42, v40 clamp
	v_lshlrev_b16_e32 v42, 8, v31
	v_sub_i16 v35, v42, v35 clamp
	v_perm_b32 v35, v35, v40, s20
	v_and_b32_sdwa v40, v31, s19 dst_sel:DWORD dst_unused:UNUSED_PAD src0_sel:WORD_1 src1_sel:DWORD
	v_lshlrev_b16_sdwa v31, v27, v31 dst_sel:DWORD dst_unused:UNUSED_PAD src0_sel:DWORD src1_sel:WORD_1
	v_sub_i16 v40, v40, v43 clamp
	v_sub_i16 v31, v31, v36 clamp
	v_perm_b32 v31, v31, v40, s20
	v_lshl_or_b32 v31, v31, 16, v35
	v_and_b32_e32 v35, 0x80402010, v34
	v_cmp_ne_u16_sdwa s[22:23], v35, v23 src0_sel:BYTE_3 src1_sel:DWORD
	v_cmp_ne_u16_sdwa s[24:25], v35, v23 src0_sel:BYTE_1 src1_sel:DWORD
	v_lshrrev_b32_e32 v34, 22, v34
	v_lshrrev_b16_e32 v35, 4, v35
	v_cndmask_b32_e64 v36, 0, -1, s[24:25]
	v_cndmask_b32_e64 v42, 0, -1, s[22:23]
	v_bfe_i32 v35, v35, 0, 1
	v_lshlrev_b16_e32 v36, 8, v36
	v_bfe_i32 v34, v34, 0, 1
	v_lshlrev_b16_e32 v42, 8, v42
	v_or_b32_sdwa v40, v35, v36 dst_sel:DWORD dst_unused:UNUSED_PAD src0_sel:BYTE_0 src1_sel:DWORD
	v_or_b32_sdwa v43, v34, v42 dst_sel:WORD_1 dst_unused:UNUSED_PAD src0_sel:BYTE_0 src1_sel:DWORD
	v_or_b32_sdwa v40, v40, v43 dst_sel:DWORD dst_unused:UNUSED_PAD src0_sel:WORD_0 src1_sel:DWORD
	v_xor_b32_e32 v32, v32, v40
	v_and_b32_e32 v40, 0xffffff00, v32
	v_sub_i16 v36, v40, v36 clamp
	v_lshlrev_b16_e32 v40, 8, v32
	v_lshlrev_b16_e32 v35, 8, v35
	v_sub_i16 v35, v40, v35 clamp
	v_perm_b32 v35, v35, v36, s20
	v_and_b32_sdwa v36, v32, s19 dst_sel:DWORD dst_unused:UNUSED_PAD src0_sel:WORD_1 src1_sel:DWORD
	v_lshlrev_b16_sdwa v32, v27, v32 dst_sel:DWORD dst_unused:UNUSED_PAD src0_sel:DWORD src1_sel:WORD_1
	v_lshlrev_b16_e32 v34, 8, v34
	v_sub_i16 v36, v36, v42 clamp
	v_sub_i16 v32, v32, v34 clamp
	v_perm_b32 v32, v32, v36, s20
	v_lshl_or_b32 v32, v32, 16, v35
	v_dot4_i32_i8 v34, v31, v3, 0
	v_dot4_i32_i8 v36, v32, v4, v34
	v_lshrrev_b32_e32 v34, 13, v33
	v_and_b32_e32 v34, 0xff8, v34
	global_load_dwordx2 v[34:35], v34, s[12:13]
	v_lshrrev_b32_e32 v40, 25, v33
	v_bcnt_u32_b32 v40, v40, 0
	v_and_b32_e32 v40, 1, v40
	v_alignbit_b32 v33, v40, v33, 25
	v_mul_lo_u32 v40, v33, s17
	v_and_b32_e32 v33, 0x8040201, v40
	v_cmp_ne_u16_sdwa s[22:23], v33, v23 src0_sel:BYTE_3 src1_sel:DWORD
	v_cmp_ne_u16_sdwa s[24:25], v33, v23 src0_sel:BYTE_1 src1_sel:DWORD
	v_lshrrev_b32_e32 v42, 18, v40
	v_cndmask_b32_e64 v43, 0, -1, s[24:25]
	v_cndmask_b32_e64 v45, 0, -1, s[22:23]
	v_bfe_i32 v33, v40, 0, 1
	v_lshlrev_b16_e32 v43, 8, v43
	v_bfe_i32 v42, v42, 0, 1
	v_lshlrev_b16_e32 v45, 8, v45
	v_or_b32_sdwa v44, v33, v43 dst_sel:DWORD dst_unused:UNUSED_PAD src0_sel:BYTE_0 src1_sel:DWORD
	v_or_b32_sdwa v46, v42, v45 dst_sel:WORD_1 dst_unused:UNUSED_PAD src0_sel:BYTE_0 src1_sel:DWORD
	v_or_b32_sdwa v44, v44, v46 dst_sel:DWORD dst_unused:UNUSED_PAD src0_sel:WORD_0 src1_sel:DWORD
	v_lshlrev_b16_e32 v33, 8, v33
	v_lshlrev_b16_e32 v42, 8, v42
	s_waitcnt vmcnt(0)
	v_xor_b32_e32 v34, v34, v44
	v_and_b32_e32 v44, 0xffffff00, v34
	v_sub_i16 v43, v44, v43 clamp
	v_lshlrev_b16_e32 v44, 8, v34
	v_sub_i16 v33, v44, v33 clamp
	v_perm_b32 v33, v33, v43, s20
	v_and_b32_sdwa v43, v34, s19 dst_sel:DWORD dst_unused:UNUSED_PAD src0_sel:WORD_1 src1_sel:DWORD
	v_lshlrev_b16_sdwa v34, v27, v34 dst_sel:DWORD dst_unused:UNUSED_PAD src0_sel:DWORD src1_sel:WORD_1
	v_sub_i16 v43, v43, v45 clamp
	v_sub_i16 v34, v34, v42 clamp
	v_perm_b32 v34, v34, v43, s20
	v_lshl_or_b32 v33, v34, 16, v33
	v_and_b32_e32 v34, 0x80402010, v40
	v_cmp_ne_u16_sdwa s[22:23], v34, v23 src0_sel:BYTE_3 src1_sel:DWORD
	v_cmp_ne_u16_sdwa s[24:25], v34, v23 src0_sel:BYTE_1 src1_sel:DWORD
	v_lshrrev_b32_e32 v40, 22, v40
	v_lshrrev_b16_e32 v34, 4, v34
	v_cndmask_b32_e64 v42, 0, -1, s[24:25]
	v_cndmask_b32_e64 v44, 0, -1, s[22:23]
	v_bfe_i32 v34, v34, 0, 1
	v_lshlrev_b16_e32 v42, 8, v42
	v_bfe_i32 v40, v40, 0, 1
	v_lshlrev_b16_e32 v44, 8, v44
	v_or_b32_sdwa v43, v34, v42 dst_sel:DWORD dst_unused:UNUSED_PAD src0_sel:BYTE_0 src1_sel:DWORD
	v_or_b32_sdwa v45, v40, v44 dst_sel:WORD_1 dst_unused:UNUSED_PAD src0_sel:BYTE_0 src1_sel:DWORD
	v_or_b32_sdwa v43, v43, v45 dst_sel:DWORD dst_unused:UNUSED_PAD src0_sel:WORD_0 src1_sel:DWORD
	v_xor_b32_e32 v35, v35, v43
	v_and_b32_e32 v43, 0xffffff00, v35
	v_sub_i16 v42, v43, v42 clamp
	v_lshlrev_b16_e32 v43, 8, v35
	v_lshlrev_b16_e32 v34, 8, v34
	v_sub_i16 v34, v43, v34 clamp
	v_perm_b32 v34, v34, v42, s20
	v_and_b32_sdwa v42, v35, s19 dst_sel:DWORD dst_unused:UNUSED_PAD src0_sel:WORD_1 src1_sel:DWORD
	v_lshlrev_b16_sdwa v35, v27, v35 dst_sel:DWORD dst_unused:UNUSED_PAD src0_sel:DWORD src1_sel:WORD_1
	v_lshlrev_b16_e32 v40, 8, v40
	v_sub_i16 v42, v42, v44 clamp
	v_sub_i16 v35, v35, v40 clamp
	v_perm_b32 v35, v35, v42, s20
	v_lshl_or_b32 v35, v35, 16, v34
	v_dot4_i32_i8 v34, v33, v5, v36
	v_dot4_i32_i8 v34, v35, v41, v34
	v_lshrrev_b32_e32 v36, 4, v37
	v_and_b32_e32 v37, 15, v37
	v_mul_lo_u32 v40, v39, v37
	v_mul_lo_u32 v42, v34, v36
	v_add_u32_e32 v34, v34, v39
	v_lshrrev_b32_e32 v39, 31, v34
	v_add_u32_e32 v34, v34, v39
	v_ashrrev_i32_e32 v34, 1, v34
	v_add3_u32 v34, v42, v40, v34
	v_ashrrev_i32_e32 v39, 31, v34
	v_lshrrev_b32_e32 v39, 30, v39
	v_add_u32_e32 v34, v34, v39
	v_ashrrev_i32_e32 v39, 2, v34
	v_cvt_f32_f16_e32 v34, v16
	v_cvt_f32_i32_e32 v17, v39
	v_mul_f32_e32 v16, v34, v38
	v_fmac_f32_e32 v21, v16, v17
	v_add_u32_e32 v16, s15, v22
	v_mad_i64_i32 v[16:17], s[22:23], v16, s16, v[14:15]
	v_add_u32_e32 v22, 16, v22
	v_add_co_u32_e32 v39, vcc, v16, v26
	v_addc_co_u32_e32 v40, vcc, 0, v17, vcc
	global_load_dwordx2 v[42:43], v[39:40], off offset:2
	v_add_co_u32_e32 v39, vcc, v16, v24
	v_addc_co_u32_e32 v40, vcc, 0, v17, vcc
	global_load_ubyte v46, v[39:40], off offset:66
	v_add_co_u32_e32 v12, vcc, 0x1200, v12
	global_load_ushort v16, v[16:17], off
	v_addc_co_u32_e32 v13, vcc, 0, v13, vcc
	v_cmp_le_u32_e32 vcc, s9, v22
	s_or_b64 s[0:1], vcc, s[0:1]
	s_waitcnt vmcnt(2)
	v_and_b32_e32 v39, 0x1ff, v42
	v_lshlrev_b32_e32 v39, 3, v39
	global_load_dwordx2 v[39:40], v39, s[12:13]
	v_bfe_u32 v44, v42, 9, 7
	v_bcnt_u32_b32 v45, v44, 0
	v_and_b32_e32 v45, 1, v45
	v_lshl_or_b32 v44, v45, 7, v44
	v_mul_lo_u32 v44, v44, s17
	s_waitcnt vmcnt(1)
	v_cvt_f32_f16_e32 v16, v16
	v_and_b32_e32 v45, 0x8040201, v44
	v_cmp_ne_u16_sdwa s[22:23], v45, v23 src0_sel:BYTE_3 src1_sel:DWORD
	v_cmp_ne_u16_sdwa s[24:25], v45, v23 src0_sel:BYTE_1 src1_sel:DWORD
	v_lshrrev_b32_e32 v47, 18, v44
	v_cndmask_b32_e64 v48, 0, -1, s[24:25]
	v_cndmask_b32_e64 v50, 0, -1, s[22:23]
	v_bfe_i32 v45, v44, 0, 1
	v_lshlrev_b16_e32 v48, 8, v48
	v_bfe_i32 v47, v47, 0, 1
	v_lshlrev_b16_e32 v50, 8, v50
	v_or_b32_sdwa v49, v45, v48 dst_sel:DWORD dst_unused:UNUSED_PAD src0_sel:BYTE_0 src1_sel:DWORD
	v_or_b32_sdwa v51, v47, v50 dst_sel:WORD_1 dst_unused:UNUSED_PAD src0_sel:BYTE_0 src1_sel:DWORD
	v_or_b32_sdwa v49, v49, v51 dst_sel:DWORD dst_unused:UNUSED_PAD src0_sel:WORD_0 src1_sel:DWORD
	v_lshlrev_b16_e32 v45, 8, v45
	v_lshlrev_b16_e32 v47, 8, v47
	v_mul_f32_e32 v17, v16, v38
	s_waitcnt vmcnt(0)
	v_xor_b32_e32 v39, v39, v49
	v_and_b32_e32 v49, 0xffffff00, v39
	v_sub_i16 v48, v49, v48 clamp
	v_lshlrev_b16_e32 v49, 8, v39
	v_sub_i16 v45, v49, v45 clamp
	v_perm_b32 v45, v45, v48, s20
	v_and_b32_sdwa v48, v39, s19 dst_sel:DWORD dst_unused:UNUSED_PAD src0_sel:WORD_1 src1_sel:DWORD
	v_lshlrev_b16_sdwa v39, v27, v39 dst_sel:DWORD dst_unused:UNUSED_PAD src0_sel:DWORD src1_sel:WORD_1
	v_sub_i16 v48, v48, v50 clamp
	v_sub_i16 v39, v39, v47 clamp
	v_perm_b32 v39, v39, v48, s20
	v_lshl_or_b32 v39, v39, 16, v45
	v_and_b32_e32 v45, 0x80402010, v44
	v_cmp_ne_u16_sdwa s[22:23], v45, v23 src0_sel:BYTE_3 src1_sel:DWORD
	v_cmp_ne_u16_sdwa s[24:25], v45, v23 src0_sel:BYTE_1 src1_sel:DWORD
	v_lshrrev_b32_e32 v44, 22, v44
	v_lshrrev_b16_e32 v45, 4, v45
	v_cndmask_b32_e64 v47, 0, -1, s[24:25]
	v_cndmask_b32_e64 v49, 0, -1, s[22:23]
	v_bfe_i32 v45, v45, 0, 1
	v_lshlrev_b16_e32 v47, 8, v47
	v_bfe_i32 v44, v44, 0, 1
	v_lshlrev_b16_e32 v49, 8, v49
	v_or_b32_sdwa v48, v45, v47 dst_sel:DWORD dst_unused:UNUSED_PAD src0_sel:BYTE_0 src1_sel:DWORD
	v_or_b32_sdwa v50, v44, v49 dst_sel:WORD_1 dst_unused:UNUSED_PAD src0_sel:BYTE_0 src1_sel:DWORD
	v_or_b32_sdwa v48, v48, v50 dst_sel:DWORD dst_unused:UNUSED_PAD src0_sel:WORD_0 src1_sel:DWORD
	v_xor_b32_e32 v40, v40, v48
	v_and_b32_e32 v48, 0xffffff00, v40
	v_sub_i16 v47, v48, v47 clamp
	v_lshlrev_b16_e32 v48, 8, v40
	v_lshlrev_b16_e32 v45, 8, v45
	v_sub_i16 v45, v48, v45 clamp
	v_perm_b32 v45, v45, v47, s20
	v_and_b32_sdwa v47, v40, s19 dst_sel:DWORD dst_unused:UNUSED_PAD src0_sel:WORD_1 src1_sel:DWORD
	v_lshlrev_b16_sdwa v40, v27, v40 dst_sel:DWORD dst_unused:UNUSED_PAD src0_sel:DWORD src1_sel:WORD_1
	v_lshlrev_b16_e32 v44, 8, v44
	v_sub_i16 v47, v47, v49 clamp
	v_sub_i16 v40, v40, v44 clamp
	v_perm_b32 v40, v40, v47, s20
	v_lshl_or_b32 v40, v40, 16, v45
	v_dot4_i32_i8 v7, v39, v7, 0
	v_dot4_i32_i8 v44, v40, v8, v7
	v_lshrrev_b32_e32 v7, 13, v42
	v_and_b32_e32 v7, 0xff8, v7
	global_load_dwordx2 v[7:8], v7, s[12:13]
	v_lshrrev_b32_e32 v45, 25, v42
	v_bcnt_u32_b32 v45, v45, 0
	v_and_b32_e32 v45, 1, v45
	v_alignbit_b32 v42, v45, v42, 25
	v_mul_lo_u32 v42, v42, s17
	v_and_b32_e32 v45, 0x8040201, v42
	v_cmp_ne_u16_sdwa s[22:23], v45, v23 src0_sel:BYTE_3 src1_sel:DWORD
	v_cmp_ne_u16_sdwa s[24:25], v45, v23 src0_sel:BYTE_1 src1_sel:DWORD
	v_lshrrev_b32_e32 v47, 18, v42
	v_cndmask_b32_e64 v48, 0, -1, s[24:25]
	v_cndmask_b32_e64 v50, 0, -1, s[22:23]
	v_bfe_i32 v45, v42, 0, 1
	v_lshlrev_b16_e32 v48, 8, v48
	v_bfe_i32 v47, v47, 0, 1
	v_lshlrev_b16_e32 v50, 8, v50
	v_or_b32_sdwa v49, v45, v48 dst_sel:DWORD dst_unused:UNUSED_PAD src0_sel:BYTE_0 src1_sel:DWORD
	v_or_b32_sdwa v51, v47, v50 dst_sel:WORD_1 dst_unused:UNUSED_PAD src0_sel:BYTE_0 src1_sel:DWORD
	v_or_b32_sdwa v49, v49, v51 dst_sel:DWORD dst_unused:UNUSED_PAD src0_sel:WORD_0 src1_sel:DWORD
	v_lshlrev_b16_e32 v45, 8, v45
	v_lshlrev_b16_e32 v47, 8, v47
	s_waitcnt vmcnt(0)
	v_xor_b32_e32 v7, v7, v49
	v_and_b32_e32 v49, 0xffffff00, v7
	v_sub_i16 v48, v49, v48 clamp
	v_lshlrev_b16_e32 v49, 8, v7
	v_sub_i16 v45, v49, v45 clamp
	v_perm_b32 v45, v45, v48, s20
	v_and_b32_sdwa v48, v7, s19 dst_sel:DWORD dst_unused:UNUSED_PAD src0_sel:WORD_1 src1_sel:DWORD
	v_lshlrev_b16_sdwa v7, v27, v7 dst_sel:DWORD dst_unused:UNUSED_PAD src0_sel:DWORD src1_sel:WORD_1
	v_sub_i16 v48, v48, v50 clamp
	v_sub_i16 v7, v7, v47 clamp
	v_perm_b32 v7, v7, v48, s20
	v_lshl_or_b32 v7, v7, 16, v45
	v_and_b32_e32 v45, 0x80402010, v42
	v_cmp_ne_u16_sdwa s[22:23], v45, v23 src0_sel:BYTE_3 src1_sel:DWORD
	v_cmp_ne_u16_sdwa s[24:25], v45, v23 src0_sel:BYTE_1 src1_sel:DWORD
	v_lshrrev_b32_e32 v42, 22, v42
	v_lshrrev_b16_e32 v45, 4, v45
	v_cndmask_b32_e64 v47, 0, -1, s[24:25]
	v_cndmask_b32_e64 v49, 0, -1, s[22:23]
	v_bfe_i32 v45, v45, 0, 1
	v_lshlrev_b16_e32 v47, 8, v47
	v_bfe_i32 v42, v42, 0, 1
	v_lshlrev_b16_e32 v49, 8, v49
	v_or_b32_sdwa v48, v45, v47 dst_sel:DWORD dst_unused:UNUSED_PAD src0_sel:BYTE_0 src1_sel:DWORD
	v_or_b32_sdwa v50, v42, v49 dst_sel:WORD_1 dst_unused:UNUSED_PAD src0_sel:BYTE_0 src1_sel:DWORD
	v_or_b32_sdwa v48, v48, v50 dst_sel:DWORD dst_unused:UNUSED_PAD src0_sel:WORD_0 src1_sel:DWORD
	v_xor_b32_e32 v8, v8, v48
	v_and_b32_e32 v48, 0xffffff00, v8
	v_sub_i16 v47, v48, v47 clamp
	v_lshlrev_b16_e32 v48, 8, v8
	v_lshlrev_b16_e32 v45, 8, v45
	v_sub_i16 v45, v48, v45 clamp
	v_perm_b32 v45, v45, v47, s20
	v_and_b32_sdwa v47, v8, s19 dst_sel:DWORD dst_unused:UNUSED_PAD src0_sel:WORD_1 src1_sel:DWORD
	v_lshlrev_b16_sdwa v8, v27, v8 dst_sel:DWORD dst_unused:UNUSED_PAD src0_sel:DWORD src1_sel:WORD_1
	v_lshlrev_b16_e32 v42, 8, v42
	v_sub_i16 v47, v47, v49 clamp
	v_sub_i16 v8, v8, v42 clamp
	v_perm_b32 v8, v8, v47, s20
	v_lshl_or_b32 v8, v8, 16, v45
	v_dot4_i32_i8 v9, v7, v9, v44
	v_dot4_i32_i8 v42, v8, v2, v9
	v_and_b32_e32 v2, 0x1ff, v43
	v_lshlrev_b32_e32 v2, 3, v2
	global_load_dwordx2 v[44:45], v2, s[12:13]
	v_bfe_u32 v2, v43, 9, 7
	v_bcnt_u32_b32 v9, v2, 0
	v_and_b32_e32 v9, 1, v9
	v_lshl_or_b32 v2, v9, 7, v2
	v_mul_lo_u32 v9, v2, s17
	v_and_b32_e32 v2, 0x8040201, v9
	v_cmp_ne_u16_sdwa s[22:23], v2, v23 src0_sel:BYTE_3 src1_sel:DWORD
	v_cmp_ne_u16_sdwa s[24:25], v2, v23 src0_sel:BYTE_1 src1_sel:DWORD
	v_lshrrev_b32_e32 v47, 18, v9
	v_cndmask_b32_e64 v48, 0, -1, s[24:25]
	v_cndmask_b32_e64 v50, 0, -1, s[22:23]
	v_bfe_i32 v2, v9, 0, 1
	v_lshlrev_b16_e32 v48, 8, v48
	v_bfe_i32 v47, v47, 0, 1
	v_lshlrev_b16_e32 v50, 8, v50
	v_or_b32_sdwa v49, v2, v48 dst_sel:DWORD dst_unused:UNUSED_PAD src0_sel:BYTE_0 src1_sel:DWORD
	v_or_b32_sdwa v51, v47, v50 dst_sel:WORD_1 dst_unused:UNUSED_PAD src0_sel:BYTE_0 src1_sel:DWORD
	v_or_b32_sdwa v49, v49, v51 dst_sel:DWORD dst_unused:UNUSED_PAD src0_sel:WORD_0 src1_sel:DWORD
	v_lshlrev_b16_e32 v2, 8, v2
	v_lshlrev_b16_e32 v47, 8, v47
	s_waitcnt vmcnt(0)
	v_xor_b32_e32 v44, v44, v49
	v_and_b32_e32 v49, 0xffffff00, v44
	v_sub_i16 v48, v49, v48 clamp
	v_lshlrev_b16_e32 v49, 8, v44
	v_sub_i16 v2, v49, v2 clamp
	v_perm_b32 v2, v2, v48, s20
	v_and_b32_sdwa v48, v44, s19 dst_sel:DWORD dst_unused:UNUSED_PAD src0_sel:WORD_1 src1_sel:DWORD
	v_lshlrev_b16_sdwa v44, v27, v44 dst_sel:DWORD dst_unused:UNUSED_PAD src0_sel:DWORD src1_sel:WORD_1
	v_sub_i16 v48, v48, v50 clamp
	v_sub_i16 v44, v44, v47 clamp
	v_perm_b32 v44, v44, v48, s20
	v_lshl_or_b32 v2, v44, 16, v2
	v_and_b32_e32 v44, 0x80402010, v9
	v_cmp_ne_u16_sdwa s[22:23], v44, v23 src0_sel:BYTE_3 src1_sel:DWORD
	v_cmp_ne_u16_sdwa s[24:25], v44, v23 src0_sel:BYTE_1 src1_sel:DWORD
	v_lshrrev_b32_e32 v9, 22, v9
	v_lshrrev_b16_e32 v44, 4, v44
	v_cndmask_b32_e64 v47, 0, -1, s[24:25]
	v_cndmask_b32_e64 v49, 0, -1, s[22:23]
	v_bfe_i32 v44, v44, 0, 1
	v_lshlrev_b16_e32 v47, 8, v47
	v_bfe_i32 v9, v9, 0, 1
	v_lshlrev_b16_e32 v49, 8, v49
	v_or_b32_sdwa v48, v44, v47 dst_sel:DWORD dst_unused:UNUSED_PAD src0_sel:BYTE_0 src1_sel:DWORD
	v_or_b32_sdwa v50, v9, v49 dst_sel:WORD_1 dst_unused:UNUSED_PAD src0_sel:BYTE_0 src1_sel:DWORD
	v_or_b32_sdwa v48, v48, v50 dst_sel:DWORD dst_unused:UNUSED_PAD src0_sel:WORD_0 src1_sel:DWORD
	v_xor_b32_e32 v45, v45, v48
	v_and_b32_e32 v48, 0xffffff00, v45
	v_sub_i16 v47, v48, v47 clamp
	v_lshlrev_b16_e32 v48, 8, v45
	v_lshlrev_b16_e32 v44, 8, v44
	v_sub_i16 v44, v48, v44 clamp
	v_perm_b32 v44, v44, v47, s20
	v_and_b32_sdwa v47, v45, s19 dst_sel:DWORD dst_unused:UNUSED_PAD src0_sel:WORD_1 src1_sel:DWORD
	v_lshlrev_b16_sdwa v45, v27, v45 dst_sel:DWORD dst_unused:UNUSED_PAD src0_sel:DWORD src1_sel:WORD_1
	v_lshlrev_b16_e32 v9, 8, v9
	v_sub_i16 v47, v47, v49 clamp
	v_sub_i16 v9, v45, v9 clamp
	v_perm_b32 v9, v9, v47, s20
	v_lshl_or_b32 v9, v9, 16, v44
	v_dot4_i32_i8 v3, v2, v3, 0
	v_dot4_i32_i8 v44, v9, v4, v3
	v_lshrrev_b32_e32 v3, 13, v43
	v_and_b32_e32 v3, 0xff8, v3
	global_load_dwordx2 v[3:4], v3, s[12:13]
	v_lshrrev_b32_e32 v45, 25, v43
	v_bcnt_u32_b32 v45, v45, 0
	v_and_b32_e32 v45, 1, v45
	v_alignbit_b32 v43, v45, v43, 25
	v_mul_lo_u32 v43, v43, s17
	v_and_b32_e32 v45, 0x8040201, v43
	v_cmp_ne_u16_sdwa s[12:13], v45, v23 src0_sel:BYTE_3 src1_sel:DWORD
	v_cmp_ne_u16_sdwa s[22:23], v45, v23 src0_sel:BYTE_1 src1_sel:DWORD
	v_lshrrev_b32_e32 v47, 18, v43
	v_cndmask_b32_e64 v48, 0, -1, s[22:23]
	v_cndmask_b32_e64 v50, 0, -1, s[12:13]
	v_bfe_i32 v45, v43, 0, 1
	v_lshlrev_b16_e32 v48, 8, v48
	v_bfe_i32 v47, v47, 0, 1
	v_lshlrev_b16_e32 v50, 8, v50
	v_or_b32_sdwa v49, v45, v48 dst_sel:DWORD dst_unused:UNUSED_PAD src0_sel:BYTE_0 src1_sel:DWORD
	v_or_b32_sdwa v51, v47, v50 dst_sel:WORD_1 dst_unused:UNUSED_PAD src0_sel:BYTE_0 src1_sel:DWORD
	v_or_b32_sdwa v49, v49, v51 dst_sel:DWORD dst_unused:UNUSED_PAD src0_sel:WORD_0 src1_sel:DWORD
	v_lshlrev_b16_e32 v45, 8, v45
	v_lshlrev_b16_e32 v47, 8, v47
	s_waitcnt vmcnt(0)
	v_xor_b32_e32 v3, v3, v49
	v_and_b32_e32 v49, 0xffffff00, v3
	v_sub_i16 v48, v49, v48 clamp
	v_lshlrev_b16_e32 v49, 8, v3
	v_sub_i16 v45, v49, v45 clamp
	v_perm_b32 v45, v45, v48, s20
	v_and_b32_sdwa v48, v3, s19 dst_sel:DWORD dst_unused:UNUSED_PAD src0_sel:WORD_1 src1_sel:DWORD
	v_lshlrev_b16_sdwa v3, v27, v3 dst_sel:DWORD dst_unused:UNUSED_PAD src0_sel:DWORD src1_sel:WORD_1
	v_sub_i16 v48, v48, v50 clamp
	v_sub_i16 v3, v3, v47 clamp
	v_perm_b32 v3, v3, v48, s20
	v_lshl_or_b32 v3, v3, 16, v45
	v_and_b32_e32 v45, 0x80402010, v43
	v_cmp_ne_u16_sdwa s[12:13], v45, v23 src0_sel:BYTE_3 src1_sel:DWORD
	v_cmp_ne_u16_sdwa s[22:23], v45, v23 src0_sel:BYTE_1 src1_sel:DWORD
	v_lshrrev_b32_e32 v43, 22, v43
	v_lshrrev_b16_e32 v45, 4, v45
	v_cndmask_b32_e64 v47, 0, -1, s[22:23]
	v_cndmask_b32_e64 v49, 0, -1, s[12:13]
	v_bfe_i32 v45, v45, 0, 1
	v_lshlrev_b16_e32 v47, 8, v47
	v_bfe_i32 v43, v43, 0, 1
	v_lshlrev_b16_e32 v49, 8, v49
	v_or_b32_sdwa v48, v45, v47 dst_sel:DWORD dst_unused:UNUSED_PAD src0_sel:BYTE_0 src1_sel:DWORD
	v_or_b32_sdwa v50, v43, v49 dst_sel:WORD_1 dst_unused:UNUSED_PAD src0_sel:BYTE_0 src1_sel:DWORD
	v_or_b32_sdwa v48, v48, v50 dst_sel:DWORD dst_unused:UNUSED_PAD src0_sel:WORD_0 src1_sel:DWORD
	v_xor_b32_e32 v4, v4, v48
	v_and_b32_e32 v48, 0xffffff00, v4
	v_sub_i16 v47, v48, v47 clamp
	v_lshlrev_b16_e32 v48, 8, v4
	v_lshlrev_b16_e32 v45, 8, v45
	v_sub_i16 v45, v48, v45 clamp
	v_perm_b32 v45, v45, v47, s20
	v_and_b32_sdwa v47, v4, s19 dst_sel:DWORD dst_unused:UNUSED_PAD src0_sel:WORD_1 src1_sel:DWORD
	v_lshlrev_b16_sdwa v4, v27, v4 dst_sel:DWORD dst_unused:UNUSED_PAD src0_sel:DWORD src1_sel:WORD_1
	v_lshlrev_b16_e32 v43, 8, v43
	v_sub_i16 v47, v47, v49 clamp
	v_sub_i16 v4, v4, v43 clamp
	v_perm_b32 v4, v4, v47, s20
	v_lshl_or_b32 v4, v4, 16, v45
	v_dot4_i32_i8 v5, v3, v5, v44
	v_dot4_i32_i8 v43, v4, v41, v5
	v_lshrrev_b32_e32 v5, 4, v46
	v_and_b32_e32 v41, 15, v46
	v_mul_lo_u32 v44, v42, v41
	v_mul_lo_u32 v45, v43, v5
	v_add_u32_e32 v42, v43, v42
	v_lshrrev_b32_e32 v43, 31, v42
	v_add_u32_e32 v42, v42, v43
	v_ashrrev_i32_e32 v42, 1, v42
	v_add3_u32 v42, v45, v44, v42
	v_ashrrev_i32_e32 v43, 31, v42
	v_lshrrev_b32_e32 v43, 30, v43
	v_add_u32_e32 v42, v42, v43
	v_ashrrev_i32_e32 v42, 2, v42
	v_cvt_f32_i32_e32 v38, v42
	v_mad_u64_u32 v[50:51], s[12:13], v25, 36, v[10:11]
	v_add_u32_e32 v25, 0x80, v25
	v_fmac_f32_e32 v20, v17, v38
	global_load_dword v17, v[50:51], off offset:32
	global_load_dwordx4 v[42:45], v[50:51], off offset:16
	global_load_dwordx4 v[46:49], v[50:51], off
	s_waitcnt vmcnt(1)
	v_dot4_i32_i8 v2, v2, v43, 0
	s_waitcnt vmcnt(0)
	v_dot4_i32_i8 v6, v6, v47, 0
	v_dot4_i32_i8 v6, v28, v48, v6
	;; [unrolled: 1-line block ×8, first 2 shown]
	v_mul_lo_u32 v29, v6, v37
	v_mul_lo_u32 v30, v28, v36
	v_add_u32_e32 v6, v28, v6
	v_lshrrev_b32_e32 v28, 31, v6
	v_add_u32_e32 v6, v6, v28
	v_ashrrev_i32_e32 v6, 1, v6
	v_add3_u32 v6, v30, v29, v6
	v_ashrrev_i32_e32 v28, 31, v6
	v_lshrrev_b32_e32 v28, 30, v28
	v_add_u32_e32 v6, v6, v28
	v_cvt_f32_f16_e32 v38, v46
	v_ashrrev_i32_e32 v6, 2, v6
	v_cvt_f32_i32_e32 v6, v6
	v_dot4_i32_i8 v2, v9, v44, v2
	v_mul_f32_e32 v28, v34, v38
	v_dot4_i32_i8 v2, v3, v45, v2
	v_fmac_f32_e32 v19, v28, v6
	v_dot4_i32_i8 v6, v39, v47, 0
	v_dot4_i32_i8 v6, v40, v48, v6
	;; [unrolled: 1-line block ×5, first 2 shown]
	v_mul_lo_u32 v3, v6, v41
	v_mul_lo_u32 v4, v2, v5
	v_add_u32_e32 v2, v2, v6
	v_lshrrev_b32_e32 v5, 31, v2
	v_add_u32_e32 v2, v2, v5
	v_ashrrev_i32_e32 v2, 1, v2
	v_add3_u32 v2, v4, v3, v2
	v_ashrrev_i32_e32 v3, 31, v2
	v_lshrrev_b32_e32 v3, 30, v3
	v_add_u32_e32 v2, v2, v3
	v_ashrrev_i32_e32 v2, 2, v2
	v_cvt_f32_i32_e32 v2, v2
	v_mul_f32_e32 v3, v16, v38
	v_fmac_f32_e32 v18, v3, v2
	s_andn2_b64 exec, exec, s[0:1]
	s_cbranch_execnz .LBB173_2
; %bb.3:
	s_or_b64 exec, exec, s[0:1]
.LBB173_4:
	s_or_b64 exec, exec, s[10:11]
	v_cmp_eq_u32_e32 vcc, 0, v1
	v_cmp_ne_u32_e64 s[0:1], 0, v1
	v_lshlrev_b32_e32 v2, 2, v0
	s_and_saveexec_b64 s[10:11], s[0:1]
	s_cbranch_execz .LBB173_6
; %bb.5:
	v_lshl_or_b32 v1, v1, 10, v2
	v_add_u32_e32 v1, 0xfffffc00, v1
	ds_write2st64_b32 v1, v21, v20 offset1:1
	ds_write2st64_b32 v1, v19, v18 offset0:2 offset1:3
.LBB173_6:
	s_or_b64 exec, exec, s[10:11]
	s_waitcnt lgkmcnt(0)
	s_barrier
	s_and_saveexec_b64 s[0:1], vcc
	s_cbranch_execz .LBB173_11
; %bb.7:
	v_mbcnt_lo_u32_b32 v1, -1, 0
	v_mbcnt_hi_u32_b32 v7, -1, v1
	ds_read2st64_b32 v[5:6], v2 offset1:1
	v_and_b32_e32 v1, 64, v7
	v_add_u32_e32 v8, 64, v1
	v_xor_b32_e32 v1, 32, v7
	v_cmp_lt_i32_e32 vcc, v1, v8
	v_cndmask_b32_e32 v1, v7, v1, vcc
	v_lshlrev_b32_e32 v1, 2, v1
	s_waitcnt lgkmcnt(0)
	v_add_f32_e32 v10, v5, v21
	v_add_f32_e32 v6, v6, v20
	ds_bpermute_b32 v11, v1, v10
	ds_bpermute_b32 v12, v1, v6
	v_xor_b32_e32 v3, 16, v7
	v_cmp_lt_i32_e32 vcc, v3, v8
	v_cndmask_b32_e32 v3, v7, v3, vcc
	v_lshlrev_b32_e32 v3, 2, v3
	s_waitcnt lgkmcnt(1)
	v_add_f32_e32 v10, v10, v11
	s_waitcnt lgkmcnt(0)
	v_add_f32_e32 v6, v6, v12
	ds_bpermute_b32 v11, v3, v10
	ds_bpermute_b32 v12, v3, v6
	v_xor_b32_e32 v4, 8, v7
	v_cmp_lt_i32_e32 vcc, v4, v8
	v_cndmask_b32_e32 v4, v7, v4, vcc
	v_lshlrev_b32_e32 v4, 2, v4
	s_waitcnt lgkmcnt(1)
	v_add_f32_e32 v10, v10, v11
	s_waitcnt lgkmcnt(0)
	;; [unrolled: 10-line block ×3, first 2 shown]
	v_add_f32_e32 v12, v12, v13
	ds_bpermute_b32 v11, v5, v10
	ds_bpermute_b32 v13, v5, v12
	v_xor_b32_e32 v9, 2, v7
	v_cmp_lt_i32_e32 vcc, v9, v8
	v_cndmask_b32_e32 v9, v7, v9, vcc
	v_lshlrev_b32_e32 v6, 2, v9
	v_xor_b32_e32 v9, 1, v7
	v_cmp_lt_i32_e32 vcc, v9, v8
	s_waitcnt lgkmcnt(1)
	v_add_f32_e32 v8, v10, v11
	s_waitcnt lgkmcnt(0)
	v_add_f32_e32 v11, v12, v13
	ds_bpermute_b32 v10, v6, v8
	ds_bpermute_b32 v12, v6, v11
	s_load_dwordx2 s[0:1], s[4:5], 0x38
	v_cndmask_b32_e32 v7, v7, v9, vcc
	s_mul_i32 s4, s14, s7
	v_lshlrev_b32_e32 v9, 2, v7
	s_waitcnt lgkmcnt(0)
	v_add_f32_e32 v7, v8, v10
	v_add_f32_e32 v10, v11, v12
	s_mul_i32 s3, s18, s8
	s_add_i32 s4, s4, s6
	ds_bpermute_b32 v8, v9, v7
	ds_bpermute_b32 v11, v9, v10
	s_add_i32 s4, s4, s3
	s_mov_b32 s5, 0
	s_lshl_b64 s[4:5], s[4:5], 2
	s_add_u32 s4, s0, s4
	v_add_u32_e32 v12, s6, v0
	s_addc_u32 s5, s1, s5
	v_cmp_gt_u32_e32 vcc, 2, v0
	v_cmp_gt_u32_e64 s[0:1], s2, v12
	s_and_b64 s[0:1], vcc, s[0:1]
	s_waitcnt lgkmcnt(1)
	v_add_f32_e32 v7, v7, v8
	s_waitcnt lgkmcnt(0)
	v_add_f32_e32 v8, v10, v11
	s_and_saveexec_b64 s[6:7], s[0:1]
	s_cbranch_execz .LBB173_9
; %bb.8:
	v_cmp_eq_u32_e32 vcc, 1, v0
	v_cndmask_b32_e32 v10, v7, v8, vcc
	v_cmp_eq_u32_e32 vcc, 2, v0
	v_cndmask_b32_e32 v10, v10, v19, vcc
	;; [unrolled: 2-line block ×3, first 2 shown]
	global_store_dword v2, v10, s[4:5]
.LBB173_9:
	s_or_b64 exec, exec, s[6:7]
	ds_read2st64_b32 v[10:11], v2 offset0:2 offset1:3
	s_waitcnt lgkmcnt(0)
	v_add_f32_e32 v2, v10, v19
	v_add_f32_e32 v10, v11, v18
	ds_bpermute_b32 v11, v1, v2
	ds_bpermute_b32 v1, v1, v10
	s_waitcnt lgkmcnt(1)
	v_add_f32_e32 v2, v2, v11
	s_waitcnt lgkmcnt(0)
	v_add_f32_e32 v1, v10, v1
	ds_bpermute_b32 v10, v3, v2
	ds_bpermute_b32 v3, v3, v1
	s_waitcnt lgkmcnt(1)
	v_add_f32_e32 v2, v2, v10
	s_waitcnt lgkmcnt(0)
	;; [unrolled: 6-line block ×5, first 2 shown]
	v_add_f32_e32 v2, v3, v4
	ds_bpermute_b32 v3, v9, v1
	ds_bpermute_b32 v4, v9, v2
	s_and_b64 exec, exec, s[0:1]
	s_cbranch_execz .LBB173_11
; %bb.10:
	s_waitcnt lgkmcnt(1)
	v_add_f32_e32 v1, v1, v3
	v_add_u32_e32 v3, 2, v0
	v_cmp_eq_u32_e32 vcc, 1, v3
	s_waitcnt lgkmcnt(0)
	v_add_f32_e32 v2, v2, v4
	v_cndmask_b32_e32 v4, v7, v8, vcc
	v_cmp_eq_u32_e32 vcc, 2, v3
	v_cndmask_b32_e32 v1, v4, v1, vcc
	v_cmp_eq_u32_e32 vcc, 3, v3
	v_cndmask_b32_e32 v2, v1, v2, vcc
	v_add_u32_e32 v0, s2, v0
	v_mov_b32_e32 v1, 0
	v_lshlrev_b64 v[0:1], 2, v[0:1]
	v_mov_b32_e32 v3, s5
	v_add_co_u32_e32 v0, vcc, s4, v0
	v_addc_co_u32_e32 v1, vcc, v3, v1, vcc
	global_store_dword v[0:1], v2, off
.LBB173_11:
	s_endpgm
	.section	.rodata,"a",@progbits
	.p2align	6, 0x0
	.amdhsa_kernel _ZL13mul_mat_vec_qIL9ggml_type17ELi2ELb0ELb0EEvPKvS2_PKi31ggml_cuda_mm_fusion_args_devicePfj15HIP_vector_typeIjLj3EEjjjS8_jjjS8_jjjj
		.amdhsa_group_segment_fixed_size 1024
		.amdhsa_private_segment_fixed_size 0
		.amdhsa_kernarg_size 144
		.amdhsa_user_sgpr_count 6
		.amdhsa_user_sgpr_private_segment_buffer 1
		.amdhsa_user_sgpr_dispatch_ptr 0
		.amdhsa_user_sgpr_queue_ptr 0
		.amdhsa_user_sgpr_kernarg_segment_ptr 1
		.amdhsa_user_sgpr_dispatch_id 0
		.amdhsa_user_sgpr_flat_scratch_init 0
		.amdhsa_user_sgpr_private_segment_size 0
		.amdhsa_uses_dynamic_stack 0
		.amdhsa_system_sgpr_private_segment_wavefront_offset 0
		.amdhsa_system_sgpr_workgroup_id_x 1
		.amdhsa_system_sgpr_workgroup_id_y 1
		.amdhsa_system_sgpr_workgroup_id_z 1
		.amdhsa_system_sgpr_workgroup_info 0
		.amdhsa_system_vgpr_workitem_id 1
		.amdhsa_next_free_vgpr 52
		.amdhsa_next_free_sgpr 26
		.amdhsa_reserve_vcc 1
		.amdhsa_reserve_flat_scratch 0
		.amdhsa_float_round_mode_32 0
		.amdhsa_float_round_mode_16_64 0
		.amdhsa_float_denorm_mode_32 3
		.amdhsa_float_denorm_mode_16_64 3
		.amdhsa_dx10_clamp 1
		.amdhsa_ieee_mode 1
		.amdhsa_fp16_overflow 0
		.amdhsa_exception_fp_ieee_invalid_op 0
		.amdhsa_exception_fp_denorm_src 0
		.amdhsa_exception_fp_ieee_div_zero 0
		.amdhsa_exception_fp_ieee_overflow 0
		.amdhsa_exception_fp_ieee_underflow 0
		.amdhsa_exception_fp_ieee_inexact 0
		.amdhsa_exception_int_div_zero 0
	.end_amdhsa_kernel
	.section	.text._ZL13mul_mat_vec_qIL9ggml_type17ELi2ELb0ELb0EEvPKvS2_PKi31ggml_cuda_mm_fusion_args_devicePfj15HIP_vector_typeIjLj3EEjjjS8_jjjS8_jjjj,"axG",@progbits,_ZL13mul_mat_vec_qIL9ggml_type17ELi2ELb0ELb0EEvPKvS2_PKi31ggml_cuda_mm_fusion_args_devicePfj15HIP_vector_typeIjLj3EEjjjS8_jjjS8_jjjj,comdat
.Lfunc_end173:
	.size	_ZL13mul_mat_vec_qIL9ggml_type17ELi2ELb0ELb0EEvPKvS2_PKi31ggml_cuda_mm_fusion_args_devicePfj15HIP_vector_typeIjLj3EEjjjS8_jjjS8_jjjj, .Lfunc_end173-_ZL13mul_mat_vec_qIL9ggml_type17ELi2ELb0ELb0EEvPKvS2_PKi31ggml_cuda_mm_fusion_args_devicePfj15HIP_vector_typeIjLj3EEjjjS8_jjjS8_jjjj
                                        ; -- End function
	.set _ZL13mul_mat_vec_qIL9ggml_type17ELi2ELb0ELb0EEvPKvS2_PKi31ggml_cuda_mm_fusion_args_devicePfj15HIP_vector_typeIjLj3EEjjjS8_jjjS8_jjjj.num_vgpr, 52
	.set _ZL13mul_mat_vec_qIL9ggml_type17ELi2ELb0ELb0EEvPKvS2_PKi31ggml_cuda_mm_fusion_args_devicePfj15HIP_vector_typeIjLj3EEjjjS8_jjjS8_jjjj.num_agpr, 0
	.set _ZL13mul_mat_vec_qIL9ggml_type17ELi2ELb0ELb0EEvPKvS2_PKi31ggml_cuda_mm_fusion_args_devicePfj15HIP_vector_typeIjLj3EEjjjS8_jjjS8_jjjj.numbered_sgpr, 26
	.set _ZL13mul_mat_vec_qIL9ggml_type17ELi2ELb0ELb0EEvPKvS2_PKi31ggml_cuda_mm_fusion_args_devicePfj15HIP_vector_typeIjLj3EEjjjS8_jjjS8_jjjj.num_named_barrier, 0
	.set _ZL13mul_mat_vec_qIL9ggml_type17ELi2ELb0ELb0EEvPKvS2_PKi31ggml_cuda_mm_fusion_args_devicePfj15HIP_vector_typeIjLj3EEjjjS8_jjjS8_jjjj.private_seg_size, 0
	.set _ZL13mul_mat_vec_qIL9ggml_type17ELi2ELb0ELb0EEvPKvS2_PKi31ggml_cuda_mm_fusion_args_devicePfj15HIP_vector_typeIjLj3EEjjjS8_jjjS8_jjjj.uses_vcc, 1
	.set _ZL13mul_mat_vec_qIL9ggml_type17ELi2ELb0ELb0EEvPKvS2_PKi31ggml_cuda_mm_fusion_args_devicePfj15HIP_vector_typeIjLj3EEjjjS8_jjjS8_jjjj.uses_flat_scratch, 0
	.set _ZL13mul_mat_vec_qIL9ggml_type17ELi2ELb0ELb0EEvPKvS2_PKi31ggml_cuda_mm_fusion_args_devicePfj15HIP_vector_typeIjLj3EEjjjS8_jjjS8_jjjj.has_dyn_sized_stack, 0
	.set _ZL13mul_mat_vec_qIL9ggml_type17ELi2ELb0ELb0EEvPKvS2_PKi31ggml_cuda_mm_fusion_args_devicePfj15HIP_vector_typeIjLj3EEjjjS8_jjjS8_jjjj.has_recursion, 0
	.set _ZL13mul_mat_vec_qIL9ggml_type17ELi2ELb0ELb0EEvPKvS2_PKi31ggml_cuda_mm_fusion_args_devicePfj15HIP_vector_typeIjLj3EEjjjS8_jjjS8_jjjj.has_indirect_call, 0
	.section	.AMDGPU.csdata,"",@progbits
; Kernel info:
; codeLenInByte = 5472
; TotalNumSgprs: 30
; NumVgprs: 52
; ScratchSize: 0
; MemoryBound: 0
; FloatMode: 240
; IeeeMode: 1
; LDSByteSize: 1024 bytes/workgroup (compile time only)
; SGPRBlocks: 3
; VGPRBlocks: 12
; NumSGPRsForWavesPerEU: 30
; NumVGPRsForWavesPerEU: 52
; Occupancy: 4
; WaveLimiterHint : 0
; COMPUTE_PGM_RSRC2:SCRATCH_EN: 0
; COMPUTE_PGM_RSRC2:USER_SGPR: 6
; COMPUTE_PGM_RSRC2:TRAP_HANDLER: 0
; COMPUTE_PGM_RSRC2:TGID_X_EN: 1
; COMPUTE_PGM_RSRC2:TGID_Y_EN: 1
; COMPUTE_PGM_RSRC2:TGID_Z_EN: 1
; COMPUTE_PGM_RSRC2:TIDIG_COMP_CNT: 1
	.section	.text._ZL13mul_mat_vec_qIL9ggml_type17ELi3ELb0ELb0EEvPKvS2_PKi31ggml_cuda_mm_fusion_args_devicePfj15HIP_vector_typeIjLj3EEjjjS8_jjjS8_jjjj,"axG",@progbits,_ZL13mul_mat_vec_qIL9ggml_type17ELi3ELb0ELb0EEvPKvS2_PKi31ggml_cuda_mm_fusion_args_devicePfj15HIP_vector_typeIjLj3EEjjjS8_jjjS8_jjjj,comdat
	.globl	_ZL13mul_mat_vec_qIL9ggml_type17ELi3ELb0ELb0EEvPKvS2_PKi31ggml_cuda_mm_fusion_args_devicePfj15HIP_vector_typeIjLj3EEjjjS8_jjjS8_jjjj ; -- Begin function _ZL13mul_mat_vec_qIL9ggml_type17ELi3ELb0ELb0EEvPKvS2_PKi31ggml_cuda_mm_fusion_args_devicePfj15HIP_vector_typeIjLj3EEjjjS8_jjjS8_jjjj
	.p2align	8
	.type	_ZL13mul_mat_vec_qIL9ggml_type17ELi3ELb0ELb0EEvPKvS2_PKi31ggml_cuda_mm_fusion_args_devicePfj15HIP_vector_typeIjLj3EEjjjS8_jjjS8_jjjj,@function
_ZL13mul_mat_vec_qIL9ggml_type17ELi3ELb0ELb0EEvPKvS2_PKi31ggml_cuda_mm_fusion_args_devicePfj15HIP_vector_typeIjLj3EEjjjS8_jjjS8_jjjj: ; @_ZL13mul_mat_vec_qIL9ggml_type17ELi3ELb0ELb0EEvPKvS2_PKi31ggml_cuda_mm_fusion_args_devicePfj15HIP_vector_typeIjLj3EEjjjS8_jjjS8_jjjj
; %bb.0:
	s_load_dword s9, s[4:5], 0x40
	s_load_dwordx4 s[0:3], s[4:5], 0x50
	s_load_dword s25, s[4:5], 0x60
	s_load_dwordx4 s[12:15], s[4:5], 0x68
	;; [unrolled: 2-line block ×3, first 2 shown]
	v_lshl_add_u32 v2, v1, 6, v0
	s_waitcnt lgkmcnt(0)
	s_lshr_b32 s9, s9, 8
	v_lshrrev_b32_e32 v24, 3, v2
	v_mov_b32_e32 v19, 0
	s_lshl_b32 s6, s6, 1
	v_cmp_gt_u32_e32 vcc, s9, v24
	v_mov_b32_e32 v20, v19
	v_mov_b32_e32 v21, v19
	;; [unrolled: 1-line block ×5, first 2 shown]
	s_and_saveexec_b64 s[10:11], vcc
	s_cbranch_execz .LBB174_4
; %bb.1:
	s_mul_hi_u32 s3, s3, s7
	s_add_i32 s3, s7, s3
	s_load_dwordx4 s[20:23], s[4:5], 0x0
	s_lshr_b32 s3, s3, s25
	s_mul_i32 s3, s3, s12
	s_mul_hi_u32 s12, s15, s8
	s_add_i32 s12, s8, s12
	s_lshr_b32 s12, s12, s24
	s_mul_i32 s19, s17, s8
	s_mul_i32 s15, s12, s16
	;; [unrolled: 1-line block ×3, first 2 shown]
	s_mul_hi_u32 s12, s19, 36
	s_waitcnt lgkmcnt(0)
	s_add_u32 s16, s22, s16
	s_addc_u32 s17, s23, s12
	s_mul_i32 s12, s13, s7
	s_mul_hi_u32 s13, s12, 36
	s_mul_i32 s12, s12, 36
	s_add_u32 s16, s16, s12
	v_lshlrev_b32_e32 v2, 1, v0
	s_addc_u32 s17, s17, s13
	v_and_b32_e32 v2, 14, v2
	v_and_b32_e32 v26, 7, v0
	v_lshlrev_b32_e32 v4, 1, v2
	v_mad_u64_u32 v[10:11], s[16:17], v26, 36, s[16:17]
	v_mov_b32_e32 v2, s12
	s_movk_i32 s17, 0x120
	v_mov_b32_e32 v3, s13
	v_mad_u64_u32 v[2:3], s[12:13], v24, s17, v[2:3]
	v_lshlrev_b32_e32 v5, 3, v24
	v_add_u32_e32 v27, s1, v5
	v_mad_u64_u32 v[2:3], s[12:13], s19, 36, v[2:3]
	v_lshl_add_u32 v28, s1, 1, v5
	v_mov_b32_e32 v5, s23
	v_mad_u64_u32 v[2:3], s[12:13], v26, 36, v[2:3]
	s_add_i32 s16, s6, 1
	s_add_i32 s15, s15, s3
	v_add_co_u32_e32 v2, vcc, s22, v2
	v_addc_co_u32_e32 v3, vcc, v5, v3, vcc
	s_mul_i32 s3, s6, s0
	s_mul_i32 s0, s0, s16
	v_add_co_u32_e32 v12, vcc, 32, v2
	v_mov_b32_e32 v14, s20
	v_mov_b32_e32 v25, 0
	s_add_i32 s3, s15, s3
	s_add_i32 s15, s15, s0
	v_addc_co_u32_e32 v13, vcc, 0, v3, vcc
	s_mov_b64 s[0:1], 0
	s_movk_i32 s16, 0x4a
	v_mov_b32_e32 v15, s21
	v_lshlrev_b32_e32 v29, 1, v4
	s_mov_b32 s17, 0x1010101
	s_movk_i32 s19, 0xff00
	s_mov_b32 s20, 0xc0c0105
	v_mov_b32_e32 v30, 8
	v_mov_b32_e32 v18, 0
	;; [unrolled: 1-line block ×7, first 2 shown]
.LBB174_2:                              ; =>This Inner Loop Header: Depth=1
	v_add_u32_e32 v16, s3, v24
	v_mad_i64_i32 v[16:17], s[12:13], v16, s16, v[14:15]
	global_load_dword v44, v[12:13], off
	global_load_dwordx4 v[2:5], v[12:13], off offset:-16
	global_load_dwordx4 v[6:9], v[12:13], off offset:-32
	s_getpc_b64 s[12:13]
	s_add_u32 s12, s12, _ZL10iq2xs_grid@rel32@lo+4
	s_addc_u32 s13, s13, _ZL10iq2xs_grid@rel32@hi+12
	v_add_co_u32_e32 v31, vcc, v16, v29
	v_addc_co_u32_e32 v32, vcc, 0, v17, vcc
	global_load_dwordx2 v[35:36], v[31:32], off offset:2
	v_add_co_u32_e32 v31, vcc, v16, v26
	v_addc_co_u32_e32 v32, vcc, 0, v17, vcc
	global_load_ubyte v39, v[31:32], off offset:66
	s_waitcnt vmcnt(2)
	v_cvt_f32_f16_e32 v43, v6
	global_load_ushort v16, v[16:17], off
	s_waitcnt vmcnt(2)
	v_and_b32_e32 v6, 0x1ff, v35
	v_lshlrev_b32_e32 v6, 3, v6
	global_load_dwordx2 v[31:32], v6, s[12:13]
	v_bfe_u32 v6, v35, 9, 7
	v_bcnt_u32_b32 v33, v6, 0
	v_and_b32_e32 v33, 1, v33
	v_lshl_or_b32 v6, v33, 7, v6
	v_mul_lo_u32 v33, v6, s17
	v_and_b32_e32 v6, 0x8040201, v33
	v_cmp_ne_u16_sdwa s[22:23], v6, v25 src0_sel:BYTE_3 src1_sel:DWORD
	v_cmp_ne_u16_sdwa s[24:25], v6, v25 src0_sel:BYTE_1 src1_sel:DWORD
	v_lshrrev_b32_e32 v34, 18, v33
	v_cndmask_b32_e64 v37, 0, -1, s[24:25]
	v_cndmask_b32_e64 v40, 0, -1, s[22:23]
	v_bfe_i32 v6, v33, 0, 1
	v_lshlrev_b16_e32 v37, 8, v37
	v_bfe_i32 v34, v34, 0, 1
	v_lshlrev_b16_e32 v40, 8, v40
	v_or_b32_sdwa v38, v6, v37 dst_sel:DWORD dst_unused:UNUSED_PAD src0_sel:BYTE_0 src1_sel:DWORD
	v_or_b32_sdwa v41, v34, v40 dst_sel:WORD_1 dst_unused:UNUSED_PAD src0_sel:BYTE_0 src1_sel:DWORD
	v_or_b32_sdwa v38, v38, v41 dst_sel:DWORD dst_unused:UNUSED_PAD src0_sel:WORD_0 src1_sel:DWORD
	v_lshlrev_b16_e32 v6, 8, v6
	v_lshlrev_b16_e32 v34, 8, v34
	s_waitcnt vmcnt(0)
	v_xor_b32_e32 v31, v31, v38
	v_and_b32_e32 v38, 0xffffff00, v31
	v_sub_i16 v37, v38, v37 clamp
	v_lshlrev_b16_e32 v38, 8, v31
	v_sub_i16 v6, v38, v6 clamp
	v_perm_b32 v6, v6, v37, s20
	v_and_b32_sdwa v37, v31, s19 dst_sel:DWORD dst_unused:UNUSED_PAD src0_sel:WORD_1 src1_sel:DWORD
	v_lshlrev_b16_sdwa v31, v30, v31 dst_sel:DWORD dst_unused:UNUSED_PAD src0_sel:DWORD src1_sel:WORD_1
	v_sub_i16 v37, v37, v40 clamp
	v_sub_i16 v31, v31, v34 clamp
	v_perm_b32 v31, v31, v37, s20
	v_lshl_or_b32 v6, v31, 16, v6
	v_and_b32_e32 v31, 0x80402010, v33
	v_cmp_ne_u16_sdwa s[22:23], v31, v25 src0_sel:BYTE_3 src1_sel:DWORD
	v_cmp_ne_u16_sdwa s[24:25], v31, v25 src0_sel:BYTE_1 src1_sel:DWORD
	v_lshrrev_b32_e32 v33, 22, v33
	v_lshrrev_b16_e32 v31, 4, v31
	v_cndmask_b32_e64 v34, 0, -1, s[24:25]
	v_cndmask_b32_e64 v38, 0, -1, s[22:23]
	v_bfe_i32 v31, v31, 0, 1
	v_lshlrev_b16_e32 v34, 8, v34
	v_bfe_i32 v33, v33, 0, 1
	v_lshlrev_b16_e32 v38, 8, v38
	v_or_b32_sdwa v37, v31, v34 dst_sel:DWORD dst_unused:UNUSED_PAD src0_sel:BYTE_0 src1_sel:DWORD
	v_or_b32_sdwa v40, v33, v38 dst_sel:WORD_1 dst_unused:UNUSED_PAD src0_sel:BYTE_0 src1_sel:DWORD
	v_or_b32_sdwa v37, v37, v40 dst_sel:DWORD dst_unused:UNUSED_PAD src0_sel:WORD_0 src1_sel:DWORD
	v_xor_b32_e32 v32, v32, v37
	v_and_b32_e32 v37, 0xffffff00, v32
	v_sub_i16 v34, v37, v34 clamp
	v_lshlrev_b16_e32 v37, 8, v32
	v_lshlrev_b16_e32 v31, 8, v31
	v_sub_i16 v31, v37, v31 clamp
	v_perm_b32 v31, v31, v34, s20
	v_and_b32_sdwa v34, v32, s19 dst_sel:DWORD dst_unused:UNUSED_PAD src0_sel:WORD_1 src1_sel:DWORD
	v_lshlrev_b16_sdwa v32, v30, v32 dst_sel:DWORD dst_unused:UNUSED_PAD src0_sel:DWORD src1_sel:WORD_1
	v_lshlrev_b16_e32 v33, 8, v33
	v_sub_i16 v34, v34, v38 clamp
	v_sub_i16 v32, v32, v33 clamp
	v_perm_b32 v32, v32, v34, s20
	v_lshl_or_b32 v31, v32, 16, v31
	v_dot4_i32_i8 v32, v6, v7, 0
	v_dot4_i32_i8 v34, v31, v8, v32
	v_lshrrev_b32_e32 v32, 13, v35
	v_and_b32_e32 v32, 0xff8, v32
	global_load_dwordx2 v[32:33], v32, s[12:13]
	v_lshrrev_b32_e32 v37, 25, v35
	v_bcnt_u32_b32 v37, v37, 0
	v_and_b32_e32 v37, 1, v37
	v_alignbit_b32 v35, v37, v35, 25
	v_mul_lo_u32 v35, v35, s17
	v_and_b32_e32 v37, 0x8040201, v35
	v_cmp_ne_u16_sdwa s[22:23], v37, v25 src0_sel:BYTE_3 src1_sel:DWORD
	v_cmp_ne_u16_sdwa s[24:25], v37, v25 src0_sel:BYTE_1 src1_sel:DWORD
	v_lshrrev_b32_e32 v38, 18, v35
	v_cndmask_b32_e64 v40, 0, -1, s[24:25]
	v_cndmask_b32_e64 v42, 0, -1, s[22:23]
	v_bfe_i32 v37, v35, 0, 1
	v_lshlrev_b16_e32 v40, 8, v40
	v_bfe_i32 v38, v38, 0, 1
	v_lshlrev_b16_e32 v42, 8, v42
	v_or_b32_sdwa v41, v37, v40 dst_sel:DWORD dst_unused:UNUSED_PAD src0_sel:BYTE_0 src1_sel:DWORD
	v_or_b32_sdwa v45, v38, v42 dst_sel:WORD_1 dst_unused:UNUSED_PAD src0_sel:BYTE_0 src1_sel:DWORD
	v_or_b32_sdwa v41, v41, v45 dst_sel:DWORD dst_unused:UNUSED_PAD src0_sel:WORD_0 src1_sel:DWORD
	v_lshlrev_b16_e32 v37, 8, v37
	v_lshlrev_b16_e32 v38, 8, v38
	s_waitcnt vmcnt(0)
	v_xor_b32_e32 v32, v32, v41
	v_and_b32_e32 v41, 0xffffff00, v32
	v_sub_i16 v40, v41, v40 clamp
	v_lshlrev_b16_e32 v41, 8, v32
	v_sub_i16 v37, v41, v37 clamp
	v_perm_b32 v37, v37, v40, s20
	v_and_b32_sdwa v40, v32, s19 dst_sel:DWORD dst_unused:UNUSED_PAD src0_sel:WORD_1 src1_sel:DWORD
	v_lshlrev_b16_sdwa v32, v30, v32 dst_sel:DWORD dst_unused:UNUSED_PAD src0_sel:DWORD src1_sel:WORD_1
	v_sub_i16 v40, v40, v42 clamp
	v_sub_i16 v32, v32, v38 clamp
	v_perm_b32 v32, v32, v40, s20
	v_lshl_or_b32 v32, v32, 16, v37
	v_and_b32_e32 v37, 0x80402010, v35
	v_cmp_ne_u16_sdwa s[22:23], v37, v25 src0_sel:BYTE_3 src1_sel:DWORD
	v_cmp_ne_u16_sdwa s[24:25], v37, v25 src0_sel:BYTE_1 src1_sel:DWORD
	v_lshrrev_b32_e32 v35, 22, v35
	v_lshrrev_b16_e32 v37, 4, v37
	v_cndmask_b32_e64 v38, 0, -1, s[24:25]
	v_cndmask_b32_e64 v41, 0, -1, s[22:23]
	v_bfe_i32 v37, v37, 0, 1
	v_lshlrev_b16_e32 v38, 8, v38
	v_bfe_i32 v35, v35, 0, 1
	v_lshlrev_b16_e32 v41, 8, v41
	v_or_b32_sdwa v40, v37, v38 dst_sel:DWORD dst_unused:UNUSED_PAD src0_sel:BYTE_0 src1_sel:DWORD
	v_or_b32_sdwa v42, v35, v41 dst_sel:WORD_1 dst_unused:UNUSED_PAD src0_sel:BYTE_0 src1_sel:DWORD
	v_or_b32_sdwa v40, v40, v42 dst_sel:DWORD dst_unused:UNUSED_PAD src0_sel:WORD_0 src1_sel:DWORD
	v_xor_b32_e32 v33, v33, v40
	v_and_b32_e32 v40, 0xffffff00, v33
	v_sub_i16 v38, v40, v38 clamp
	v_lshlrev_b16_e32 v40, 8, v33
	v_lshlrev_b16_e32 v37, 8, v37
	v_sub_i16 v37, v40, v37 clamp
	v_perm_b32 v37, v37, v38, s20
	v_and_b32_sdwa v38, v33, s19 dst_sel:DWORD dst_unused:UNUSED_PAD src0_sel:WORD_1 src1_sel:DWORD
	v_lshlrev_b16_sdwa v33, v30, v33 dst_sel:DWORD dst_unused:UNUSED_PAD src0_sel:DWORD src1_sel:WORD_1
	v_lshlrev_b16_e32 v35, 8, v35
	v_sub_i16 v38, v38, v41 clamp
	v_sub_i16 v33, v33, v35 clamp
	v_perm_b32 v33, v33, v38, s20
	v_lshl_or_b32 v33, v33, 16, v37
	v_dot4_i32_i8 v34, v32, v9, v34
	v_dot4_i32_i8 v40, v33, v2, v34
	v_and_b32_e32 v34, 0x1ff, v36
	v_lshlrev_b32_e32 v34, 3, v34
	global_load_dwordx2 v[34:35], v34, s[12:13]
	v_bfe_u32 v37, v36, 9, 7
	v_bcnt_u32_b32 v38, v37, 0
	v_and_b32_e32 v38, 1, v38
	v_lshl_or_b32 v37, v38, 7, v37
	v_mul_lo_u32 v37, v37, s17
	v_and_b32_e32 v38, 0x8040201, v37
	v_cmp_ne_u16_sdwa s[22:23], v38, v25 src0_sel:BYTE_3 src1_sel:DWORD
	v_cmp_ne_u16_sdwa s[24:25], v38, v25 src0_sel:BYTE_1 src1_sel:DWORD
	v_lshrrev_b32_e32 v41, 18, v37
	v_cndmask_b32_e64 v42, 0, -1, s[24:25]
	v_cndmask_b32_e64 v46, 0, -1, s[22:23]
	v_bfe_i32 v38, v37, 0, 1
	v_lshlrev_b16_e32 v42, 8, v42
	v_bfe_i32 v41, v41, 0, 1
	v_lshlrev_b16_e32 v46, 8, v46
	v_or_b32_sdwa v45, v38, v42 dst_sel:DWORD dst_unused:UNUSED_PAD src0_sel:BYTE_0 src1_sel:DWORD
	v_or_b32_sdwa v47, v41, v46 dst_sel:WORD_1 dst_unused:UNUSED_PAD src0_sel:BYTE_0 src1_sel:DWORD
	v_or_b32_sdwa v45, v45, v47 dst_sel:DWORD dst_unused:UNUSED_PAD src0_sel:WORD_0 src1_sel:DWORD
	v_lshlrev_b16_e32 v38, 8, v38
	v_lshlrev_b16_e32 v41, 8, v41
	s_waitcnt vmcnt(0)
	v_xor_b32_e32 v34, v34, v45
	v_and_b32_e32 v45, 0xffffff00, v34
	v_sub_i16 v42, v45, v42 clamp
	v_lshlrev_b16_e32 v45, 8, v34
	v_sub_i16 v38, v45, v38 clamp
	v_perm_b32 v38, v38, v42, s20
	v_and_b32_sdwa v42, v34, s19 dst_sel:DWORD dst_unused:UNUSED_PAD src0_sel:WORD_1 src1_sel:DWORD
	v_lshlrev_b16_sdwa v34, v30, v34 dst_sel:DWORD dst_unused:UNUSED_PAD src0_sel:DWORD src1_sel:WORD_1
	v_sub_i16 v42, v42, v46 clamp
	v_sub_i16 v34, v34, v41 clamp
	v_perm_b32 v34, v34, v42, s20
	v_lshl_or_b32 v34, v34, 16, v38
	v_and_b32_e32 v38, 0x80402010, v37
	v_cmp_ne_u16_sdwa s[22:23], v38, v25 src0_sel:BYTE_3 src1_sel:DWORD
	v_cmp_ne_u16_sdwa s[24:25], v38, v25 src0_sel:BYTE_1 src1_sel:DWORD
	v_lshrrev_b32_e32 v37, 22, v37
	v_lshrrev_b16_e32 v38, 4, v38
	v_cndmask_b32_e64 v41, 0, -1, s[24:25]
	v_cndmask_b32_e64 v45, 0, -1, s[22:23]
	v_bfe_i32 v38, v38, 0, 1
	v_lshlrev_b16_e32 v41, 8, v41
	v_bfe_i32 v37, v37, 0, 1
	v_lshlrev_b16_e32 v45, 8, v45
	v_or_b32_sdwa v42, v38, v41 dst_sel:DWORD dst_unused:UNUSED_PAD src0_sel:BYTE_0 src1_sel:DWORD
	v_or_b32_sdwa v46, v37, v45 dst_sel:WORD_1 dst_unused:UNUSED_PAD src0_sel:BYTE_0 src1_sel:DWORD
	v_or_b32_sdwa v42, v42, v46 dst_sel:DWORD dst_unused:UNUSED_PAD src0_sel:WORD_0 src1_sel:DWORD
	v_xor_b32_e32 v35, v35, v42
	v_and_b32_e32 v42, 0xffffff00, v35
	v_sub_i16 v41, v42, v41 clamp
	v_lshlrev_b16_e32 v42, 8, v35
	v_lshlrev_b16_e32 v38, 8, v38
	v_sub_i16 v38, v42, v38 clamp
	v_perm_b32 v38, v38, v41, s20
	v_and_b32_sdwa v41, v35, s19 dst_sel:DWORD dst_unused:UNUSED_PAD src0_sel:WORD_1 src1_sel:DWORD
	v_lshlrev_b16_sdwa v35, v30, v35 dst_sel:DWORD dst_unused:UNUSED_PAD src0_sel:DWORD src1_sel:WORD_1
	v_lshlrev_b16_e32 v37, 8, v37
	v_sub_i16 v41, v41, v45 clamp
	v_sub_i16 v35, v35, v37 clamp
	v_perm_b32 v35, v35, v41, s20
	v_lshl_or_b32 v35, v35, 16, v38
	v_dot4_i32_i8 v37, v34, v3, 0
	v_dot4_i32_i8 v41, v35, v4, v37
	v_lshrrev_b32_e32 v37, 13, v36
	v_and_b32_e32 v37, 0xff8, v37
	global_load_dwordx2 v[37:38], v37, s[12:13]
	v_lshrrev_b32_e32 v42, 25, v36
	v_bcnt_u32_b32 v42, v42, 0
	v_and_b32_e32 v42, 1, v42
	v_alignbit_b32 v36, v42, v36, 25
	v_mul_lo_u32 v42, v36, s17
	v_and_b32_e32 v36, 0x8040201, v42
	v_cmp_ne_u16_sdwa s[22:23], v36, v25 src0_sel:BYTE_3 src1_sel:DWORD
	v_cmp_ne_u16_sdwa s[24:25], v36, v25 src0_sel:BYTE_1 src1_sel:DWORD
	v_lshrrev_b32_e32 v45, 18, v42
	v_cndmask_b32_e64 v46, 0, -1, s[24:25]
	v_cndmask_b32_e64 v48, 0, -1, s[22:23]
	v_bfe_i32 v36, v42, 0, 1
	v_lshlrev_b16_e32 v46, 8, v46
	v_bfe_i32 v45, v45, 0, 1
	v_lshlrev_b16_e32 v48, 8, v48
	v_or_b32_sdwa v47, v36, v46 dst_sel:DWORD dst_unused:UNUSED_PAD src0_sel:BYTE_0 src1_sel:DWORD
	v_or_b32_sdwa v49, v45, v48 dst_sel:WORD_1 dst_unused:UNUSED_PAD src0_sel:BYTE_0 src1_sel:DWORD
	v_or_b32_sdwa v47, v47, v49 dst_sel:DWORD dst_unused:UNUSED_PAD src0_sel:WORD_0 src1_sel:DWORD
	v_lshlrev_b16_e32 v36, 8, v36
	v_lshlrev_b16_e32 v45, 8, v45
	s_waitcnt vmcnt(0)
	v_xor_b32_e32 v37, v37, v47
	v_and_b32_e32 v47, 0xffffff00, v37
	v_sub_i16 v46, v47, v46 clamp
	v_lshlrev_b16_e32 v47, 8, v37
	v_sub_i16 v36, v47, v36 clamp
	v_perm_b32 v36, v36, v46, s20
	v_and_b32_sdwa v46, v37, s19 dst_sel:DWORD dst_unused:UNUSED_PAD src0_sel:WORD_1 src1_sel:DWORD
	v_lshlrev_b16_sdwa v37, v30, v37 dst_sel:DWORD dst_unused:UNUSED_PAD src0_sel:DWORD src1_sel:WORD_1
	v_sub_i16 v46, v46, v48 clamp
	v_sub_i16 v37, v37, v45 clamp
	v_perm_b32 v37, v37, v46, s20
	v_lshl_or_b32 v36, v37, 16, v36
	v_and_b32_e32 v37, 0x80402010, v42
	v_cmp_ne_u16_sdwa s[22:23], v37, v25 src0_sel:BYTE_3 src1_sel:DWORD
	v_cmp_ne_u16_sdwa s[24:25], v37, v25 src0_sel:BYTE_1 src1_sel:DWORD
	v_lshrrev_b32_e32 v42, 22, v42
	v_lshrrev_b16_e32 v37, 4, v37
	v_cndmask_b32_e64 v45, 0, -1, s[24:25]
	v_cndmask_b32_e64 v47, 0, -1, s[22:23]
	v_bfe_i32 v37, v37, 0, 1
	v_lshlrev_b16_e32 v45, 8, v45
	v_bfe_i32 v42, v42, 0, 1
	v_lshlrev_b16_e32 v47, 8, v47
	v_or_b32_sdwa v46, v37, v45 dst_sel:DWORD dst_unused:UNUSED_PAD src0_sel:BYTE_0 src1_sel:DWORD
	v_or_b32_sdwa v48, v42, v47 dst_sel:WORD_1 dst_unused:UNUSED_PAD src0_sel:BYTE_0 src1_sel:DWORD
	v_or_b32_sdwa v46, v46, v48 dst_sel:DWORD dst_unused:UNUSED_PAD src0_sel:WORD_0 src1_sel:DWORD
	v_xor_b32_e32 v38, v38, v46
	v_and_b32_e32 v46, 0xffffff00, v38
	v_sub_i16 v45, v46, v45 clamp
	v_lshlrev_b16_e32 v46, 8, v38
	v_lshlrev_b16_e32 v37, 8, v37
	v_sub_i16 v37, v46, v37 clamp
	v_perm_b32 v37, v37, v45, s20
	v_and_b32_sdwa v45, v38, s19 dst_sel:DWORD dst_unused:UNUSED_PAD src0_sel:WORD_1 src1_sel:DWORD
	v_lshlrev_b16_sdwa v38, v30, v38 dst_sel:DWORD dst_unused:UNUSED_PAD src0_sel:DWORD src1_sel:WORD_1
	v_lshlrev_b16_e32 v42, 8, v42
	v_sub_i16 v45, v45, v47 clamp
	v_sub_i16 v38, v38, v42 clamp
	v_perm_b32 v38, v38, v45, s20
	v_lshl_or_b32 v37, v38, 16, v37
	v_dot4_i32_i8 v38, v36, v5, v41
	v_dot4_i32_i8 v41, v37, v44, v38
	v_lshrrev_b32_e32 v38, 4, v39
	v_and_b32_e32 v39, 15, v39
	v_mul_lo_u32 v42, v40, v39
	v_mul_lo_u32 v45, v41, v38
	v_add_u32_e32 v40, v41, v40
	v_lshrrev_b32_e32 v41, 31, v40
	v_add_u32_e32 v40, v40, v41
	v_ashrrev_i32_e32 v40, 1, v40
	v_add3_u32 v40, v45, v42, v40
	v_ashrrev_i32_e32 v41, 31, v40
	v_lshrrev_b32_e32 v41, 30, v41
	v_add_u32_e32 v40, v40, v41
	v_ashrrev_i32_e32 v41, 2, v40
	v_cvt_f32_f16_e32 v40, v16
	v_cvt_f32_i32_e32 v17, v41
	v_mul_f32_e32 v16, v40, v43
	v_fmac_f32_e32 v23, v16, v17
	v_add_u32_e32 v16, s15, v24
	v_mad_i64_i32 v[16:17], s[22:23], v16, s16, v[14:15]
	v_add_u32_e32 v24, 16, v24
	v_add_co_u32_e32 v41, vcc, v16, v29
	v_addc_co_u32_e32 v42, vcc, 0, v17, vcc
	global_load_dwordx2 v[45:46], v[41:42], off offset:2
	v_add_co_u32_e32 v41, vcc, v16, v26
	v_addc_co_u32_e32 v42, vcc, 0, v17, vcc
	global_load_ubyte v49, v[41:42], off offset:66
	v_add_co_u32_e32 v12, vcc, 0x1200, v12
	global_load_ushort v16, v[16:17], off
	v_addc_co_u32_e32 v13, vcc, 0, v13, vcc
	v_cmp_le_u32_e32 vcc, s9, v24
	s_or_b64 s[0:1], vcc, s[0:1]
	s_waitcnt vmcnt(2)
	v_and_b32_e32 v41, 0x1ff, v45
	v_lshlrev_b32_e32 v41, 3, v41
	global_load_dwordx2 v[41:42], v41, s[12:13]
	v_bfe_u32 v47, v45, 9, 7
	v_bcnt_u32_b32 v48, v47, 0
	v_and_b32_e32 v48, 1, v48
	v_lshl_or_b32 v47, v48, 7, v47
	v_mul_lo_u32 v47, v47, s17
	s_waitcnt vmcnt(1)
	v_cvt_f32_f16_e32 v16, v16
	v_and_b32_e32 v48, 0x8040201, v47
	v_cmp_ne_u16_sdwa s[22:23], v48, v25 src0_sel:BYTE_3 src1_sel:DWORD
	v_cmp_ne_u16_sdwa s[24:25], v48, v25 src0_sel:BYTE_1 src1_sel:DWORD
	v_lshrrev_b32_e32 v50, 18, v47
	v_cndmask_b32_e64 v51, 0, -1, s[24:25]
	v_cndmask_b32_e64 v53, 0, -1, s[22:23]
	v_bfe_i32 v48, v47, 0, 1
	v_lshlrev_b16_e32 v51, 8, v51
	v_bfe_i32 v50, v50, 0, 1
	v_lshlrev_b16_e32 v53, 8, v53
	v_or_b32_sdwa v52, v48, v51 dst_sel:DWORD dst_unused:UNUSED_PAD src0_sel:BYTE_0 src1_sel:DWORD
	v_or_b32_sdwa v54, v50, v53 dst_sel:WORD_1 dst_unused:UNUSED_PAD src0_sel:BYTE_0 src1_sel:DWORD
	v_or_b32_sdwa v52, v52, v54 dst_sel:DWORD dst_unused:UNUSED_PAD src0_sel:WORD_0 src1_sel:DWORD
	v_lshlrev_b16_e32 v48, 8, v48
	v_lshlrev_b16_e32 v50, 8, v50
	v_mul_f32_e32 v17, v16, v43
	s_waitcnt vmcnt(0)
	v_xor_b32_e32 v41, v41, v52
	v_and_b32_e32 v52, 0xffffff00, v41
	v_sub_i16 v51, v52, v51 clamp
	v_lshlrev_b16_e32 v52, 8, v41
	v_sub_i16 v48, v52, v48 clamp
	v_perm_b32 v48, v48, v51, s20
	v_and_b32_sdwa v51, v41, s19 dst_sel:DWORD dst_unused:UNUSED_PAD src0_sel:WORD_1 src1_sel:DWORD
	v_lshlrev_b16_sdwa v41, v30, v41 dst_sel:DWORD dst_unused:UNUSED_PAD src0_sel:DWORD src1_sel:WORD_1
	v_sub_i16 v51, v51, v53 clamp
	v_sub_i16 v41, v41, v50 clamp
	v_perm_b32 v41, v41, v51, s20
	v_lshl_or_b32 v41, v41, 16, v48
	v_and_b32_e32 v48, 0x80402010, v47
	v_cmp_ne_u16_sdwa s[22:23], v48, v25 src0_sel:BYTE_3 src1_sel:DWORD
	v_cmp_ne_u16_sdwa s[24:25], v48, v25 src0_sel:BYTE_1 src1_sel:DWORD
	v_lshrrev_b32_e32 v47, 22, v47
	v_lshrrev_b16_e32 v48, 4, v48
	v_cndmask_b32_e64 v50, 0, -1, s[24:25]
	v_cndmask_b32_e64 v52, 0, -1, s[22:23]
	v_bfe_i32 v48, v48, 0, 1
	v_lshlrev_b16_e32 v50, 8, v50
	v_bfe_i32 v47, v47, 0, 1
	v_lshlrev_b16_e32 v52, 8, v52
	v_or_b32_sdwa v51, v48, v50 dst_sel:DWORD dst_unused:UNUSED_PAD src0_sel:BYTE_0 src1_sel:DWORD
	v_or_b32_sdwa v53, v47, v52 dst_sel:WORD_1 dst_unused:UNUSED_PAD src0_sel:BYTE_0 src1_sel:DWORD
	v_or_b32_sdwa v51, v51, v53 dst_sel:DWORD dst_unused:UNUSED_PAD src0_sel:WORD_0 src1_sel:DWORD
	v_xor_b32_e32 v42, v42, v51
	v_and_b32_e32 v51, 0xffffff00, v42
	v_sub_i16 v50, v51, v50 clamp
	v_lshlrev_b16_e32 v51, 8, v42
	v_lshlrev_b16_e32 v48, 8, v48
	v_sub_i16 v48, v51, v48 clamp
	v_perm_b32 v48, v48, v50, s20
	v_and_b32_sdwa v50, v42, s19 dst_sel:DWORD dst_unused:UNUSED_PAD src0_sel:WORD_1 src1_sel:DWORD
	v_lshlrev_b16_sdwa v42, v30, v42 dst_sel:DWORD dst_unused:UNUSED_PAD src0_sel:DWORD src1_sel:WORD_1
	v_lshlrev_b16_e32 v47, 8, v47
	v_sub_i16 v50, v50, v52 clamp
	v_sub_i16 v42, v42, v47 clamp
	v_perm_b32 v42, v42, v50, s20
	v_lshl_or_b32 v42, v42, 16, v48
	v_dot4_i32_i8 v7, v41, v7, 0
	v_dot4_i32_i8 v47, v42, v8, v7
	v_lshrrev_b32_e32 v7, 13, v45
	v_and_b32_e32 v7, 0xff8, v7
	global_load_dwordx2 v[7:8], v7, s[12:13]
	v_lshrrev_b32_e32 v48, 25, v45
	v_bcnt_u32_b32 v48, v48, 0
	v_and_b32_e32 v48, 1, v48
	v_alignbit_b32 v45, v48, v45, 25
	v_mul_lo_u32 v45, v45, s17
	v_and_b32_e32 v48, 0x8040201, v45
	v_cmp_ne_u16_sdwa s[22:23], v48, v25 src0_sel:BYTE_3 src1_sel:DWORD
	v_cmp_ne_u16_sdwa s[24:25], v48, v25 src0_sel:BYTE_1 src1_sel:DWORD
	v_lshrrev_b32_e32 v50, 18, v45
	v_cndmask_b32_e64 v51, 0, -1, s[24:25]
	v_cndmask_b32_e64 v53, 0, -1, s[22:23]
	v_bfe_i32 v48, v45, 0, 1
	v_lshlrev_b16_e32 v51, 8, v51
	v_bfe_i32 v50, v50, 0, 1
	v_lshlrev_b16_e32 v53, 8, v53
	v_or_b32_sdwa v52, v48, v51 dst_sel:DWORD dst_unused:UNUSED_PAD src0_sel:BYTE_0 src1_sel:DWORD
	v_or_b32_sdwa v54, v50, v53 dst_sel:WORD_1 dst_unused:UNUSED_PAD src0_sel:BYTE_0 src1_sel:DWORD
	v_or_b32_sdwa v52, v52, v54 dst_sel:DWORD dst_unused:UNUSED_PAD src0_sel:WORD_0 src1_sel:DWORD
	v_lshlrev_b16_e32 v48, 8, v48
	v_lshlrev_b16_e32 v50, 8, v50
	s_waitcnt vmcnt(0)
	v_xor_b32_e32 v7, v7, v52
	v_and_b32_e32 v52, 0xffffff00, v7
	v_sub_i16 v51, v52, v51 clamp
	v_lshlrev_b16_e32 v52, 8, v7
	v_sub_i16 v48, v52, v48 clamp
	v_perm_b32 v48, v48, v51, s20
	v_and_b32_sdwa v51, v7, s19 dst_sel:DWORD dst_unused:UNUSED_PAD src0_sel:WORD_1 src1_sel:DWORD
	v_lshlrev_b16_sdwa v7, v30, v7 dst_sel:DWORD dst_unused:UNUSED_PAD src0_sel:DWORD src1_sel:WORD_1
	v_sub_i16 v51, v51, v53 clamp
	v_sub_i16 v7, v7, v50 clamp
	v_perm_b32 v7, v7, v51, s20
	v_lshl_or_b32 v7, v7, 16, v48
	v_and_b32_e32 v48, 0x80402010, v45
	v_cmp_ne_u16_sdwa s[22:23], v48, v25 src0_sel:BYTE_3 src1_sel:DWORD
	v_cmp_ne_u16_sdwa s[24:25], v48, v25 src0_sel:BYTE_1 src1_sel:DWORD
	v_lshrrev_b32_e32 v45, 22, v45
	v_lshrrev_b16_e32 v48, 4, v48
	v_cndmask_b32_e64 v50, 0, -1, s[24:25]
	v_cndmask_b32_e64 v52, 0, -1, s[22:23]
	v_bfe_i32 v48, v48, 0, 1
	v_lshlrev_b16_e32 v50, 8, v50
	v_bfe_i32 v45, v45, 0, 1
	v_lshlrev_b16_e32 v52, 8, v52
	v_or_b32_sdwa v51, v48, v50 dst_sel:DWORD dst_unused:UNUSED_PAD src0_sel:BYTE_0 src1_sel:DWORD
	v_or_b32_sdwa v53, v45, v52 dst_sel:WORD_1 dst_unused:UNUSED_PAD src0_sel:BYTE_0 src1_sel:DWORD
	v_or_b32_sdwa v51, v51, v53 dst_sel:DWORD dst_unused:UNUSED_PAD src0_sel:WORD_0 src1_sel:DWORD
	v_xor_b32_e32 v8, v8, v51
	v_and_b32_e32 v51, 0xffffff00, v8
	v_sub_i16 v50, v51, v50 clamp
	v_lshlrev_b16_e32 v51, 8, v8
	v_lshlrev_b16_e32 v48, 8, v48
	v_sub_i16 v48, v51, v48 clamp
	v_perm_b32 v48, v48, v50, s20
	v_and_b32_sdwa v50, v8, s19 dst_sel:DWORD dst_unused:UNUSED_PAD src0_sel:WORD_1 src1_sel:DWORD
	v_lshlrev_b16_sdwa v8, v30, v8 dst_sel:DWORD dst_unused:UNUSED_PAD src0_sel:DWORD src1_sel:WORD_1
	v_lshlrev_b16_e32 v45, 8, v45
	v_sub_i16 v50, v50, v52 clamp
	v_sub_i16 v8, v8, v45 clamp
	v_perm_b32 v8, v8, v50, s20
	v_lshl_or_b32 v8, v8, 16, v48
	v_dot4_i32_i8 v9, v7, v9, v47
	v_dot4_i32_i8 v45, v8, v2, v9
	v_and_b32_e32 v2, 0x1ff, v46
	v_lshlrev_b32_e32 v2, 3, v2
	global_load_dwordx2 v[47:48], v2, s[12:13]
	v_bfe_u32 v2, v46, 9, 7
	v_bcnt_u32_b32 v9, v2, 0
	v_and_b32_e32 v9, 1, v9
	v_lshl_or_b32 v2, v9, 7, v2
	v_mul_lo_u32 v9, v2, s17
	v_and_b32_e32 v2, 0x8040201, v9
	v_cmp_ne_u16_sdwa s[22:23], v2, v25 src0_sel:BYTE_3 src1_sel:DWORD
	v_cmp_ne_u16_sdwa s[24:25], v2, v25 src0_sel:BYTE_1 src1_sel:DWORD
	v_lshrrev_b32_e32 v50, 18, v9
	v_cndmask_b32_e64 v51, 0, -1, s[24:25]
	v_cndmask_b32_e64 v53, 0, -1, s[22:23]
	v_bfe_i32 v2, v9, 0, 1
	v_lshlrev_b16_e32 v51, 8, v51
	v_bfe_i32 v50, v50, 0, 1
	v_lshlrev_b16_e32 v53, 8, v53
	v_or_b32_sdwa v52, v2, v51 dst_sel:DWORD dst_unused:UNUSED_PAD src0_sel:BYTE_0 src1_sel:DWORD
	v_or_b32_sdwa v54, v50, v53 dst_sel:WORD_1 dst_unused:UNUSED_PAD src0_sel:BYTE_0 src1_sel:DWORD
	v_or_b32_sdwa v52, v52, v54 dst_sel:DWORD dst_unused:UNUSED_PAD src0_sel:WORD_0 src1_sel:DWORD
	v_lshlrev_b16_e32 v2, 8, v2
	v_lshlrev_b16_e32 v50, 8, v50
	s_waitcnt vmcnt(0)
	v_xor_b32_e32 v47, v47, v52
	v_and_b32_e32 v52, 0xffffff00, v47
	v_sub_i16 v51, v52, v51 clamp
	v_lshlrev_b16_e32 v52, 8, v47
	v_sub_i16 v2, v52, v2 clamp
	v_perm_b32 v2, v2, v51, s20
	v_and_b32_sdwa v51, v47, s19 dst_sel:DWORD dst_unused:UNUSED_PAD src0_sel:WORD_1 src1_sel:DWORD
	v_lshlrev_b16_sdwa v47, v30, v47 dst_sel:DWORD dst_unused:UNUSED_PAD src0_sel:DWORD src1_sel:WORD_1
	v_sub_i16 v51, v51, v53 clamp
	v_sub_i16 v47, v47, v50 clamp
	v_perm_b32 v47, v47, v51, s20
	v_lshl_or_b32 v2, v47, 16, v2
	v_and_b32_e32 v47, 0x80402010, v9
	v_cmp_ne_u16_sdwa s[22:23], v47, v25 src0_sel:BYTE_3 src1_sel:DWORD
	v_cmp_ne_u16_sdwa s[24:25], v47, v25 src0_sel:BYTE_1 src1_sel:DWORD
	v_lshrrev_b32_e32 v9, 22, v9
	v_lshrrev_b16_e32 v47, 4, v47
	v_cndmask_b32_e64 v50, 0, -1, s[24:25]
	v_cndmask_b32_e64 v52, 0, -1, s[22:23]
	v_bfe_i32 v47, v47, 0, 1
	v_lshlrev_b16_e32 v50, 8, v50
	v_bfe_i32 v9, v9, 0, 1
	v_lshlrev_b16_e32 v52, 8, v52
	v_or_b32_sdwa v51, v47, v50 dst_sel:DWORD dst_unused:UNUSED_PAD src0_sel:BYTE_0 src1_sel:DWORD
	v_or_b32_sdwa v53, v9, v52 dst_sel:WORD_1 dst_unused:UNUSED_PAD src0_sel:BYTE_0 src1_sel:DWORD
	v_or_b32_sdwa v51, v51, v53 dst_sel:DWORD dst_unused:UNUSED_PAD src0_sel:WORD_0 src1_sel:DWORD
	v_xor_b32_e32 v48, v48, v51
	v_and_b32_e32 v51, 0xffffff00, v48
	v_sub_i16 v50, v51, v50 clamp
	v_lshlrev_b16_e32 v51, 8, v48
	v_lshlrev_b16_e32 v47, 8, v47
	v_sub_i16 v47, v51, v47 clamp
	v_perm_b32 v47, v47, v50, s20
	v_and_b32_sdwa v50, v48, s19 dst_sel:DWORD dst_unused:UNUSED_PAD src0_sel:WORD_1 src1_sel:DWORD
	v_lshlrev_b16_sdwa v48, v30, v48 dst_sel:DWORD dst_unused:UNUSED_PAD src0_sel:DWORD src1_sel:WORD_1
	v_lshlrev_b16_e32 v9, 8, v9
	v_sub_i16 v50, v50, v52 clamp
	v_sub_i16 v9, v48, v9 clamp
	v_perm_b32 v9, v9, v50, s20
	v_lshl_or_b32 v9, v9, 16, v47
	v_dot4_i32_i8 v3, v2, v3, 0
	v_dot4_i32_i8 v47, v9, v4, v3
	v_lshrrev_b32_e32 v3, 13, v46
	v_and_b32_e32 v3, 0xff8, v3
	global_load_dwordx2 v[3:4], v3, s[12:13]
	v_lshrrev_b32_e32 v48, 25, v46
	v_bcnt_u32_b32 v48, v48, 0
	v_and_b32_e32 v48, 1, v48
	v_alignbit_b32 v46, v48, v46, 25
	v_mul_lo_u32 v46, v46, s17
	v_and_b32_e32 v48, 0x8040201, v46
	v_cmp_ne_u16_sdwa s[12:13], v48, v25 src0_sel:BYTE_3 src1_sel:DWORD
	v_cmp_ne_u16_sdwa s[22:23], v48, v25 src0_sel:BYTE_1 src1_sel:DWORD
	v_lshrrev_b32_e32 v50, 18, v46
	v_cndmask_b32_e64 v51, 0, -1, s[22:23]
	v_cndmask_b32_e64 v53, 0, -1, s[12:13]
	v_bfe_i32 v48, v46, 0, 1
	v_lshlrev_b16_e32 v51, 8, v51
	v_bfe_i32 v50, v50, 0, 1
	v_lshlrev_b16_e32 v53, 8, v53
	v_or_b32_sdwa v52, v48, v51 dst_sel:DWORD dst_unused:UNUSED_PAD src0_sel:BYTE_0 src1_sel:DWORD
	v_or_b32_sdwa v54, v50, v53 dst_sel:WORD_1 dst_unused:UNUSED_PAD src0_sel:BYTE_0 src1_sel:DWORD
	v_or_b32_sdwa v52, v52, v54 dst_sel:DWORD dst_unused:UNUSED_PAD src0_sel:WORD_0 src1_sel:DWORD
	v_lshlrev_b16_e32 v48, 8, v48
	v_lshlrev_b16_e32 v50, 8, v50
	s_waitcnt vmcnt(0)
	v_xor_b32_e32 v3, v3, v52
	v_and_b32_e32 v52, 0xffffff00, v3
	v_sub_i16 v51, v52, v51 clamp
	v_lshlrev_b16_e32 v52, 8, v3
	v_sub_i16 v48, v52, v48 clamp
	v_perm_b32 v48, v48, v51, s20
	v_and_b32_sdwa v51, v3, s19 dst_sel:DWORD dst_unused:UNUSED_PAD src0_sel:WORD_1 src1_sel:DWORD
	v_lshlrev_b16_sdwa v3, v30, v3 dst_sel:DWORD dst_unused:UNUSED_PAD src0_sel:DWORD src1_sel:WORD_1
	v_sub_i16 v51, v51, v53 clamp
	v_sub_i16 v3, v3, v50 clamp
	v_perm_b32 v3, v3, v51, s20
	v_lshl_or_b32 v3, v3, 16, v48
	v_and_b32_e32 v48, 0x80402010, v46
	v_cmp_ne_u16_sdwa s[12:13], v48, v25 src0_sel:BYTE_3 src1_sel:DWORD
	v_cmp_ne_u16_sdwa s[22:23], v48, v25 src0_sel:BYTE_1 src1_sel:DWORD
	v_lshrrev_b32_e32 v46, 22, v46
	v_lshrrev_b16_e32 v48, 4, v48
	v_cndmask_b32_e64 v50, 0, -1, s[22:23]
	v_cndmask_b32_e64 v52, 0, -1, s[12:13]
	v_bfe_i32 v48, v48, 0, 1
	v_lshlrev_b16_e32 v50, 8, v50
	v_bfe_i32 v46, v46, 0, 1
	v_lshlrev_b16_e32 v52, 8, v52
	v_or_b32_sdwa v51, v48, v50 dst_sel:DWORD dst_unused:UNUSED_PAD src0_sel:BYTE_0 src1_sel:DWORD
	v_or_b32_sdwa v53, v46, v52 dst_sel:WORD_1 dst_unused:UNUSED_PAD src0_sel:BYTE_0 src1_sel:DWORD
	v_or_b32_sdwa v51, v51, v53 dst_sel:DWORD dst_unused:UNUSED_PAD src0_sel:WORD_0 src1_sel:DWORD
	v_xor_b32_e32 v4, v4, v51
	v_and_b32_e32 v51, 0xffffff00, v4
	v_sub_i16 v50, v51, v50 clamp
	v_lshlrev_b16_e32 v51, 8, v4
	v_lshlrev_b16_e32 v48, 8, v48
	v_sub_i16 v48, v51, v48 clamp
	v_perm_b32 v48, v48, v50, s20
	v_and_b32_sdwa v50, v4, s19 dst_sel:DWORD dst_unused:UNUSED_PAD src0_sel:WORD_1 src1_sel:DWORD
	v_lshlrev_b16_sdwa v4, v30, v4 dst_sel:DWORD dst_unused:UNUSED_PAD src0_sel:DWORD src1_sel:WORD_1
	v_lshlrev_b16_e32 v46, 8, v46
	v_sub_i16 v50, v50, v52 clamp
	v_sub_i16 v4, v4, v46 clamp
	v_perm_b32 v4, v4, v50, s20
	v_lshl_or_b32 v4, v4, 16, v48
	v_dot4_i32_i8 v5, v3, v5, v47
	v_dot4_i32_i8 v46, v4, v44, v5
	v_lshrrev_b32_e32 v5, 4, v49
	v_and_b32_e32 v44, 15, v49
	v_mul_lo_u32 v47, v45, v44
	v_mul_lo_u32 v48, v46, v5
	v_add_u32_e32 v45, v46, v45
	v_lshrrev_b32_e32 v46, 31, v45
	v_add_u32_e32 v45, v45, v46
	v_ashrrev_i32_e32 v45, 1, v45
	v_add3_u32 v45, v48, v47, v45
	v_ashrrev_i32_e32 v46, 31, v45
	v_lshrrev_b32_e32 v46, 30, v46
	v_add_u32_e32 v45, v45, v46
	v_ashrrev_i32_e32 v45, 2, v45
	v_cvt_f32_i32_e32 v43, v45
	v_mad_u64_u32 v[53:54], s[12:13], v27, 36, v[10:11]
	v_add_u32_e32 v27, 0x80, v27
	v_fmac_f32_e32 v22, v17, v43
	global_load_dword v17, v[53:54], off offset:32
	global_load_dwordx4 v[45:48], v[53:54], off offset:16
	global_load_dwordx4 v[49:52], v[53:54], off
	s_waitcnt vmcnt(1)
	v_dot4_i32_i8 v53, v34, v46, 0
	s_waitcnt vmcnt(0)
	v_cvt_f32_f16_e32 v43, v49
	v_dot4_i32_i8 v49, v6, v50, 0
	v_dot4_i32_i8 v49, v31, v51, v49
	v_dot4_i32_i8 v53, v35, v47, v53
	v_dot4_i32_i8 v49, v32, v52, v49
	v_dot4_i32_i8 v53, v36, v48, v53
	v_dot4_i32_i8 v49, v33, v45, v49
	v_dot4_i32_i8 v53, v37, v17, v53
	v_mul_lo_u32 v54, v49, v39
	v_mul_lo_u32 v55, v53, v38
	v_add_u32_e32 v49, v53, v49
	v_lshrrev_b32_e32 v53, 31, v49
	v_add_u32_e32 v49, v49, v53
	v_ashrrev_i32_e32 v49, 1, v49
	v_add3_u32 v49, v55, v54, v49
	v_ashrrev_i32_e32 v53, 31, v49
	v_lshrrev_b32_e32 v53, 30, v53
	v_add_u32_e32 v49, v49, v53
	v_ashrrev_i32_e32 v49, 2, v49
	v_cvt_f32_i32_e32 v49, v49
	v_mul_f32_e32 v53, v40, v43
	v_dot4_i32_i8 v46, v2, v46, 0
	v_dot4_i32_i8 v46, v9, v47, v46
	v_fmac_f32_e32 v21, v53, v49
	v_dot4_i32_i8 v49, v41, v50, 0
	v_dot4_i32_i8 v49, v42, v51, v49
	;; [unrolled: 1-line block ×6, first 2 shown]
	v_mul_lo_u32 v46, v45, v44
	v_mul_lo_u32 v47, v17, v5
	v_add_u32_e32 v17, v17, v45
	v_lshrrev_b32_e32 v45, 31, v17
	v_add_u32_e32 v17, v17, v45
	v_ashrrev_i32_e32 v17, 1, v17
	v_add3_u32 v17, v47, v46, v17
	v_ashrrev_i32_e32 v45, 31, v17
	v_lshrrev_b32_e32 v45, 30, v45
	v_add_u32_e32 v17, v17, v45
	v_ashrrev_i32_e32 v17, 2, v17
	v_cvt_f32_i32_e32 v17, v17
	v_mad_u64_u32 v[53:54], s[12:13], v28, 36, v[10:11]
	v_mul_f32_e32 v43, v16, v43
	v_fmac_f32_e32 v20, v43, v17
	global_load_dword v43, v[53:54], off offset:32
	global_load_dwordx4 v[45:48], v[53:54], off offset:16
	global_load_dwordx4 v[49:52], v[53:54], off
	v_add_u32_e32 v28, 0x80, v28
	s_waitcnt vmcnt(1)
	v_dot4_i32_i8 v2, v2, v46, 0
	s_waitcnt vmcnt(0)
	v_dot4_i32_i8 v6, v6, v50, 0
	v_dot4_i32_i8 v6, v31, v51, v6
	;; [unrolled: 1-line block ×8, first 2 shown]
	v_mul_lo_u32 v32, v6, v39
	v_mul_lo_u32 v33, v31, v38
	v_add_u32_e32 v6, v31, v6
	v_lshrrev_b32_e32 v31, 31, v6
	v_add_u32_e32 v6, v6, v31
	v_ashrrev_i32_e32 v6, 1, v6
	v_add3_u32 v6, v33, v32, v6
	v_ashrrev_i32_e32 v31, 31, v6
	v_lshrrev_b32_e32 v31, 30, v31
	v_add_u32_e32 v6, v6, v31
	v_cvt_f32_f16_e32 v17, v49
	v_ashrrev_i32_e32 v6, 2, v6
	v_cvt_f32_i32_e32 v6, v6
	v_dot4_i32_i8 v2, v9, v47, v2
	v_mul_f32_e32 v31, v40, v17
	v_dot4_i32_i8 v2, v3, v48, v2
	v_fmac_f32_e32 v19, v31, v6
	v_dot4_i32_i8 v6, v41, v50, 0
	v_dot4_i32_i8 v6, v42, v51, v6
	;; [unrolled: 1-line block ×5, first 2 shown]
	v_mul_lo_u32 v3, v6, v44
	v_mul_lo_u32 v4, v2, v5
	v_add_u32_e32 v2, v2, v6
	v_lshrrev_b32_e32 v5, 31, v2
	v_add_u32_e32 v2, v2, v5
	v_ashrrev_i32_e32 v2, 1, v2
	v_add3_u32 v2, v4, v3, v2
	v_ashrrev_i32_e32 v3, 31, v2
	v_lshrrev_b32_e32 v3, 30, v3
	v_add_u32_e32 v2, v2, v3
	v_ashrrev_i32_e32 v2, 2, v2
	v_cvt_f32_i32_e32 v2, v2
	v_mul_f32_e32 v3, v16, v17
	v_fmac_f32_e32 v18, v3, v2
	s_andn2_b64 exec, exec, s[0:1]
	s_cbranch_execnz .LBB174_2
; %bb.3:
	s_or_b64 exec, exec, s[0:1]
.LBB174_4:
	s_or_b64 exec, exec, s[10:11]
	v_cmp_eq_u32_e32 vcc, 0, v1
	v_cmp_ne_u32_e64 s[0:1], 0, v1
	s_and_saveexec_b64 s[10:11], s[0:1]
	s_cbranch_execz .LBB174_6
; %bb.5:
	v_mul_u32_u24_e32 v1, 0x600, v1
	v_lshl_or_b32 v1, v0, 2, v1
	v_add_u32_e32 v1, 0xfffffa00, v1
	ds_write2st64_b32 v1, v23, v22 offset1:1
	ds_write2st64_b32 v1, v21, v20 offset0:2 offset1:3
	ds_write2st64_b32 v1, v19, v18 offset0:4 offset1:5
.LBB174_6:
	s_or_b64 exec, exec, s[10:11]
	s_waitcnt lgkmcnt(0)
	s_barrier
	s_and_saveexec_b64 s[0:1], vcc
	s_cbranch_execz .LBB174_13
; %bb.7:
	v_lshlrev_b32_e32 v3, 2, v0
	v_mbcnt_lo_u32_b32 v1, -1, 0
	v_mbcnt_hi_u32_b32 v7, -1, v1
	ds_read2st64_b32 v[5:6], v3 offset1:1
	v_and_b32_e32 v1, 64, v7
	v_add_u32_e32 v8, 64, v1
	v_xor_b32_e32 v1, 32, v7
	v_cmp_lt_i32_e32 vcc, v1, v8
	v_cndmask_b32_e32 v1, v7, v1, vcc
	v_lshlrev_b32_e32 v1, 2, v1
	s_waitcnt lgkmcnt(0)
	v_add_f32_e32 v10, v5, v23
	v_add_f32_e32 v6, v6, v22
	ds_bpermute_b32 v11, v1, v10
	ds_bpermute_b32 v12, v1, v6
	v_xor_b32_e32 v2, 16, v7
	v_cmp_lt_i32_e32 vcc, v2, v8
	v_cndmask_b32_e32 v2, v7, v2, vcc
	v_lshlrev_b32_e32 v2, 2, v2
	s_waitcnt lgkmcnt(1)
	v_add_f32_e32 v10, v10, v11
	s_waitcnt lgkmcnt(0)
	v_add_f32_e32 v6, v6, v12
	ds_bpermute_b32 v11, v2, v10
	ds_bpermute_b32 v12, v2, v6
	v_xor_b32_e32 v4, 8, v7
	v_cmp_lt_i32_e32 vcc, v4, v8
	v_cndmask_b32_e32 v4, v7, v4, vcc
	v_lshlrev_b32_e32 v4, 2, v4
	s_waitcnt lgkmcnt(1)
	v_add_f32_e32 v10, v10, v11
	s_waitcnt lgkmcnt(0)
	;; [unrolled: 10-line block ×3, first 2 shown]
	v_add_f32_e32 v12, v12, v13
	ds_bpermute_b32 v11, v5, v10
	ds_bpermute_b32 v13, v5, v12
	v_xor_b32_e32 v9, 2, v7
	v_cmp_lt_i32_e32 vcc, v9, v8
	v_cndmask_b32_e32 v9, v7, v9, vcc
	v_lshlrev_b32_e32 v6, 2, v9
	v_xor_b32_e32 v9, 1, v7
	v_cmp_lt_i32_e32 vcc, v9, v8
	s_waitcnt lgkmcnt(1)
	v_add_f32_e32 v8, v10, v11
	s_waitcnt lgkmcnt(0)
	v_add_f32_e32 v11, v12, v13
	ds_bpermute_b32 v10, v6, v8
	ds_bpermute_b32 v12, v6, v11
	s_load_dwordx2 s[0:1], s[4:5], 0x38
	v_cndmask_b32_e32 v7, v7, v9, vcc
	s_mul_i32 s4, s14, s7
	v_lshlrev_b32_e32 v9, 2, v7
	s_waitcnt lgkmcnt(0)
	v_add_f32_e32 v7, v8, v10
	v_add_f32_e32 v10, v11, v12
	s_mul_i32 s3, s18, s8
	s_add_i32 s4, s4, s6
	ds_bpermute_b32 v8, v9, v7
	ds_bpermute_b32 v11, v9, v10
	s_add_i32 s4, s4, s3
	s_mov_b32 s5, 0
	s_lshl_b64 s[4:5], s[4:5], 2
	s_add_u32 s4, s0, s4
	v_add_u32_e32 v12, s6, v0
	s_addc_u32 s5, s1, s5
	v_cmp_gt_u32_e32 vcc, 2, v0
	v_cmp_gt_u32_e64 s[0:1], s2, v12
	s_and_b64 s[0:1], vcc, s[0:1]
	s_waitcnt lgkmcnt(1)
	v_add_f32_e32 v7, v7, v8
	s_waitcnt lgkmcnt(0)
	v_add_f32_e32 v8, v10, v11
	s_and_saveexec_b64 s[6:7], s[0:1]
	s_cbranch_execz .LBB174_9
; %bb.8:
	v_cmp_eq_u32_e32 vcc, 1, v0
	v_cndmask_b32_e32 v10, v7, v8, vcc
	v_cmp_eq_u32_e32 vcc, 2, v0
	v_cndmask_b32_e32 v10, v10, v21, vcc
	;; [unrolled: 2-line block ×5, first 2 shown]
	global_store_dword v3, v10, s[4:5]
.LBB174_9:
	s_or_b64 exec, exec, s[6:7]
	ds_read2st64_b32 v[10:11], v3 offset0:2 offset1:3
	s_waitcnt lgkmcnt(0)
	v_add_f32_e32 v10, v10, v21
	v_add_f32_e32 v11, v11, v20
	ds_bpermute_b32 v12, v1, v10
	ds_bpermute_b32 v13, v1, v11
	s_waitcnt lgkmcnt(1)
	v_add_f32_e32 v10, v10, v12
	s_waitcnt lgkmcnt(0)
	v_add_f32_e32 v11, v11, v13
	ds_bpermute_b32 v12, v2, v10
	ds_bpermute_b32 v13, v2, v11
	s_waitcnt lgkmcnt(1)
	v_add_f32_e32 v10, v10, v12
	s_waitcnt lgkmcnt(0)
	;; [unrolled: 6-line block ×6, first 2 shown]
	v_add_f32_e32 v10, v12, v13
	s_and_saveexec_b64 s[6:7], s[0:1]
	s_cbranch_execz .LBB174_11
; %bb.10:
	v_add_u32_e32 v12, 2, v0
	v_cmp_eq_u32_e32 vcc, 1, v12
	v_cndmask_b32_e32 v13, v7, v8, vcc
	v_cmp_eq_u32_e32 vcc, 2, v12
	v_cndmask_b32_e32 v13, v13, v11, vcc
	;; [unrolled: 2-line block ×5, first 2 shown]
	v_add_u32_e32 v12, s2, v0
	v_mov_b32_e32 v13, 0
	v_lshlrev_b64 v[12:13], 2, v[12:13]
	v_mov_b32_e32 v15, s5
	v_add_co_u32_e32 v12, vcc, s4, v12
	v_addc_co_u32_e32 v13, vcc, v15, v13, vcc
	global_store_dword v[12:13], v14, off
.LBB174_11:
	s_or_b64 exec, exec, s[6:7]
	ds_read2st64_b32 v[12:13], v3 offset0:4 offset1:5
	s_waitcnt lgkmcnt(0)
	v_add_f32_e32 v3, v12, v19
	v_add_f32_e32 v12, v13, v18
	ds_bpermute_b32 v13, v1, v3
	ds_bpermute_b32 v1, v1, v12
	s_waitcnt lgkmcnt(1)
	v_add_f32_e32 v3, v3, v13
	s_waitcnt lgkmcnt(0)
	v_add_f32_e32 v1, v12, v1
	ds_bpermute_b32 v12, v2, v3
	ds_bpermute_b32 v2, v2, v1
	s_waitcnt lgkmcnt(1)
	v_add_f32_e32 v3, v3, v12
	s_waitcnt lgkmcnt(0)
	v_add_f32_e32 v1, v1, v2
	ds_bpermute_b32 v2, v4, v3
	ds_bpermute_b32 v4, v4, v1
	s_waitcnt lgkmcnt(1)
	v_add_f32_e32 v2, v3, v2
	s_waitcnt lgkmcnt(0)
	v_add_f32_e32 v1, v1, v4
	ds_bpermute_b32 v3, v5, v2
	ds_bpermute_b32 v4, v5, v1
	s_waitcnt lgkmcnt(1)
	v_add_f32_e32 v2, v2, v3
	s_waitcnt lgkmcnt(0)
	v_add_f32_e32 v3, v1, v4
	ds_bpermute_b32 v1, v6, v2
	ds_bpermute_b32 v4, v6, v3
	s_waitcnt lgkmcnt(1)
	v_add_f32_e32 v1, v2, v1
	s_waitcnt lgkmcnt(0)
	v_add_f32_e32 v2, v3, v4
	ds_bpermute_b32 v3, v9, v1
	ds_bpermute_b32 v4, v9, v2
	s_and_b64 exec, exec, s[0:1]
	s_cbranch_execz .LBB174_13
; %bb.12:
	s_waitcnt lgkmcnt(1)
	v_add_f32_e32 v1, v1, v3
	v_add_u32_e32 v3, 4, v0
	v_cmp_eq_u32_e32 vcc, 1, v3
	s_waitcnt lgkmcnt(0)
	v_add_f32_e32 v2, v2, v4
	v_cndmask_b32_e32 v4, v7, v8, vcc
	v_cmp_eq_u32_e32 vcc, 2, v3
	v_cndmask_b32_e32 v4, v4, v11, vcc
	v_cmp_eq_u32_e32 vcc, 3, v3
	;; [unrolled: 2-line block ×4, first 2 shown]
	v_cndmask_b32_e32 v2, v1, v2, vcc
	v_lshl_or_b32 v0, s2, 1, v0
	v_mov_b32_e32 v1, 0
	v_lshlrev_b64 v[0:1], 2, v[0:1]
	v_mov_b32_e32 v3, s5
	v_add_co_u32_e32 v0, vcc, s4, v0
	v_addc_co_u32_e32 v1, vcc, v3, v1, vcc
	global_store_dword v[0:1], v2, off
.LBB174_13:
	s_endpgm
	.section	.rodata,"a",@progbits
	.p2align	6, 0x0
	.amdhsa_kernel _ZL13mul_mat_vec_qIL9ggml_type17ELi3ELb0ELb0EEvPKvS2_PKi31ggml_cuda_mm_fusion_args_devicePfj15HIP_vector_typeIjLj3EEjjjS8_jjjS8_jjjj
		.amdhsa_group_segment_fixed_size 1536
		.amdhsa_private_segment_fixed_size 0
		.amdhsa_kernarg_size 144
		.amdhsa_user_sgpr_count 6
		.amdhsa_user_sgpr_private_segment_buffer 1
		.amdhsa_user_sgpr_dispatch_ptr 0
		.amdhsa_user_sgpr_queue_ptr 0
		.amdhsa_user_sgpr_kernarg_segment_ptr 1
		.amdhsa_user_sgpr_dispatch_id 0
		.amdhsa_user_sgpr_flat_scratch_init 0
		.amdhsa_user_sgpr_private_segment_size 0
		.amdhsa_uses_dynamic_stack 0
		.amdhsa_system_sgpr_private_segment_wavefront_offset 0
		.amdhsa_system_sgpr_workgroup_id_x 1
		.amdhsa_system_sgpr_workgroup_id_y 1
		.amdhsa_system_sgpr_workgroup_id_z 1
		.amdhsa_system_sgpr_workgroup_info 0
		.amdhsa_system_vgpr_workitem_id 1
		.amdhsa_next_free_vgpr 56
		.amdhsa_next_free_sgpr 26
		.amdhsa_reserve_vcc 1
		.amdhsa_reserve_flat_scratch 0
		.amdhsa_float_round_mode_32 0
		.amdhsa_float_round_mode_16_64 0
		.amdhsa_float_denorm_mode_32 3
		.amdhsa_float_denorm_mode_16_64 3
		.amdhsa_dx10_clamp 1
		.amdhsa_ieee_mode 1
		.amdhsa_fp16_overflow 0
		.amdhsa_exception_fp_ieee_invalid_op 0
		.amdhsa_exception_fp_denorm_src 0
		.amdhsa_exception_fp_ieee_div_zero 0
		.amdhsa_exception_fp_ieee_overflow 0
		.amdhsa_exception_fp_ieee_underflow 0
		.amdhsa_exception_fp_ieee_inexact 0
		.amdhsa_exception_int_div_zero 0
	.end_amdhsa_kernel
	.section	.text._ZL13mul_mat_vec_qIL9ggml_type17ELi3ELb0ELb0EEvPKvS2_PKi31ggml_cuda_mm_fusion_args_devicePfj15HIP_vector_typeIjLj3EEjjjS8_jjjS8_jjjj,"axG",@progbits,_ZL13mul_mat_vec_qIL9ggml_type17ELi3ELb0ELb0EEvPKvS2_PKi31ggml_cuda_mm_fusion_args_devicePfj15HIP_vector_typeIjLj3EEjjjS8_jjjS8_jjjj,comdat
.Lfunc_end174:
	.size	_ZL13mul_mat_vec_qIL9ggml_type17ELi3ELb0ELb0EEvPKvS2_PKi31ggml_cuda_mm_fusion_args_devicePfj15HIP_vector_typeIjLj3EEjjjS8_jjjS8_jjjj, .Lfunc_end174-_ZL13mul_mat_vec_qIL9ggml_type17ELi3ELb0ELb0EEvPKvS2_PKi31ggml_cuda_mm_fusion_args_devicePfj15HIP_vector_typeIjLj3EEjjjS8_jjjS8_jjjj
                                        ; -- End function
	.set _ZL13mul_mat_vec_qIL9ggml_type17ELi3ELb0ELb0EEvPKvS2_PKi31ggml_cuda_mm_fusion_args_devicePfj15HIP_vector_typeIjLj3EEjjjS8_jjjS8_jjjj.num_vgpr, 56
	.set _ZL13mul_mat_vec_qIL9ggml_type17ELi3ELb0ELb0EEvPKvS2_PKi31ggml_cuda_mm_fusion_args_devicePfj15HIP_vector_typeIjLj3EEjjjS8_jjjS8_jjjj.num_agpr, 0
	.set _ZL13mul_mat_vec_qIL9ggml_type17ELi3ELb0ELb0EEvPKvS2_PKi31ggml_cuda_mm_fusion_args_devicePfj15HIP_vector_typeIjLj3EEjjjS8_jjjS8_jjjj.numbered_sgpr, 26
	.set _ZL13mul_mat_vec_qIL9ggml_type17ELi3ELb0ELb0EEvPKvS2_PKi31ggml_cuda_mm_fusion_args_devicePfj15HIP_vector_typeIjLj3EEjjjS8_jjjS8_jjjj.num_named_barrier, 0
	.set _ZL13mul_mat_vec_qIL9ggml_type17ELi3ELb0ELb0EEvPKvS2_PKi31ggml_cuda_mm_fusion_args_devicePfj15HIP_vector_typeIjLj3EEjjjS8_jjjS8_jjjj.private_seg_size, 0
	.set _ZL13mul_mat_vec_qIL9ggml_type17ELi3ELb0ELb0EEvPKvS2_PKi31ggml_cuda_mm_fusion_args_devicePfj15HIP_vector_typeIjLj3EEjjjS8_jjjS8_jjjj.uses_vcc, 1
	.set _ZL13mul_mat_vec_qIL9ggml_type17ELi3ELb0ELb0EEvPKvS2_PKi31ggml_cuda_mm_fusion_args_devicePfj15HIP_vector_typeIjLj3EEjjjS8_jjjS8_jjjj.uses_flat_scratch, 0
	.set _ZL13mul_mat_vec_qIL9ggml_type17ELi3ELb0ELb0EEvPKvS2_PKi31ggml_cuda_mm_fusion_args_devicePfj15HIP_vector_typeIjLj3EEjjjS8_jjjS8_jjjj.has_dyn_sized_stack, 0
	.set _ZL13mul_mat_vec_qIL9ggml_type17ELi3ELb0ELb0EEvPKvS2_PKi31ggml_cuda_mm_fusion_args_devicePfj15HIP_vector_typeIjLj3EEjjjS8_jjjS8_jjjj.has_recursion, 0
	.set _ZL13mul_mat_vec_qIL9ggml_type17ELi3ELb0ELb0EEvPKvS2_PKi31ggml_cuda_mm_fusion_args_devicePfj15HIP_vector_typeIjLj3EEjjjS8_jjjS8_jjjj.has_indirect_call, 0
	.section	.AMDGPU.csdata,"",@progbits
; Kernel info:
; codeLenInByte = 6168
; TotalNumSgprs: 30
; NumVgprs: 56
; ScratchSize: 0
; MemoryBound: 0
; FloatMode: 240
; IeeeMode: 1
; LDSByteSize: 1536 bytes/workgroup (compile time only)
; SGPRBlocks: 3
; VGPRBlocks: 13
; NumSGPRsForWavesPerEU: 30
; NumVGPRsForWavesPerEU: 56
; Occupancy: 4
; WaveLimiterHint : 0
; COMPUTE_PGM_RSRC2:SCRATCH_EN: 0
; COMPUTE_PGM_RSRC2:USER_SGPR: 6
; COMPUTE_PGM_RSRC2:TRAP_HANDLER: 0
; COMPUTE_PGM_RSRC2:TGID_X_EN: 1
; COMPUTE_PGM_RSRC2:TGID_Y_EN: 1
; COMPUTE_PGM_RSRC2:TGID_Z_EN: 1
; COMPUTE_PGM_RSRC2:TIDIG_COMP_CNT: 1
	.section	.text._ZL13mul_mat_vec_qIL9ggml_type17ELi4ELb0ELb0EEvPKvS2_PKi31ggml_cuda_mm_fusion_args_devicePfj15HIP_vector_typeIjLj3EEjjjS8_jjjS8_jjjj,"axG",@progbits,_ZL13mul_mat_vec_qIL9ggml_type17ELi4ELb0ELb0EEvPKvS2_PKi31ggml_cuda_mm_fusion_args_devicePfj15HIP_vector_typeIjLj3EEjjjS8_jjjS8_jjjj,comdat
	.globl	_ZL13mul_mat_vec_qIL9ggml_type17ELi4ELb0ELb0EEvPKvS2_PKi31ggml_cuda_mm_fusion_args_devicePfj15HIP_vector_typeIjLj3EEjjjS8_jjjS8_jjjj ; -- Begin function _ZL13mul_mat_vec_qIL9ggml_type17ELi4ELb0ELb0EEvPKvS2_PKi31ggml_cuda_mm_fusion_args_devicePfj15HIP_vector_typeIjLj3EEjjjS8_jjjS8_jjjj
	.p2align	8
	.type	_ZL13mul_mat_vec_qIL9ggml_type17ELi4ELb0ELb0EEvPKvS2_PKi31ggml_cuda_mm_fusion_args_devicePfj15HIP_vector_typeIjLj3EEjjjS8_jjjS8_jjjj,@function
_ZL13mul_mat_vec_qIL9ggml_type17ELi4ELb0ELb0EEvPKvS2_PKi31ggml_cuda_mm_fusion_args_devicePfj15HIP_vector_typeIjLj3EEjjjS8_jjjS8_jjjj: ; @_ZL13mul_mat_vec_qIL9ggml_type17ELi4ELb0ELb0EEvPKvS2_PKi31ggml_cuda_mm_fusion_args_devicePfj15HIP_vector_typeIjLj3EEjjjS8_jjjS8_jjjj
; %bb.0:
	s_load_dword s9, s[4:5], 0x40
	s_load_dwordx4 s[0:3], s[4:5], 0x50
	s_load_dword s25, s[4:5], 0x60
	s_load_dwordx4 s[12:15], s[4:5], 0x68
	;; [unrolled: 2-line block ×3, first 2 shown]
	v_lshl_add_u32 v2, v1, 6, v0
	s_waitcnt lgkmcnt(0)
	s_lshr_b32 s9, s9, 8
	v_lshrrev_b32_e32 v27, 3, v2
	v_mov_b32_e32 v20, 0
	s_lshl_b32 s6, s6, 1
	v_cmp_gt_u32_e32 vcc, s9, v27
	v_mov_b32_e32 v21, v20
	v_mov_b32_e32 v22, v20
	;; [unrolled: 1-line block ×7, first 2 shown]
	s_and_saveexec_b64 s[10:11], vcc
	s_cbranch_execz .LBB175_4
; %bb.1:
	s_mul_hi_u32 s3, s3, s7
	s_add_i32 s3, s7, s3
	s_load_dwordx4 s[20:23], s[4:5], 0x0
	s_lshr_b32 s3, s3, s25
	s_mul_i32 s3, s3, s12
	s_mul_hi_u32 s12, s15, s8
	s_add_i32 s12, s8, s12
	s_lshr_b32 s12, s12, s24
	s_mul_i32 s19, s17, s8
	s_mul_i32 s15, s12, s16
	s_mul_i32 s16, s19, 36
	s_mul_hi_u32 s12, s19, 36
	s_waitcnt lgkmcnt(0)
	s_add_u32 s16, s22, s16
	s_addc_u32 s17, s23, s12
	s_mul_i32 s12, s13, s7
	s_mul_hi_u32 s13, s12, 36
	s_mul_i32 s12, s12, 36
	s_add_u32 s16, s16, s12
	s_addc_u32 s17, s17, s13
	v_lshlrev_b32_e32 v2, 1, v0
	v_and_b32_e32 v29, 7, v0
	v_and_b32_e32 v2, 14, v2
	v_mad_u64_u32 v[10:11], s[16:17], v29, 36, s[16:17]
	v_lshlrev_b32_e32 v5, 1, v2
	s_add_i32 s16, s6, 1
	v_mov_b32_e32 v2, s12
	s_add_i32 s15, s15, s3
	s_mul_i32 s3, s6, s0
	s_mul_i32 s0, s0, s16
	s_movk_i32 s16, 0x120
	v_mov_b32_e32 v3, s13
	v_mad_u64_u32 v[2:3], s[12:13], v27, s16, v[2:3]
	v_lshlrev_b32_e32 v4, 3, v27
	s_add_i32 s3, s15, s3
	v_mad_u64_u32 v[2:3], s[12:13], s19, 36, v[2:3]
	s_add_i32 s15, s15, s0
	v_add_u32_e32 v30, s1, v4
	v_mad_u64_u32 v[2:3], s[12:13], v29, 36, v[2:3]
	v_lshl_add_u32 v31, s1, 1, v4
	v_mad_u64_u32 v[12:13], s[0:1], s1, 3, v[4:5]
	v_mov_b32_e32 v4, s23
	v_add_co_u32_e32 v2, vcc, s22, v2
	v_addc_co_u32_e32 v3, vcc, v4, v3, vcc
	v_add_co_u32_e32 v13, vcc, 16, v2
	v_mov_b32_e32 v15, s20
	v_mov_b32_e32 v28, 0
	v_addc_co_u32_e32 v14, vcc, 0, v3, vcc
	s_mov_b64 s[0:1], 0
	s_movk_i32 s16, 0x4a
	v_mov_b32_e32 v16, s21
	v_lshlrev_b32_e32 v32, 1, v5
	s_mov_b32 s17, 0x1010101
	s_movk_i32 s19, 0xff00
	s_mov_b32 s20, 0xc0c0105
	v_mov_b32_e32 v33, 8
	v_mov_b32_e32 v19, 0
	;; [unrolled: 1-line block ×9, first 2 shown]
.LBB175_2:                              ; =>This Inner Loop Header: Depth=1
	v_add_u32_e32 v17, s3, v27
	v_mad_i64_i32 v[17:18], s[12:13], v17, s16, v[15:16]
	global_load_dword v46, v[13:14], off offset:16
	global_load_dwordx4 v[2:5], v[13:14], off
	global_load_dwordx4 v[6:9], v[13:14], off offset:-16
	s_getpc_b64 s[12:13]
	s_add_u32 s12, s12, _ZL10iq2xs_grid@rel32@lo+4
	s_addc_u32 s13, s13, _ZL10iq2xs_grid@rel32@hi+12
	v_add_co_u32_e32 v34, vcc, v17, v32
	v_addc_co_u32_e32 v35, vcc, 0, v18, vcc
	global_load_dwordx2 v[38:39], v[34:35], off offset:2
	v_add_co_u32_e32 v34, vcc, v17, v29
	v_addc_co_u32_e32 v35, vcc, 0, v18, vcc
	global_load_ubyte v42, v[34:35], off offset:66
	s_waitcnt vmcnt(2)
	v_cvt_f32_f16_e32 v47, v6
	global_load_ushort v17, v[17:18], off
	s_waitcnt vmcnt(2)
	v_and_b32_e32 v6, 0x1ff, v38
	v_lshlrev_b32_e32 v6, 3, v6
	global_load_dwordx2 v[34:35], v6, s[12:13]
	v_bfe_u32 v6, v38, 9, 7
	v_bcnt_u32_b32 v36, v6, 0
	v_and_b32_e32 v36, 1, v36
	v_lshl_or_b32 v6, v36, 7, v6
	v_mul_lo_u32 v36, v6, s17
	v_and_b32_e32 v6, 0x8040201, v36
	v_cmp_ne_u16_sdwa s[22:23], v6, v28 src0_sel:BYTE_3 src1_sel:DWORD
	v_cmp_ne_u16_sdwa s[24:25], v6, v28 src0_sel:BYTE_1 src1_sel:DWORD
	v_lshrrev_b32_e32 v37, 18, v36
	v_cndmask_b32_e64 v40, 0, -1, s[24:25]
	v_cndmask_b32_e64 v43, 0, -1, s[22:23]
	v_bfe_i32 v6, v36, 0, 1
	v_lshlrev_b16_e32 v40, 8, v40
	v_bfe_i32 v37, v37, 0, 1
	v_lshlrev_b16_e32 v43, 8, v43
	v_or_b32_sdwa v41, v6, v40 dst_sel:DWORD dst_unused:UNUSED_PAD src0_sel:BYTE_0 src1_sel:DWORD
	v_or_b32_sdwa v44, v37, v43 dst_sel:WORD_1 dst_unused:UNUSED_PAD src0_sel:BYTE_0 src1_sel:DWORD
	v_or_b32_sdwa v41, v41, v44 dst_sel:DWORD dst_unused:UNUSED_PAD src0_sel:WORD_0 src1_sel:DWORD
	v_lshlrev_b16_e32 v6, 8, v6
	v_lshlrev_b16_e32 v37, 8, v37
	s_waitcnt vmcnt(0)
	v_xor_b32_e32 v34, v34, v41
	v_and_b32_e32 v41, 0xffffff00, v34
	v_sub_i16 v40, v41, v40 clamp
	v_lshlrev_b16_e32 v41, 8, v34
	v_sub_i16 v6, v41, v6 clamp
	v_perm_b32 v6, v6, v40, s20
	v_and_b32_sdwa v40, v34, s19 dst_sel:DWORD dst_unused:UNUSED_PAD src0_sel:WORD_1 src1_sel:DWORD
	v_lshlrev_b16_sdwa v34, v33, v34 dst_sel:DWORD dst_unused:UNUSED_PAD src0_sel:DWORD src1_sel:WORD_1
	v_sub_i16 v40, v40, v43 clamp
	v_sub_i16 v34, v34, v37 clamp
	v_perm_b32 v34, v34, v40, s20
	v_lshl_or_b32 v6, v34, 16, v6
	v_and_b32_e32 v34, 0x80402010, v36
	v_cmp_ne_u16_sdwa s[22:23], v34, v28 src0_sel:BYTE_3 src1_sel:DWORD
	v_cmp_ne_u16_sdwa s[24:25], v34, v28 src0_sel:BYTE_1 src1_sel:DWORD
	v_lshrrev_b32_e32 v36, 22, v36
	v_lshrrev_b16_e32 v34, 4, v34
	v_cndmask_b32_e64 v37, 0, -1, s[24:25]
	v_cndmask_b32_e64 v41, 0, -1, s[22:23]
	v_bfe_i32 v34, v34, 0, 1
	v_lshlrev_b16_e32 v37, 8, v37
	v_bfe_i32 v36, v36, 0, 1
	v_lshlrev_b16_e32 v41, 8, v41
	v_or_b32_sdwa v40, v34, v37 dst_sel:DWORD dst_unused:UNUSED_PAD src0_sel:BYTE_0 src1_sel:DWORD
	v_or_b32_sdwa v43, v36, v41 dst_sel:WORD_1 dst_unused:UNUSED_PAD src0_sel:BYTE_0 src1_sel:DWORD
	v_or_b32_sdwa v40, v40, v43 dst_sel:DWORD dst_unused:UNUSED_PAD src0_sel:WORD_0 src1_sel:DWORD
	v_xor_b32_e32 v35, v35, v40
	v_and_b32_e32 v40, 0xffffff00, v35
	v_sub_i16 v37, v40, v37 clamp
	v_lshlrev_b16_e32 v40, 8, v35
	v_lshlrev_b16_e32 v34, 8, v34
	v_sub_i16 v34, v40, v34 clamp
	v_perm_b32 v34, v34, v37, s20
	v_and_b32_sdwa v37, v35, s19 dst_sel:DWORD dst_unused:UNUSED_PAD src0_sel:WORD_1 src1_sel:DWORD
	v_lshlrev_b16_sdwa v35, v33, v35 dst_sel:DWORD dst_unused:UNUSED_PAD src0_sel:DWORD src1_sel:WORD_1
	v_lshlrev_b16_e32 v36, 8, v36
	v_sub_i16 v37, v37, v41 clamp
	v_sub_i16 v35, v35, v36 clamp
	v_perm_b32 v35, v35, v37, s20
	v_lshl_or_b32 v34, v35, 16, v34
	v_dot4_i32_i8 v35, v6, v7, 0
	v_dot4_i32_i8 v37, v34, v8, v35
	v_lshrrev_b32_e32 v35, 13, v38
	v_and_b32_e32 v35, 0xff8, v35
	global_load_dwordx2 v[35:36], v35, s[12:13]
	v_lshrrev_b32_e32 v40, 25, v38
	v_bcnt_u32_b32 v40, v40, 0
	v_and_b32_e32 v40, 1, v40
	v_alignbit_b32 v38, v40, v38, 25
	v_mul_lo_u32 v38, v38, s17
	v_and_b32_e32 v40, 0x8040201, v38
	v_cmp_ne_u16_sdwa s[22:23], v40, v28 src0_sel:BYTE_3 src1_sel:DWORD
	v_cmp_ne_u16_sdwa s[24:25], v40, v28 src0_sel:BYTE_1 src1_sel:DWORD
	v_lshrrev_b32_e32 v41, 18, v38
	v_cndmask_b32_e64 v43, 0, -1, s[24:25]
	v_cndmask_b32_e64 v45, 0, -1, s[22:23]
	v_bfe_i32 v40, v38, 0, 1
	v_lshlrev_b16_e32 v43, 8, v43
	v_bfe_i32 v41, v41, 0, 1
	v_lshlrev_b16_e32 v45, 8, v45
	v_or_b32_sdwa v44, v40, v43 dst_sel:DWORD dst_unused:UNUSED_PAD src0_sel:BYTE_0 src1_sel:DWORD
	v_or_b32_sdwa v48, v41, v45 dst_sel:WORD_1 dst_unused:UNUSED_PAD src0_sel:BYTE_0 src1_sel:DWORD
	v_or_b32_sdwa v44, v44, v48 dst_sel:DWORD dst_unused:UNUSED_PAD src0_sel:WORD_0 src1_sel:DWORD
	v_lshlrev_b16_e32 v40, 8, v40
	v_lshlrev_b16_e32 v41, 8, v41
	s_waitcnt vmcnt(0)
	v_xor_b32_e32 v35, v35, v44
	v_and_b32_e32 v44, 0xffffff00, v35
	v_sub_i16 v43, v44, v43 clamp
	v_lshlrev_b16_e32 v44, 8, v35
	v_sub_i16 v40, v44, v40 clamp
	v_perm_b32 v40, v40, v43, s20
	v_and_b32_sdwa v43, v35, s19 dst_sel:DWORD dst_unused:UNUSED_PAD src0_sel:WORD_1 src1_sel:DWORD
	v_lshlrev_b16_sdwa v35, v33, v35 dst_sel:DWORD dst_unused:UNUSED_PAD src0_sel:DWORD src1_sel:WORD_1
	v_sub_i16 v43, v43, v45 clamp
	v_sub_i16 v35, v35, v41 clamp
	v_perm_b32 v35, v35, v43, s20
	v_lshl_or_b32 v35, v35, 16, v40
	v_and_b32_e32 v40, 0x80402010, v38
	v_cmp_ne_u16_sdwa s[22:23], v40, v28 src0_sel:BYTE_3 src1_sel:DWORD
	v_cmp_ne_u16_sdwa s[24:25], v40, v28 src0_sel:BYTE_1 src1_sel:DWORD
	v_lshrrev_b32_e32 v38, 22, v38
	v_lshrrev_b16_e32 v40, 4, v40
	v_cndmask_b32_e64 v41, 0, -1, s[24:25]
	v_cndmask_b32_e64 v44, 0, -1, s[22:23]
	v_bfe_i32 v40, v40, 0, 1
	v_lshlrev_b16_e32 v41, 8, v41
	v_bfe_i32 v38, v38, 0, 1
	v_lshlrev_b16_e32 v44, 8, v44
	v_or_b32_sdwa v43, v40, v41 dst_sel:DWORD dst_unused:UNUSED_PAD src0_sel:BYTE_0 src1_sel:DWORD
	v_or_b32_sdwa v45, v38, v44 dst_sel:WORD_1 dst_unused:UNUSED_PAD src0_sel:BYTE_0 src1_sel:DWORD
	v_or_b32_sdwa v43, v43, v45 dst_sel:DWORD dst_unused:UNUSED_PAD src0_sel:WORD_0 src1_sel:DWORD
	v_xor_b32_e32 v36, v36, v43
	v_and_b32_e32 v43, 0xffffff00, v36
	v_sub_i16 v41, v43, v41 clamp
	v_lshlrev_b16_e32 v43, 8, v36
	v_lshlrev_b16_e32 v40, 8, v40
	v_sub_i16 v40, v43, v40 clamp
	v_perm_b32 v40, v40, v41, s20
	v_and_b32_sdwa v41, v36, s19 dst_sel:DWORD dst_unused:UNUSED_PAD src0_sel:WORD_1 src1_sel:DWORD
	v_lshlrev_b16_sdwa v36, v33, v36 dst_sel:DWORD dst_unused:UNUSED_PAD src0_sel:DWORD src1_sel:WORD_1
	v_lshlrev_b16_e32 v38, 8, v38
	v_sub_i16 v41, v41, v44 clamp
	v_sub_i16 v36, v36, v38 clamp
	v_perm_b32 v36, v36, v41, s20
	v_lshl_or_b32 v36, v36, 16, v40
	v_dot4_i32_i8 v37, v35, v9, v37
	v_dot4_i32_i8 v43, v36, v2, v37
	v_and_b32_e32 v37, 0x1ff, v39
	v_lshlrev_b32_e32 v37, 3, v37
	global_load_dwordx2 v[37:38], v37, s[12:13]
	v_bfe_u32 v40, v39, 9, 7
	v_bcnt_u32_b32 v41, v40, 0
	v_and_b32_e32 v41, 1, v41
	v_lshl_or_b32 v40, v41, 7, v40
	v_mul_lo_u32 v40, v40, s17
	v_and_b32_e32 v41, 0x8040201, v40
	v_cmp_ne_u16_sdwa s[22:23], v41, v28 src0_sel:BYTE_3 src1_sel:DWORD
	v_cmp_ne_u16_sdwa s[24:25], v41, v28 src0_sel:BYTE_1 src1_sel:DWORD
	v_lshrrev_b32_e32 v44, 18, v40
	v_cndmask_b32_e64 v45, 0, -1, s[24:25]
	v_cndmask_b32_e64 v49, 0, -1, s[22:23]
	v_bfe_i32 v41, v40, 0, 1
	v_lshlrev_b16_e32 v45, 8, v45
	v_bfe_i32 v44, v44, 0, 1
	v_lshlrev_b16_e32 v49, 8, v49
	v_or_b32_sdwa v48, v41, v45 dst_sel:DWORD dst_unused:UNUSED_PAD src0_sel:BYTE_0 src1_sel:DWORD
	v_or_b32_sdwa v50, v44, v49 dst_sel:WORD_1 dst_unused:UNUSED_PAD src0_sel:BYTE_0 src1_sel:DWORD
	v_or_b32_sdwa v48, v48, v50 dst_sel:DWORD dst_unused:UNUSED_PAD src0_sel:WORD_0 src1_sel:DWORD
	v_lshlrev_b16_e32 v41, 8, v41
	v_lshlrev_b16_e32 v44, 8, v44
	s_waitcnt vmcnt(0)
	v_xor_b32_e32 v37, v37, v48
	v_and_b32_e32 v48, 0xffffff00, v37
	v_sub_i16 v45, v48, v45 clamp
	v_lshlrev_b16_e32 v48, 8, v37
	v_sub_i16 v41, v48, v41 clamp
	v_perm_b32 v41, v41, v45, s20
	v_and_b32_sdwa v45, v37, s19 dst_sel:DWORD dst_unused:UNUSED_PAD src0_sel:WORD_1 src1_sel:DWORD
	v_lshlrev_b16_sdwa v37, v33, v37 dst_sel:DWORD dst_unused:UNUSED_PAD src0_sel:DWORD src1_sel:WORD_1
	v_sub_i16 v45, v45, v49 clamp
	v_sub_i16 v37, v37, v44 clamp
	v_perm_b32 v37, v37, v45, s20
	v_lshl_or_b32 v37, v37, 16, v41
	v_and_b32_e32 v41, 0x80402010, v40
	v_cmp_ne_u16_sdwa s[22:23], v41, v28 src0_sel:BYTE_3 src1_sel:DWORD
	v_cmp_ne_u16_sdwa s[24:25], v41, v28 src0_sel:BYTE_1 src1_sel:DWORD
	v_lshrrev_b32_e32 v40, 22, v40
	v_lshrrev_b16_e32 v41, 4, v41
	v_cndmask_b32_e64 v44, 0, -1, s[24:25]
	v_cndmask_b32_e64 v48, 0, -1, s[22:23]
	v_bfe_i32 v41, v41, 0, 1
	v_lshlrev_b16_e32 v44, 8, v44
	v_bfe_i32 v40, v40, 0, 1
	v_lshlrev_b16_e32 v48, 8, v48
	v_or_b32_sdwa v45, v41, v44 dst_sel:DWORD dst_unused:UNUSED_PAD src0_sel:BYTE_0 src1_sel:DWORD
	v_or_b32_sdwa v49, v40, v48 dst_sel:WORD_1 dst_unused:UNUSED_PAD src0_sel:BYTE_0 src1_sel:DWORD
	v_or_b32_sdwa v45, v45, v49 dst_sel:DWORD dst_unused:UNUSED_PAD src0_sel:WORD_0 src1_sel:DWORD
	v_xor_b32_e32 v38, v38, v45
	v_and_b32_e32 v45, 0xffffff00, v38
	v_sub_i16 v44, v45, v44 clamp
	v_lshlrev_b16_e32 v45, 8, v38
	v_lshlrev_b16_e32 v41, 8, v41
	v_sub_i16 v41, v45, v41 clamp
	v_perm_b32 v41, v41, v44, s20
	v_and_b32_sdwa v44, v38, s19 dst_sel:DWORD dst_unused:UNUSED_PAD src0_sel:WORD_1 src1_sel:DWORD
	v_lshlrev_b16_sdwa v38, v33, v38 dst_sel:DWORD dst_unused:UNUSED_PAD src0_sel:DWORD src1_sel:WORD_1
	v_lshlrev_b16_e32 v40, 8, v40
	v_sub_i16 v44, v44, v48 clamp
	v_sub_i16 v38, v38, v40 clamp
	v_perm_b32 v38, v38, v44, s20
	v_lshl_or_b32 v38, v38, 16, v41
	v_dot4_i32_i8 v40, v37, v3, 0
	v_dot4_i32_i8 v44, v38, v4, v40
	v_lshrrev_b32_e32 v40, 13, v39
	v_and_b32_e32 v40, 0xff8, v40
	global_load_dwordx2 v[40:41], v40, s[12:13]
	v_lshrrev_b32_e32 v45, 25, v39
	v_bcnt_u32_b32 v45, v45, 0
	v_and_b32_e32 v45, 1, v45
	v_alignbit_b32 v39, v45, v39, 25
	v_mul_lo_u32 v45, v39, s17
	v_and_b32_e32 v39, 0x8040201, v45
	v_cmp_ne_u16_sdwa s[22:23], v39, v28 src0_sel:BYTE_3 src1_sel:DWORD
	v_cmp_ne_u16_sdwa s[24:25], v39, v28 src0_sel:BYTE_1 src1_sel:DWORD
	v_lshrrev_b32_e32 v48, 18, v45
	v_cndmask_b32_e64 v49, 0, -1, s[24:25]
	v_cndmask_b32_e64 v51, 0, -1, s[22:23]
	v_bfe_i32 v39, v45, 0, 1
	v_lshlrev_b16_e32 v49, 8, v49
	v_bfe_i32 v48, v48, 0, 1
	v_lshlrev_b16_e32 v51, 8, v51
	v_or_b32_sdwa v50, v39, v49 dst_sel:DWORD dst_unused:UNUSED_PAD src0_sel:BYTE_0 src1_sel:DWORD
	v_or_b32_sdwa v52, v48, v51 dst_sel:WORD_1 dst_unused:UNUSED_PAD src0_sel:BYTE_0 src1_sel:DWORD
	v_or_b32_sdwa v50, v50, v52 dst_sel:DWORD dst_unused:UNUSED_PAD src0_sel:WORD_0 src1_sel:DWORD
	v_lshlrev_b16_e32 v39, 8, v39
	v_lshlrev_b16_e32 v48, 8, v48
	s_waitcnt vmcnt(0)
	v_xor_b32_e32 v40, v40, v50
	v_and_b32_e32 v50, 0xffffff00, v40
	v_sub_i16 v49, v50, v49 clamp
	v_lshlrev_b16_e32 v50, 8, v40
	v_sub_i16 v39, v50, v39 clamp
	v_perm_b32 v39, v39, v49, s20
	v_and_b32_sdwa v49, v40, s19 dst_sel:DWORD dst_unused:UNUSED_PAD src0_sel:WORD_1 src1_sel:DWORD
	v_lshlrev_b16_sdwa v40, v33, v40 dst_sel:DWORD dst_unused:UNUSED_PAD src0_sel:DWORD src1_sel:WORD_1
	v_sub_i16 v49, v49, v51 clamp
	v_sub_i16 v40, v40, v48 clamp
	v_perm_b32 v40, v40, v49, s20
	v_lshl_or_b32 v39, v40, 16, v39
	v_and_b32_e32 v40, 0x80402010, v45
	v_cmp_ne_u16_sdwa s[22:23], v40, v28 src0_sel:BYTE_3 src1_sel:DWORD
	v_cmp_ne_u16_sdwa s[24:25], v40, v28 src0_sel:BYTE_1 src1_sel:DWORD
	v_lshrrev_b32_e32 v45, 22, v45
	v_lshrrev_b16_e32 v40, 4, v40
	v_cndmask_b32_e64 v48, 0, -1, s[24:25]
	v_cndmask_b32_e64 v50, 0, -1, s[22:23]
	v_bfe_i32 v40, v40, 0, 1
	v_lshlrev_b16_e32 v48, 8, v48
	v_bfe_i32 v45, v45, 0, 1
	v_lshlrev_b16_e32 v50, 8, v50
	v_or_b32_sdwa v49, v40, v48 dst_sel:DWORD dst_unused:UNUSED_PAD src0_sel:BYTE_0 src1_sel:DWORD
	v_or_b32_sdwa v51, v45, v50 dst_sel:WORD_1 dst_unused:UNUSED_PAD src0_sel:BYTE_0 src1_sel:DWORD
	v_or_b32_sdwa v49, v49, v51 dst_sel:DWORD dst_unused:UNUSED_PAD src0_sel:WORD_0 src1_sel:DWORD
	v_xor_b32_e32 v41, v41, v49
	v_and_b32_e32 v49, 0xffffff00, v41
	v_sub_i16 v48, v49, v48 clamp
	v_lshlrev_b16_e32 v49, 8, v41
	v_lshlrev_b16_e32 v40, 8, v40
	v_sub_i16 v40, v49, v40 clamp
	v_perm_b32 v40, v40, v48, s20
	v_and_b32_sdwa v48, v41, s19 dst_sel:DWORD dst_unused:UNUSED_PAD src0_sel:WORD_1 src1_sel:DWORD
	v_lshlrev_b16_sdwa v41, v33, v41 dst_sel:DWORD dst_unused:UNUSED_PAD src0_sel:DWORD src1_sel:WORD_1
	v_lshlrev_b16_e32 v45, 8, v45
	v_sub_i16 v48, v48, v50 clamp
	v_sub_i16 v41, v41, v45 clamp
	v_perm_b32 v41, v41, v48, s20
	v_lshl_or_b32 v40, v41, 16, v40
	v_dot4_i32_i8 v41, v39, v5, v44
	v_dot4_i32_i8 v44, v40, v46, v41
	v_lshrrev_b32_e32 v41, 4, v42
	v_and_b32_e32 v42, 15, v42
	v_mul_lo_u32 v45, v43, v42
	v_mul_lo_u32 v48, v44, v41
	v_add_u32_e32 v43, v44, v43
	v_lshrrev_b32_e32 v44, 31, v43
	v_add_u32_e32 v43, v43, v44
	v_ashrrev_i32_e32 v43, 1, v43
	v_add3_u32 v43, v48, v45, v43
	v_ashrrev_i32_e32 v44, 31, v43
	v_lshrrev_b32_e32 v44, 30, v44
	v_add_u32_e32 v43, v43, v44
	v_ashrrev_i32_e32 v44, 2, v43
	v_cvt_f32_f16_e32 v43, v17
	v_cvt_f32_i32_e32 v18, v44
	v_mul_f32_e32 v17, v43, v47
	v_fmac_f32_e32 v26, v17, v18
	v_add_u32_e32 v17, s15, v27
	v_mad_i64_i32 v[17:18], s[22:23], v17, s16, v[15:16]
	v_add_u32_e32 v27, 16, v27
	v_add_co_u32_e32 v44, vcc, v17, v32
	v_addc_co_u32_e32 v45, vcc, 0, v18, vcc
	global_load_dwordx2 v[48:49], v[44:45], off offset:2
	v_add_co_u32_e32 v44, vcc, v17, v29
	v_addc_co_u32_e32 v45, vcc, 0, v18, vcc
	global_load_ubyte v52, v[44:45], off offset:66
	v_add_co_u32_e32 v13, vcc, 0x1200, v13
	global_load_ushort v17, v[17:18], off
	v_addc_co_u32_e32 v14, vcc, 0, v14, vcc
	v_cmp_le_u32_e32 vcc, s9, v27
	s_or_b64 s[0:1], vcc, s[0:1]
	s_waitcnt vmcnt(2)
	v_and_b32_e32 v44, 0x1ff, v48
	v_lshlrev_b32_e32 v44, 3, v44
	global_load_dwordx2 v[44:45], v44, s[12:13]
	v_bfe_u32 v50, v48, 9, 7
	v_bcnt_u32_b32 v51, v50, 0
	v_and_b32_e32 v51, 1, v51
	v_lshl_or_b32 v50, v51, 7, v50
	v_mul_lo_u32 v50, v50, s17
	s_waitcnt vmcnt(1)
	v_cvt_f32_f16_e32 v17, v17
	v_and_b32_e32 v51, 0x8040201, v50
	v_cmp_ne_u16_sdwa s[22:23], v51, v28 src0_sel:BYTE_3 src1_sel:DWORD
	v_cmp_ne_u16_sdwa s[24:25], v51, v28 src0_sel:BYTE_1 src1_sel:DWORD
	v_lshrrev_b32_e32 v53, 18, v50
	v_cndmask_b32_e64 v54, 0, -1, s[24:25]
	v_cndmask_b32_e64 v56, 0, -1, s[22:23]
	v_bfe_i32 v51, v50, 0, 1
	v_lshlrev_b16_e32 v54, 8, v54
	v_bfe_i32 v53, v53, 0, 1
	v_lshlrev_b16_e32 v56, 8, v56
	v_or_b32_sdwa v55, v51, v54 dst_sel:DWORD dst_unused:UNUSED_PAD src0_sel:BYTE_0 src1_sel:DWORD
	v_or_b32_sdwa v57, v53, v56 dst_sel:WORD_1 dst_unused:UNUSED_PAD src0_sel:BYTE_0 src1_sel:DWORD
	v_or_b32_sdwa v55, v55, v57 dst_sel:DWORD dst_unused:UNUSED_PAD src0_sel:WORD_0 src1_sel:DWORD
	v_lshlrev_b16_e32 v51, 8, v51
	v_lshlrev_b16_e32 v53, 8, v53
	v_mul_f32_e32 v18, v17, v47
	s_waitcnt vmcnt(0)
	v_xor_b32_e32 v44, v44, v55
	v_and_b32_e32 v55, 0xffffff00, v44
	v_sub_i16 v54, v55, v54 clamp
	v_lshlrev_b16_e32 v55, 8, v44
	v_sub_i16 v51, v55, v51 clamp
	v_perm_b32 v51, v51, v54, s20
	v_and_b32_sdwa v54, v44, s19 dst_sel:DWORD dst_unused:UNUSED_PAD src0_sel:WORD_1 src1_sel:DWORD
	v_lshlrev_b16_sdwa v44, v33, v44 dst_sel:DWORD dst_unused:UNUSED_PAD src0_sel:DWORD src1_sel:WORD_1
	v_sub_i16 v54, v54, v56 clamp
	v_sub_i16 v44, v44, v53 clamp
	v_perm_b32 v44, v44, v54, s20
	v_lshl_or_b32 v44, v44, 16, v51
	v_and_b32_e32 v51, 0x80402010, v50
	v_cmp_ne_u16_sdwa s[22:23], v51, v28 src0_sel:BYTE_3 src1_sel:DWORD
	v_cmp_ne_u16_sdwa s[24:25], v51, v28 src0_sel:BYTE_1 src1_sel:DWORD
	v_lshrrev_b32_e32 v50, 22, v50
	v_lshrrev_b16_e32 v51, 4, v51
	v_cndmask_b32_e64 v53, 0, -1, s[24:25]
	v_cndmask_b32_e64 v55, 0, -1, s[22:23]
	v_bfe_i32 v51, v51, 0, 1
	v_lshlrev_b16_e32 v53, 8, v53
	v_bfe_i32 v50, v50, 0, 1
	v_lshlrev_b16_e32 v55, 8, v55
	v_or_b32_sdwa v54, v51, v53 dst_sel:DWORD dst_unused:UNUSED_PAD src0_sel:BYTE_0 src1_sel:DWORD
	v_or_b32_sdwa v56, v50, v55 dst_sel:WORD_1 dst_unused:UNUSED_PAD src0_sel:BYTE_0 src1_sel:DWORD
	v_or_b32_sdwa v54, v54, v56 dst_sel:DWORD dst_unused:UNUSED_PAD src0_sel:WORD_0 src1_sel:DWORD
	v_xor_b32_e32 v45, v45, v54
	v_and_b32_e32 v54, 0xffffff00, v45
	v_sub_i16 v53, v54, v53 clamp
	v_lshlrev_b16_e32 v54, 8, v45
	v_lshlrev_b16_e32 v51, 8, v51
	v_sub_i16 v51, v54, v51 clamp
	v_perm_b32 v51, v51, v53, s20
	v_and_b32_sdwa v53, v45, s19 dst_sel:DWORD dst_unused:UNUSED_PAD src0_sel:WORD_1 src1_sel:DWORD
	v_lshlrev_b16_sdwa v45, v33, v45 dst_sel:DWORD dst_unused:UNUSED_PAD src0_sel:DWORD src1_sel:WORD_1
	v_lshlrev_b16_e32 v50, 8, v50
	v_sub_i16 v53, v53, v55 clamp
	v_sub_i16 v45, v45, v50 clamp
	v_perm_b32 v45, v45, v53, s20
	v_lshl_or_b32 v45, v45, 16, v51
	v_dot4_i32_i8 v7, v44, v7, 0
	v_dot4_i32_i8 v50, v45, v8, v7
	v_lshrrev_b32_e32 v7, 13, v48
	v_and_b32_e32 v7, 0xff8, v7
	global_load_dwordx2 v[7:8], v7, s[12:13]
	v_lshrrev_b32_e32 v51, 25, v48
	v_bcnt_u32_b32 v51, v51, 0
	v_and_b32_e32 v51, 1, v51
	v_alignbit_b32 v48, v51, v48, 25
	v_mul_lo_u32 v48, v48, s17
	v_and_b32_e32 v51, 0x8040201, v48
	v_cmp_ne_u16_sdwa s[22:23], v51, v28 src0_sel:BYTE_3 src1_sel:DWORD
	v_cmp_ne_u16_sdwa s[24:25], v51, v28 src0_sel:BYTE_1 src1_sel:DWORD
	v_lshrrev_b32_e32 v53, 18, v48
	v_cndmask_b32_e64 v54, 0, -1, s[24:25]
	v_cndmask_b32_e64 v56, 0, -1, s[22:23]
	v_bfe_i32 v51, v48, 0, 1
	v_lshlrev_b16_e32 v54, 8, v54
	v_bfe_i32 v53, v53, 0, 1
	v_lshlrev_b16_e32 v56, 8, v56
	v_or_b32_sdwa v55, v51, v54 dst_sel:DWORD dst_unused:UNUSED_PAD src0_sel:BYTE_0 src1_sel:DWORD
	v_or_b32_sdwa v57, v53, v56 dst_sel:WORD_1 dst_unused:UNUSED_PAD src0_sel:BYTE_0 src1_sel:DWORD
	v_or_b32_sdwa v55, v55, v57 dst_sel:DWORD dst_unused:UNUSED_PAD src0_sel:WORD_0 src1_sel:DWORD
	v_lshlrev_b16_e32 v51, 8, v51
	v_lshlrev_b16_e32 v53, 8, v53
	s_waitcnt vmcnt(0)
	v_xor_b32_e32 v7, v7, v55
	v_and_b32_e32 v55, 0xffffff00, v7
	v_sub_i16 v54, v55, v54 clamp
	v_lshlrev_b16_e32 v55, 8, v7
	v_sub_i16 v51, v55, v51 clamp
	v_perm_b32 v51, v51, v54, s20
	v_and_b32_sdwa v54, v7, s19 dst_sel:DWORD dst_unused:UNUSED_PAD src0_sel:WORD_1 src1_sel:DWORD
	v_lshlrev_b16_sdwa v7, v33, v7 dst_sel:DWORD dst_unused:UNUSED_PAD src0_sel:DWORD src1_sel:WORD_1
	v_sub_i16 v54, v54, v56 clamp
	v_sub_i16 v7, v7, v53 clamp
	v_perm_b32 v7, v7, v54, s20
	v_lshl_or_b32 v7, v7, 16, v51
	v_and_b32_e32 v51, 0x80402010, v48
	v_cmp_ne_u16_sdwa s[22:23], v51, v28 src0_sel:BYTE_3 src1_sel:DWORD
	v_cmp_ne_u16_sdwa s[24:25], v51, v28 src0_sel:BYTE_1 src1_sel:DWORD
	v_lshrrev_b32_e32 v48, 22, v48
	v_lshrrev_b16_e32 v51, 4, v51
	v_cndmask_b32_e64 v53, 0, -1, s[24:25]
	v_cndmask_b32_e64 v55, 0, -1, s[22:23]
	v_bfe_i32 v51, v51, 0, 1
	v_lshlrev_b16_e32 v53, 8, v53
	v_bfe_i32 v48, v48, 0, 1
	v_lshlrev_b16_e32 v55, 8, v55
	v_or_b32_sdwa v54, v51, v53 dst_sel:DWORD dst_unused:UNUSED_PAD src0_sel:BYTE_0 src1_sel:DWORD
	v_or_b32_sdwa v56, v48, v55 dst_sel:WORD_1 dst_unused:UNUSED_PAD src0_sel:BYTE_0 src1_sel:DWORD
	v_or_b32_sdwa v54, v54, v56 dst_sel:DWORD dst_unused:UNUSED_PAD src0_sel:WORD_0 src1_sel:DWORD
	v_xor_b32_e32 v8, v8, v54
	v_and_b32_e32 v54, 0xffffff00, v8
	v_sub_i16 v53, v54, v53 clamp
	v_lshlrev_b16_e32 v54, 8, v8
	v_lshlrev_b16_e32 v51, 8, v51
	v_sub_i16 v51, v54, v51 clamp
	v_perm_b32 v51, v51, v53, s20
	v_and_b32_sdwa v53, v8, s19 dst_sel:DWORD dst_unused:UNUSED_PAD src0_sel:WORD_1 src1_sel:DWORD
	v_lshlrev_b16_sdwa v8, v33, v8 dst_sel:DWORD dst_unused:UNUSED_PAD src0_sel:DWORD src1_sel:WORD_1
	v_lshlrev_b16_e32 v48, 8, v48
	v_sub_i16 v53, v53, v55 clamp
	v_sub_i16 v8, v8, v48 clamp
	v_perm_b32 v8, v8, v53, s20
	v_lshl_or_b32 v8, v8, 16, v51
	v_dot4_i32_i8 v9, v7, v9, v50
	v_dot4_i32_i8 v48, v8, v2, v9
	v_and_b32_e32 v2, 0x1ff, v49
	v_lshlrev_b32_e32 v2, 3, v2
	global_load_dwordx2 v[50:51], v2, s[12:13]
	v_bfe_u32 v2, v49, 9, 7
	v_bcnt_u32_b32 v9, v2, 0
	v_and_b32_e32 v9, 1, v9
	v_lshl_or_b32 v2, v9, 7, v2
	v_mul_lo_u32 v9, v2, s17
	v_and_b32_e32 v2, 0x8040201, v9
	v_cmp_ne_u16_sdwa s[22:23], v2, v28 src0_sel:BYTE_3 src1_sel:DWORD
	v_cmp_ne_u16_sdwa s[24:25], v2, v28 src0_sel:BYTE_1 src1_sel:DWORD
	v_lshrrev_b32_e32 v53, 18, v9
	v_cndmask_b32_e64 v54, 0, -1, s[24:25]
	v_cndmask_b32_e64 v56, 0, -1, s[22:23]
	v_bfe_i32 v2, v9, 0, 1
	v_lshlrev_b16_e32 v54, 8, v54
	v_bfe_i32 v53, v53, 0, 1
	v_lshlrev_b16_e32 v56, 8, v56
	v_or_b32_sdwa v55, v2, v54 dst_sel:DWORD dst_unused:UNUSED_PAD src0_sel:BYTE_0 src1_sel:DWORD
	v_or_b32_sdwa v57, v53, v56 dst_sel:WORD_1 dst_unused:UNUSED_PAD src0_sel:BYTE_0 src1_sel:DWORD
	v_or_b32_sdwa v55, v55, v57 dst_sel:DWORD dst_unused:UNUSED_PAD src0_sel:WORD_0 src1_sel:DWORD
	v_lshlrev_b16_e32 v2, 8, v2
	v_lshlrev_b16_e32 v53, 8, v53
	s_waitcnt vmcnt(0)
	v_xor_b32_e32 v50, v50, v55
	v_and_b32_e32 v55, 0xffffff00, v50
	v_sub_i16 v54, v55, v54 clamp
	v_lshlrev_b16_e32 v55, 8, v50
	v_sub_i16 v2, v55, v2 clamp
	v_perm_b32 v2, v2, v54, s20
	v_and_b32_sdwa v54, v50, s19 dst_sel:DWORD dst_unused:UNUSED_PAD src0_sel:WORD_1 src1_sel:DWORD
	v_lshlrev_b16_sdwa v50, v33, v50 dst_sel:DWORD dst_unused:UNUSED_PAD src0_sel:DWORD src1_sel:WORD_1
	v_sub_i16 v54, v54, v56 clamp
	v_sub_i16 v50, v50, v53 clamp
	v_perm_b32 v50, v50, v54, s20
	v_lshl_or_b32 v2, v50, 16, v2
	v_and_b32_e32 v50, 0x80402010, v9
	v_cmp_ne_u16_sdwa s[22:23], v50, v28 src0_sel:BYTE_3 src1_sel:DWORD
	v_cmp_ne_u16_sdwa s[24:25], v50, v28 src0_sel:BYTE_1 src1_sel:DWORD
	v_lshrrev_b32_e32 v9, 22, v9
	v_lshrrev_b16_e32 v50, 4, v50
	v_cndmask_b32_e64 v53, 0, -1, s[24:25]
	v_cndmask_b32_e64 v55, 0, -1, s[22:23]
	v_bfe_i32 v50, v50, 0, 1
	v_lshlrev_b16_e32 v53, 8, v53
	v_bfe_i32 v9, v9, 0, 1
	v_lshlrev_b16_e32 v55, 8, v55
	v_or_b32_sdwa v54, v50, v53 dst_sel:DWORD dst_unused:UNUSED_PAD src0_sel:BYTE_0 src1_sel:DWORD
	v_or_b32_sdwa v56, v9, v55 dst_sel:WORD_1 dst_unused:UNUSED_PAD src0_sel:BYTE_0 src1_sel:DWORD
	v_or_b32_sdwa v54, v54, v56 dst_sel:DWORD dst_unused:UNUSED_PAD src0_sel:WORD_0 src1_sel:DWORD
	v_xor_b32_e32 v51, v51, v54
	v_and_b32_e32 v54, 0xffffff00, v51
	v_sub_i16 v53, v54, v53 clamp
	v_lshlrev_b16_e32 v54, 8, v51
	v_lshlrev_b16_e32 v50, 8, v50
	v_sub_i16 v50, v54, v50 clamp
	v_perm_b32 v50, v50, v53, s20
	v_and_b32_sdwa v53, v51, s19 dst_sel:DWORD dst_unused:UNUSED_PAD src0_sel:WORD_1 src1_sel:DWORD
	v_lshlrev_b16_sdwa v51, v33, v51 dst_sel:DWORD dst_unused:UNUSED_PAD src0_sel:DWORD src1_sel:WORD_1
	v_lshlrev_b16_e32 v9, 8, v9
	v_sub_i16 v53, v53, v55 clamp
	v_sub_i16 v9, v51, v9 clamp
	v_perm_b32 v9, v9, v53, s20
	v_lshl_or_b32 v9, v9, 16, v50
	v_dot4_i32_i8 v3, v2, v3, 0
	v_dot4_i32_i8 v50, v9, v4, v3
	v_lshrrev_b32_e32 v3, 13, v49
	v_and_b32_e32 v3, 0xff8, v3
	global_load_dwordx2 v[3:4], v3, s[12:13]
	v_lshrrev_b32_e32 v51, 25, v49
	v_bcnt_u32_b32 v51, v51, 0
	v_and_b32_e32 v51, 1, v51
	v_alignbit_b32 v49, v51, v49, 25
	v_mul_lo_u32 v49, v49, s17
	v_and_b32_e32 v51, 0x8040201, v49
	v_cmp_ne_u16_sdwa s[12:13], v51, v28 src0_sel:BYTE_3 src1_sel:DWORD
	v_cmp_ne_u16_sdwa s[22:23], v51, v28 src0_sel:BYTE_1 src1_sel:DWORD
	v_lshrrev_b32_e32 v53, 18, v49
	v_cndmask_b32_e64 v54, 0, -1, s[22:23]
	v_cndmask_b32_e64 v56, 0, -1, s[12:13]
	v_bfe_i32 v51, v49, 0, 1
	v_lshlrev_b16_e32 v54, 8, v54
	v_bfe_i32 v53, v53, 0, 1
	v_lshlrev_b16_e32 v56, 8, v56
	v_or_b32_sdwa v55, v51, v54 dst_sel:DWORD dst_unused:UNUSED_PAD src0_sel:BYTE_0 src1_sel:DWORD
	v_or_b32_sdwa v57, v53, v56 dst_sel:WORD_1 dst_unused:UNUSED_PAD src0_sel:BYTE_0 src1_sel:DWORD
	v_or_b32_sdwa v55, v55, v57 dst_sel:DWORD dst_unused:UNUSED_PAD src0_sel:WORD_0 src1_sel:DWORD
	v_lshlrev_b16_e32 v51, 8, v51
	v_lshlrev_b16_e32 v53, 8, v53
	s_waitcnt vmcnt(0)
	v_xor_b32_e32 v3, v3, v55
	v_and_b32_e32 v55, 0xffffff00, v3
	v_sub_i16 v54, v55, v54 clamp
	v_lshlrev_b16_e32 v55, 8, v3
	v_sub_i16 v51, v55, v51 clamp
	v_perm_b32 v51, v51, v54, s20
	v_and_b32_sdwa v54, v3, s19 dst_sel:DWORD dst_unused:UNUSED_PAD src0_sel:WORD_1 src1_sel:DWORD
	v_lshlrev_b16_sdwa v3, v33, v3 dst_sel:DWORD dst_unused:UNUSED_PAD src0_sel:DWORD src1_sel:WORD_1
	v_sub_i16 v54, v54, v56 clamp
	v_sub_i16 v3, v3, v53 clamp
	v_perm_b32 v3, v3, v54, s20
	v_lshl_or_b32 v3, v3, 16, v51
	v_and_b32_e32 v51, 0x80402010, v49
	v_cmp_ne_u16_sdwa s[12:13], v51, v28 src0_sel:BYTE_3 src1_sel:DWORD
	v_cmp_ne_u16_sdwa s[22:23], v51, v28 src0_sel:BYTE_1 src1_sel:DWORD
	v_lshrrev_b32_e32 v49, 22, v49
	v_lshrrev_b16_e32 v51, 4, v51
	v_cndmask_b32_e64 v53, 0, -1, s[22:23]
	v_cndmask_b32_e64 v55, 0, -1, s[12:13]
	v_bfe_i32 v51, v51, 0, 1
	v_lshlrev_b16_e32 v53, 8, v53
	v_bfe_i32 v49, v49, 0, 1
	v_lshlrev_b16_e32 v55, 8, v55
	v_or_b32_sdwa v54, v51, v53 dst_sel:DWORD dst_unused:UNUSED_PAD src0_sel:BYTE_0 src1_sel:DWORD
	v_or_b32_sdwa v56, v49, v55 dst_sel:WORD_1 dst_unused:UNUSED_PAD src0_sel:BYTE_0 src1_sel:DWORD
	v_or_b32_sdwa v54, v54, v56 dst_sel:DWORD dst_unused:UNUSED_PAD src0_sel:WORD_0 src1_sel:DWORD
	v_xor_b32_e32 v4, v4, v54
	v_and_b32_e32 v54, 0xffffff00, v4
	v_sub_i16 v53, v54, v53 clamp
	v_lshlrev_b16_e32 v54, 8, v4
	v_lshlrev_b16_e32 v51, 8, v51
	v_sub_i16 v51, v54, v51 clamp
	v_perm_b32 v51, v51, v53, s20
	v_and_b32_sdwa v53, v4, s19 dst_sel:DWORD dst_unused:UNUSED_PAD src0_sel:WORD_1 src1_sel:DWORD
	v_lshlrev_b16_sdwa v4, v33, v4 dst_sel:DWORD dst_unused:UNUSED_PAD src0_sel:DWORD src1_sel:WORD_1
	v_lshlrev_b16_e32 v49, 8, v49
	v_sub_i16 v53, v53, v55 clamp
	v_sub_i16 v4, v4, v49 clamp
	v_perm_b32 v4, v4, v53, s20
	v_lshl_or_b32 v4, v4, 16, v51
	v_dot4_i32_i8 v5, v3, v5, v50
	v_dot4_i32_i8 v49, v4, v46, v5
	v_lshrrev_b32_e32 v5, 4, v52
	v_and_b32_e32 v46, 15, v52
	v_mul_lo_u32 v50, v48, v46
	v_mul_lo_u32 v51, v49, v5
	v_add_u32_e32 v48, v49, v48
	v_lshrrev_b32_e32 v49, 31, v48
	v_add_u32_e32 v48, v48, v49
	v_ashrrev_i32_e32 v48, 1, v48
	v_add3_u32 v48, v51, v50, v48
	v_ashrrev_i32_e32 v49, 31, v48
	v_lshrrev_b32_e32 v49, 30, v49
	v_add_u32_e32 v48, v48, v49
	v_ashrrev_i32_e32 v48, 2, v48
	v_cvt_f32_i32_e32 v47, v48
	v_mad_u64_u32 v[55:56], s[12:13], v30, 36, v[10:11]
	v_add_u32_e32 v30, 0x80, v30
	v_fmac_f32_e32 v25, v18, v47
	global_load_dword v18, v[55:56], off offset:32
	global_load_dwordx4 v[47:50], v[55:56], off offset:16
	global_load_dwordx4 v[51:54], v[55:56], off
	s_waitcnt vmcnt(1)
	v_dot4_i32_i8 v56, v37, v48, 0
	s_waitcnt vmcnt(0)
	v_dot4_i32_i8 v55, v6, v52, 0
	v_dot4_i32_i8 v55, v34, v53, v55
	;; [unrolled: 1-line block ×7, first 2 shown]
	v_mul_lo_u32 v57, v55, v42
	v_mul_lo_u32 v58, v56, v41
	v_add_u32_e32 v55, v56, v55
	v_dot4_i32_i8 v52, v44, v52, 0
	v_dot4_i32_i8 v48, v2, v48, 0
	v_lshrrev_b32_e32 v56, 31, v55
	v_dot4_i32_i8 v52, v45, v53, v52
	v_dot4_i32_i8 v48, v9, v49, v48
	v_add_u32_e32 v55, v55, v56
	v_dot4_i32_i8 v52, v7, v54, v52
	v_dot4_i32_i8 v48, v3, v50, v48
	v_ashrrev_i32_e32 v55, 1, v55
	v_dot4_i32_i8 v47, v8, v47, v52
	v_dot4_i32_i8 v18, v4, v18, v48
	v_add3_u32 v55, v58, v57, v55
	v_mul_lo_u32 v48, v47, v46
	v_mul_lo_u32 v49, v18, v5
	v_add_u32_e32 v18, v18, v47
	v_ashrrev_i32_e32 v56, 31, v55
	v_lshrrev_b32_e32 v47, 31, v18
	v_lshrrev_b32_e32 v56, 30, v56
	v_add_u32_e32 v18, v18, v47
	v_add_u32_e32 v55, v55, v56
	v_ashrrev_i32_e32 v18, 1, v18
	v_cvt_f32_f16_e32 v51, v51
	v_ashrrev_i32_e32 v55, 2, v55
	v_add3_u32 v18, v49, v48, v18
	v_cvt_f32_i32_e32 v55, v55
	v_ashrrev_i32_e32 v47, 31, v18
	v_lshrrev_b32_e32 v47, 30, v47
	v_add_u32_e32 v18, v18, v47
	v_mul_f32_e32 v56, v43, v51
	v_ashrrev_i32_e32 v18, 2, v18
	v_fmac_f32_e32 v24, v56, v55
	v_cvt_f32_i32_e32 v18, v18
	v_mad_u64_u32 v[55:56], s[12:13], v31, 36, v[10:11]
	v_mul_f32_e32 v47, v17, v51
	v_fmac_f32_e32 v23, v47, v18
	global_load_dword v18, v[55:56], off offset:32
	global_load_dwordx4 v[47:50], v[55:56], off offset:16
	global_load_dwordx4 v[51:54], v[55:56], off
	v_add_u32_e32 v31, 0x80, v31
	s_waitcnt vmcnt(1)
	v_dot4_i32_i8 v56, v37, v48, 0
	s_waitcnt vmcnt(0)
	v_dot4_i32_i8 v55, v6, v52, 0
	v_dot4_i32_i8 v55, v34, v53, v55
	;; [unrolled: 1-line block ×7, first 2 shown]
	v_mul_lo_u32 v57, v55, v42
	v_mul_lo_u32 v58, v56, v41
	v_add_u32_e32 v55, v56, v55
	v_dot4_i32_i8 v52, v44, v52, 0
	v_dot4_i32_i8 v48, v2, v48, 0
	v_lshrrev_b32_e32 v56, 31, v55
	v_dot4_i32_i8 v52, v45, v53, v52
	v_dot4_i32_i8 v48, v9, v49, v48
	v_add_u32_e32 v55, v55, v56
	v_dot4_i32_i8 v52, v7, v54, v52
	v_dot4_i32_i8 v48, v3, v50, v48
	v_ashrrev_i32_e32 v55, 1, v55
	v_dot4_i32_i8 v47, v8, v47, v52
	v_dot4_i32_i8 v18, v4, v18, v48
	v_add3_u32 v55, v58, v57, v55
	v_mul_lo_u32 v48, v47, v46
	v_mul_lo_u32 v49, v18, v5
	v_add_u32_e32 v18, v18, v47
	v_ashrrev_i32_e32 v56, 31, v55
	v_lshrrev_b32_e32 v47, 31, v18
	v_lshrrev_b32_e32 v56, 30, v56
	v_add_u32_e32 v18, v18, v47
	v_add_u32_e32 v55, v55, v56
	v_ashrrev_i32_e32 v18, 1, v18
	v_cvt_f32_f16_e32 v51, v51
	v_ashrrev_i32_e32 v55, 2, v55
	v_add3_u32 v18, v49, v48, v18
	v_cvt_f32_i32_e32 v55, v55
	v_ashrrev_i32_e32 v47, 31, v18
	v_lshrrev_b32_e32 v47, 30, v47
	v_add_u32_e32 v18, v18, v47
	v_mul_f32_e32 v56, v43, v51
	v_ashrrev_i32_e32 v18, 2, v18
	v_fmac_f32_e32 v22, v56, v55
	v_cvt_f32_i32_e32 v18, v18
	v_mad_u64_u32 v[55:56], s[12:13], v12, 36, v[10:11]
	v_mul_f32_e32 v47, v17, v51
	v_fmac_f32_e32 v21, v47, v18
	global_load_dword v18, v[55:56], off offset:32
	global_load_dwordx4 v[47:50], v[55:56], off offset:16
	global_load_dwordx4 v[51:54], v[55:56], off
	v_add_u32_e32 v12, 0x80, v12
	s_waitcnt vmcnt(1)
	v_dot4_i32_i8 v2, v2, v48, 0
	s_waitcnt vmcnt(0)
	v_dot4_i32_i8 v6, v6, v52, 0
	v_dot4_i32_i8 v6, v34, v53, v6
	;; [unrolled: 1-line block ×8, first 2 shown]
	v_mul_lo_u32 v35, v6, v42
	v_mul_lo_u32 v36, v34, v41
	v_add_u32_e32 v6, v34, v6
	v_lshrrev_b32_e32 v34, 31, v6
	v_add_u32_e32 v6, v6, v34
	v_ashrrev_i32_e32 v6, 1, v6
	v_add3_u32 v6, v36, v35, v6
	v_ashrrev_i32_e32 v34, 31, v6
	v_lshrrev_b32_e32 v34, 30, v34
	v_add_u32_e32 v6, v6, v34
	v_cvt_f32_f16_e32 v51, v51
	v_ashrrev_i32_e32 v6, 2, v6
	v_cvt_f32_i32_e32 v6, v6
	v_dot4_i32_i8 v2, v9, v49, v2
	v_mul_f32_e32 v34, v43, v51
	v_dot4_i32_i8 v2, v3, v50, v2
	v_fmac_f32_e32 v20, v34, v6
	v_dot4_i32_i8 v6, v44, v52, 0
	v_dot4_i32_i8 v6, v45, v53, v6
	;; [unrolled: 1-line block ×5, first 2 shown]
	v_mul_lo_u32 v3, v6, v46
	v_mul_lo_u32 v4, v2, v5
	v_add_u32_e32 v2, v2, v6
	v_lshrrev_b32_e32 v5, 31, v2
	v_add_u32_e32 v2, v2, v5
	v_ashrrev_i32_e32 v2, 1, v2
	v_add3_u32 v2, v4, v3, v2
	v_ashrrev_i32_e32 v3, 31, v2
	v_lshrrev_b32_e32 v3, 30, v3
	v_add_u32_e32 v2, v2, v3
	v_ashrrev_i32_e32 v2, 2, v2
	v_cvt_f32_i32_e32 v2, v2
	v_mul_f32_e32 v3, v17, v51
	v_fmac_f32_e32 v19, v3, v2
	s_andn2_b64 exec, exec, s[0:1]
	s_cbranch_execnz .LBB175_2
; %bb.3:
	s_or_b64 exec, exec, s[0:1]
.LBB175_4:
	s_or_b64 exec, exec, s[10:11]
	v_cmp_eq_u32_e32 vcc, 0, v1
	v_cmp_ne_u32_e64 s[0:1], 0, v1
	v_lshlrev_b32_e32 v2, 2, v0
	s_and_saveexec_b64 s[10:11], s[0:1]
	s_cbranch_execz .LBB175_6
; %bb.5:
	v_lshl_or_b32 v1, v1, 11, v2
	v_add_u32_e32 v1, 0xfffff800, v1
	ds_write2st64_b32 v1, v26, v25 offset1:1
	ds_write2st64_b32 v1, v24, v23 offset0:2 offset1:3
	ds_write2st64_b32 v1, v22, v21 offset0:4 offset1:5
	;; [unrolled: 1-line block ×3, first 2 shown]
.LBB175_6:
	s_or_b64 exec, exec, s[10:11]
	s_waitcnt lgkmcnt(0)
	s_barrier
	s_and_saveexec_b64 s[0:1], vcc
	s_cbranch_execz .LBB175_15
; %bb.7:
	v_mbcnt_lo_u32_b32 v1, -1, 0
	v_mbcnt_hi_u32_b32 v7, -1, v1
	ds_read2st64_b32 v[5:6], v2 offset1:1
	v_and_b32_e32 v1, 64, v7
	v_add_u32_e32 v8, 64, v1
	v_xor_b32_e32 v1, 32, v7
	v_cmp_lt_i32_e32 vcc, v1, v8
	v_cndmask_b32_e32 v1, v7, v1, vcc
	v_lshlrev_b32_e32 v1, 2, v1
	s_waitcnt lgkmcnt(0)
	v_add_f32_e32 v10, v5, v26
	v_add_f32_e32 v6, v6, v25
	ds_bpermute_b32 v11, v1, v10
	ds_bpermute_b32 v12, v1, v6
	v_xor_b32_e32 v3, 16, v7
	v_cmp_lt_i32_e32 vcc, v3, v8
	v_cndmask_b32_e32 v3, v7, v3, vcc
	v_lshlrev_b32_e32 v3, 2, v3
	s_waitcnt lgkmcnt(1)
	v_add_f32_e32 v10, v10, v11
	s_waitcnt lgkmcnt(0)
	v_add_f32_e32 v6, v6, v12
	ds_bpermute_b32 v11, v3, v10
	ds_bpermute_b32 v12, v3, v6
	v_xor_b32_e32 v4, 8, v7
	v_cmp_lt_i32_e32 vcc, v4, v8
	v_cndmask_b32_e32 v4, v7, v4, vcc
	v_lshlrev_b32_e32 v4, 2, v4
	s_waitcnt lgkmcnt(1)
	v_add_f32_e32 v10, v10, v11
	s_waitcnt lgkmcnt(0)
	;; [unrolled: 10-line block ×3, first 2 shown]
	v_add_f32_e32 v12, v12, v13
	ds_bpermute_b32 v11, v5, v10
	ds_bpermute_b32 v13, v5, v12
	v_xor_b32_e32 v9, 2, v7
	v_cmp_lt_i32_e32 vcc, v9, v8
	v_cndmask_b32_e32 v9, v7, v9, vcc
	v_lshlrev_b32_e32 v6, 2, v9
	v_xor_b32_e32 v9, 1, v7
	v_cmp_lt_i32_e32 vcc, v9, v8
	s_waitcnt lgkmcnt(1)
	v_add_f32_e32 v8, v10, v11
	s_waitcnt lgkmcnt(0)
	v_add_f32_e32 v11, v12, v13
	ds_bpermute_b32 v10, v6, v8
	ds_bpermute_b32 v12, v6, v11
	s_load_dwordx2 s[0:1], s[4:5], 0x38
	v_cndmask_b32_e32 v7, v7, v9, vcc
	s_mul_i32 s4, s14, s7
	v_lshlrev_b32_e32 v9, 2, v7
	s_waitcnt lgkmcnt(0)
	v_add_f32_e32 v7, v8, v10
	v_add_f32_e32 v10, v11, v12
	s_mul_i32 s3, s18, s8
	s_add_i32 s4, s4, s6
	ds_bpermute_b32 v8, v9, v7
	ds_bpermute_b32 v11, v9, v10
	s_add_i32 s4, s4, s3
	s_mov_b32 s5, 0
	s_lshl_b64 s[4:5], s[4:5], 2
	s_add_u32 s4, s0, s4
	v_add_u32_e32 v12, s6, v0
	s_addc_u32 s5, s1, s5
	v_cmp_gt_u32_e32 vcc, 2, v0
	v_cmp_gt_u32_e64 s[0:1], s2, v12
	s_and_b64 s[0:1], vcc, s[0:1]
	s_waitcnt lgkmcnt(1)
	v_add_f32_e32 v7, v7, v8
	s_waitcnt lgkmcnt(0)
	v_add_f32_e32 v8, v10, v11
	s_and_saveexec_b64 s[6:7], s[0:1]
	s_cbranch_execz .LBB175_9
; %bb.8:
	v_cmp_eq_u32_e32 vcc, 1, v0
	v_cndmask_b32_e32 v10, v7, v8, vcc
	v_cmp_eq_u32_e32 vcc, 2, v0
	v_cndmask_b32_e32 v10, v10, v24, vcc
	;; [unrolled: 2-line block ×7, first 2 shown]
	global_store_dword v2, v10, s[4:5]
.LBB175_9:
	s_or_b64 exec, exec, s[6:7]
	ds_read2st64_b32 v[10:11], v2 offset0:2 offset1:3
	s_waitcnt lgkmcnt(0)
	v_add_f32_e32 v10, v10, v24
	v_add_f32_e32 v11, v11, v23
	ds_bpermute_b32 v12, v1, v10
	ds_bpermute_b32 v13, v1, v11
	s_waitcnt lgkmcnt(1)
	v_add_f32_e32 v10, v10, v12
	s_waitcnt lgkmcnt(0)
	v_add_f32_e32 v11, v11, v13
	ds_bpermute_b32 v12, v3, v10
	ds_bpermute_b32 v13, v3, v11
	s_waitcnt lgkmcnt(1)
	v_add_f32_e32 v10, v10, v12
	s_waitcnt lgkmcnt(0)
	;; [unrolled: 6-line block ×6, first 2 shown]
	v_add_f32_e32 v10, v12, v13
	s_and_saveexec_b64 s[6:7], s[0:1]
	s_cbranch_execz .LBB175_11
; %bb.10:
	v_add_u32_e32 v12, 2, v0
	v_cmp_eq_u32_e32 vcc, 1, v12
	v_cndmask_b32_e32 v13, v7, v8, vcc
	v_cmp_eq_u32_e32 vcc, 2, v12
	v_cndmask_b32_e32 v13, v13, v11, vcc
	;; [unrolled: 2-line block ×7, first 2 shown]
	v_add_u32_e32 v12, s2, v0
	v_mov_b32_e32 v13, 0
	v_lshlrev_b64 v[12:13], 2, v[12:13]
	v_mov_b32_e32 v15, s5
	v_add_co_u32_e32 v12, vcc, s4, v12
	v_addc_co_u32_e32 v13, vcc, v15, v13, vcc
	global_store_dword v[12:13], v14, off
.LBB175_11:
	s_or_b64 exec, exec, s[6:7]
	ds_read2st64_b32 v[12:13], v2 offset0:4 offset1:5
	s_waitcnt lgkmcnt(0)
	v_add_f32_e32 v12, v12, v22
	v_add_f32_e32 v13, v13, v21
	ds_bpermute_b32 v14, v1, v12
	ds_bpermute_b32 v15, v1, v13
	s_waitcnt lgkmcnt(1)
	v_add_f32_e32 v12, v12, v14
	s_waitcnt lgkmcnt(0)
	v_add_f32_e32 v13, v13, v15
	ds_bpermute_b32 v14, v3, v12
	ds_bpermute_b32 v15, v3, v13
	s_waitcnt lgkmcnt(1)
	v_add_f32_e32 v12, v12, v14
	s_waitcnt lgkmcnt(0)
	;; [unrolled: 6-line block ×6, first 2 shown]
	v_add_f32_e32 v12, v14, v15
	s_and_saveexec_b64 s[6:7], s[0:1]
	s_cbranch_execz .LBB175_13
; %bb.12:
	v_add_u32_e32 v14, 4, v0
	v_cmp_eq_u32_e32 vcc, 1, v14
	v_cndmask_b32_e32 v15, v7, v8, vcc
	v_cmp_eq_u32_e32 vcc, 2, v14
	v_cndmask_b32_e32 v15, v15, v11, vcc
	v_cmp_eq_u32_e32 vcc, 3, v14
	v_cndmask_b32_e32 v15, v15, v10, vcc
	v_cmp_eq_u32_e32 vcc, 4, v14
	v_cndmask_b32_e32 v15, v15, v13, vcc
	v_cmp_eq_u32_e32 vcc, 5, v14
	v_cndmask_b32_e32 v15, v15, v12, vcc
	v_cmp_eq_u32_e32 vcc, 6, v14
	v_cndmask_b32_e32 v15, v15, v20, vcc
	v_cmp_eq_u32_e32 vcc, 7, v14
	v_cndmask_b32_e32 v16, v15, v19, vcc
	v_lshl_or_b32 v14, s2, 1, v0
	v_mov_b32_e32 v15, 0
	v_lshlrev_b64 v[14:15], 2, v[14:15]
	v_mov_b32_e32 v17, s5
	v_add_co_u32_e32 v14, vcc, s4, v14
	v_addc_co_u32_e32 v15, vcc, v17, v15, vcc
	global_store_dword v[14:15], v16, off
.LBB175_13:
	s_or_b64 exec, exec, s[6:7]
	ds_read2st64_b32 v[14:15], v2 offset0:6 offset1:7
	s_waitcnt lgkmcnt(0)
	v_add_f32_e32 v2, v14, v20
	v_add_f32_e32 v14, v15, v19
	ds_bpermute_b32 v15, v1, v2
	ds_bpermute_b32 v1, v1, v14
	s_waitcnt lgkmcnt(1)
	v_add_f32_e32 v2, v2, v15
	s_waitcnt lgkmcnt(0)
	v_add_f32_e32 v1, v14, v1
	ds_bpermute_b32 v14, v3, v2
	ds_bpermute_b32 v3, v3, v1
	s_waitcnt lgkmcnt(1)
	v_add_f32_e32 v2, v2, v14
	s_waitcnt lgkmcnt(0)
	;; [unrolled: 6-line block ×5, first 2 shown]
	v_add_f32_e32 v2, v3, v4
	ds_bpermute_b32 v3, v9, v1
	ds_bpermute_b32 v4, v9, v2
	s_and_b64 exec, exec, s[0:1]
	s_cbranch_execz .LBB175_15
; %bb.14:
	s_waitcnt lgkmcnt(1)
	v_add_f32_e32 v1, v1, v3
	v_add_u32_e32 v3, 6, v0
	v_cmp_eq_u32_e32 vcc, 1, v3
	s_waitcnt lgkmcnt(0)
	v_add_f32_e32 v2, v2, v4
	v_cndmask_b32_e32 v4, v7, v8, vcc
	v_cmp_eq_u32_e32 vcc, 2, v3
	v_cndmask_b32_e32 v4, v4, v11, vcc
	v_cmp_eq_u32_e32 vcc, 3, v3
	;; [unrolled: 2-line block ×5, first 2 shown]
	v_cndmask_b32_e32 v4, v4, v1, vcc
	v_mad_u64_u32 v[0:1], s[0:1], s2, 3, v[0:1]
	v_mov_b32_e32 v1, 0
	v_cmp_eq_u32_e32 vcc, 7, v3
	v_lshlrev_b64 v[0:1], 2, v[0:1]
	v_cndmask_b32_e32 v2, v4, v2, vcc
	v_mov_b32_e32 v3, s5
	v_add_co_u32_e32 v0, vcc, s4, v0
	v_addc_co_u32_e32 v1, vcc, v3, v1, vcc
	global_store_dword v[0:1], v2, off
.LBB175_15:
	s_endpgm
	.section	.rodata,"a",@progbits
	.p2align	6, 0x0
	.amdhsa_kernel _ZL13mul_mat_vec_qIL9ggml_type17ELi4ELb0ELb0EEvPKvS2_PKi31ggml_cuda_mm_fusion_args_devicePfj15HIP_vector_typeIjLj3EEjjjS8_jjjS8_jjjj
		.amdhsa_group_segment_fixed_size 2048
		.amdhsa_private_segment_fixed_size 0
		.amdhsa_kernarg_size 144
		.amdhsa_user_sgpr_count 6
		.amdhsa_user_sgpr_private_segment_buffer 1
		.amdhsa_user_sgpr_dispatch_ptr 0
		.amdhsa_user_sgpr_queue_ptr 0
		.amdhsa_user_sgpr_kernarg_segment_ptr 1
		.amdhsa_user_sgpr_dispatch_id 0
		.amdhsa_user_sgpr_flat_scratch_init 0
		.amdhsa_user_sgpr_private_segment_size 0
		.amdhsa_uses_dynamic_stack 0
		.amdhsa_system_sgpr_private_segment_wavefront_offset 0
		.amdhsa_system_sgpr_workgroup_id_x 1
		.amdhsa_system_sgpr_workgroup_id_y 1
		.amdhsa_system_sgpr_workgroup_id_z 1
		.amdhsa_system_sgpr_workgroup_info 0
		.amdhsa_system_vgpr_workitem_id 1
		.amdhsa_next_free_vgpr 59
		.amdhsa_next_free_sgpr 61
		.amdhsa_reserve_vcc 1
		.amdhsa_reserve_flat_scratch 0
		.amdhsa_float_round_mode_32 0
		.amdhsa_float_round_mode_16_64 0
		.amdhsa_float_denorm_mode_32 3
		.amdhsa_float_denorm_mode_16_64 3
		.amdhsa_dx10_clamp 1
		.amdhsa_ieee_mode 1
		.amdhsa_fp16_overflow 0
		.amdhsa_exception_fp_ieee_invalid_op 0
		.amdhsa_exception_fp_denorm_src 0
		.amdhsa_exception_fp_ieee_div_zero 0
		.amdhsa_exception_fp_ieee_overflow 0
		.amdhsa_exception_fp_ieee_underflow 0
		.amdhsa_exception_fp_ieee_inexact 0
		.amdhsa_exception_int_div_zero 0
	.end_amdhsa_kernel
	.section	.text._ZL13mul_mat_vec_qIL9ggml_type17ELi4ELb0ELb0EEvPKvS2_PKi31ggml_cuda_mm_fusion_args_devicePfj15HIP_vector_typeIjLj3EEjjjS8_jjjS8_jjjj,"axG",@progbits,_ZL13mul_mat_vec_qIL9ggml_type17ELi4ELb0ELb0EEvPKvS2_PKi31ggml_cuda_mm_fusion_args_devicePfj15HIP_vector_typeIjLj3EEjjjS8_jjjS8_jjjj,comdat
.Lfunc_end175:
	.size	_ZL13mul_mat_vec_qIL9ggml_type17ELi4ELb0ELb0EEvPKvS2_PKi31ggml_cuda_mm_fusion_args_devicePfj15HIP_vector_typeIjLj3EEjjjS8_jjjS8_jjjj, .Lfunc_end175-_ZL13mul_mat_vec_qIL9ggml_type17ELi4ELb0ELb0EEvPKvS2_PKi31ggml_cuda_mm_fusion_args_devicePfj15HIP_vector_typeIjLj3EEjjjS8_jjjS8_jjjj
                                        ; -- End function
	.set _ZL13mul_mat_vec_qIL9ggml_type17ELi4ELb0ELb0EEvPKvS2_PKi31ggml_cuda_mm_fusion_args_devicePfj15HIP_vector_typeIjLj3EEjjjS8_jjjS8_jjjj.num_vgpr, 59
	.set _ZL13mul_mat_vec_qIL9ggml_type17ELi4ELb0ELb0EEvPKvS2_PKi31ggml_cuda_mm_fusion_args_devicePfj15HIP_vector_typeIjLj3EEjjjS8_jjjS8_jjjj.num_agpr, 0
	.set _ZL13mul_mat_vec_qIL9ggml_type17ELi4ELb0ELb0EEvPKvS2_PKi31ggml_cuda_mm_fusion_args_devicePfj15HIP_vector_typeIjLj3EEjjjS8_jjjS8_jjjj.numbered_sgpr, 26
	.set _ZL13mul_mat_vec_qIL9ggml_type17ELi4ELb0ELb0EEvPKvS2_PKi31ggml_cuda_mm_fusion_args_devicePfj15HIP_vector_typeIjLj3EEjjjS8_jjjS8_jjjj.num_named_barrier, 0
	.set _ZL13mul_mat_vec_qIL9ggml_type17ELi4ELb0ELb0EEvPKvS2_PKi31ggml_cuda_mm_fusion_args_devicePfj15HIP_vector_typeIjLj3EEjjjS8_jjjS8_jjjj.private_seg_size, 0
	.set _ZL13mul_mat_vec_qIL9ggml_type17ELi4ELb0ELb0EEvPKvS2_PKi31ggml_cuda_mm_fusion_args_devicePfj15HIP_vector_typeIjLj3EEjjjS8_jjjS8_jjjj.uses_vcc, 1
	.set _ZL13mul_mat_vec_qIL9ggml_type17ELi4ELb0ELb0EEvPKvS2_PKi31ggml_cuda_mm_fusion_args_devicePfj15HIP_vector_typeIjLj3EEjjjS8_jjjS8_jjjj.uses_flat_scratch, 0
	.set _ZL13mul_mat_vec_qIL9ggml_type17ELi4ELb0ELb0EEvPKvS2_PKi31ggml_cuda_mm_fusion_args_devicePfj15HIP_vector_typeIjLj3EEjjjS8_jjjS8_jjjj.has_dyn_sized_stack, 0
	.set _ZL13mul_mat_vec_qIL9ggml_type17ELi4ELb0ELb0EEvPKvS2_PKi31ggml_cuda_mm_fusion_args_devicePfj15HIP_vector_typeIjLj3EEjjjS8_jjjS8_jjjj.has_recursion, 0
	.set _ZL13mul_mat_vec_qIL9ggml_type17ELi4ELb0ELb0EEvPKvS2_PKi31ggml_cuda_mm_fusion_args_devicePfj15HIP_vector_typeIjLj3EEjjjS8_jjjS8_jjjj.has_indirect_call, 0
	.section	.AMDGPU.csdata,"",@progbits
; Kernel info:
; codeLenInByte = 6880
; TotalNumSgprs: 30
; NumVgprs: 59
; ScratchSize: 0
; MemoryBound: 0
; FloatMode: 240
; IeeeMode: 1
; LDSByteSize: 2048 bytes/workgroup (compile time only)
; SGPRBlocks: 8
; VGPRBlocks: 14
; NumSGPRsForWavesPerEU: 65
; NumVGPRsForWavesPerEU: 59
; Occupancy: 4
; WaveLimiterHint : 0
; COMPUTE_PGM_RSRC2:SCRATCH_EN: 0
; COMPUTE_PGM_RSRC2:USER_SGPR: 6
; COMPUTE_PGM_RSRC2:TRAP_HANDLER: 0
; COMPUTE_PGM_RSRC2:TGID_X_EN: 1
; COMPUTE_PGM_RSRC2:TGID_Y_EN: 1
; COMPUTE_PGM_RSRC2:TGID_Z_EN: 1
; COMPUTE_PGM_RSRC2:TIDIG_COMP_CNT: 1
	.section	.text._ZL13mul_mat_vec_qIL9ggml_type17ELi5ELb0ELb0EEvPKvS2_PKi31ggml_cuda_mm_fusion_args_devicePfj15HIP_vector_typeIjLj3EEjjjS8_jjjS8_jjjj,"axG",@progbits,_ZL13mul_mat_vec_qIL9ggml_type17ELi5ELb0ELb0EEvPKvS2_PKi31ggml_cuda_mm_fusion_args_devicePfj15HIP_vector_typeIjLj3EEjjjS8_jjjS8_jjjj,comdat
	.globl	_ZL13mul_mat_vec_qIL9ggml_type17ELi5ELb0ELb0EEvPKvS2_PKi31ggml_cuda_mm_fusion_args_devicePfj15HIP_vector_typeIjLj3EEjjjS8_jjjS8_jjjj ; -- Begin function _ZL13mul_mat_vec_qIL9ggml_type17ELi5ELb0ELb0EEvPKvS2_PKi31ggml_cuda_mm_fusion_args_devicePfj15HIP_vector_typeIjLj3EEjjjS8_jjjS8_jjjj
	.p2align	8
	.type	_ZL13mul_mat_vec_qIL9ggml_type17ELi5ELb0ELb0EEvPKvS2_PKi31ggml_cuda_mm_fusion_args_devicePfj15HIP_vector_typeIjLj3EEjjjS8_jjjS8_jjjj,@function
_ZL13mul_mat_vec_qIL9ggml_type17ELi5ELb0ELb0EEvPKvS2_PKi31ggml_cuda_mm_fusion_args_devicePfj15HIP_vector_typeIjLj3EEjjjS8_jjjS8_jjjj: ; @_ZL13mul_mat_vec_qIL9ggml_type17ELi5ELb0ELb0EEvPKvS2_PKi31ggml_cuda_mm_fusion_args_devicePfj15HIP_vector_typeIjLj3EEjjjS8_jjjS8_jjjj
; %bb.0:
	s_load_dword s9, s[4:5], 0x40
	s_load_dwordx4 s[0:3], s[4:5], 0x50
	s_load_dword s25, s[4:5], 0x60
	s_load_dwordx4 s[12:15], s[4:5], 0x68
	;; [unrolled: 2-line block ×3, first 2 shown]
	v_lshl_or_b32 v2, v1, 6, v0
	s_waitcnt lgkmcnt(0)
	s_lshr_b32 s9, s9, 8
	v_lshrrev_b32_e32 v28, 3, v2
	v_mov_b32_e32 v18, 0
	s_lshl_b32 s6, s6, 1
	v_cmp_gt_u32_e32 vcc, s9, v28
	v_mov_b32_e32 v19, v18
	v_mov_b32_e32 v20, v18
	;; [unrolled: 1-line block ×9, first 2 shown]
	s_and_saveexec_b64 s[10:11], vcc
	s_cbranch_execz .LBB176_4
; %bb.1:
	s_mul_hi_u32 s3, s3, s7
	s_add_i32 s3, s7, s3
	s_load_dwordx4 s[20:23], s[4:5], 0x0
	s_lshr_b32 s3, s3, s25
	s_mul_i32 s3, s3, s12
	s_mul_hi_u32 s12, s15, s8
	s_add_i32 s12, s8, s12
	s_lshr_b32 s12, s12, s24
	s_mul_i32 s25, s17, s8
	s_mul_i32 s15, s12, s16
	s_mul_i32 s16, s25, 36
	s_mul_hi_u32 s12, s25, 36
	s_waitcnt lgkmcnt(0)
	s_add_u32 s16, s22, s16
	s_addc_u32 s17, s23, s12
	s_mul_i32 s12, s13, s7
	v_lshlrev_b32_e32 v2, 1, v0
	s_mul_hi_u32 s13, s12, 36
	s_mul_i32 s12, s12, 36
	v_and_b32_e32 v2, 14, v2
	v_lshlrev_b32_e32 v4, 1, v2
	v_mov_b32_e32 v2, s12
	s_add_u32 s16, s16, s12
	s_movk_i32 s27, 0x120
	v_mov_b32_e32 v3, s13
	s_addc_u32 s17, s17, s13
	v_mad_u64_u32 v[2:3], s[12:13], v28, s27, v[2:3]
	v_and_b32_e32 v30, 7, v0
	v_mov_b32_e32 v5, s23
	v_mad_u64_u32 v[2:3], s[12:13], s25, 36, v[2:3]
	v_mad_u64_u32 v[12:13], s[16:17], v30, 36, s[16:17]
	;; [unrolled: 1-line block ×3, first 2 shown]
	s_add_i32 s27, s6, 1
	s_add_i32 s26, s15, s3
	v_add_co_u32_e32 v2, vcc, s22, v2
	v_addc_co_u32_e32 v3, vcc, v5, v3, vcc
	s_mul_i32 s24, s6, s0
	s_mul_i32 s0, s0, s27
	v_add_co_u32_e32 v10, vcc, 16, v2
	v_mov_b32_e32 v14, s20
	v_mov_b32_e32 v29, 0
	s_lshl_b32 s3, s1, 1
	s_mul_i32 s15, s1, 3
	s_lshl_b32 s19, s1, 2
	s_add_i32 s24, s26, s24
	s_add_i32 s0, s26, s0
	v_lshlrev_b32_e32 v31, 3, v28
	v_addc_co_u32_e32 v11, vcc, 0, v3, vcc
	s_mov_b64 s[12:13], 0
	s_movk_i32 s22, 0x4a
	v_lshlrev_b32_e32 v32, 1, v4
	s_mov_b32 s23, 0x1010101
	s_movk_i32 s25, 0xff00
	s_mov_b32 s26, 0xc0c0105
	v_mov_b32_e32 v33, 8
	v_mov_b32_e32 v18, 0
	;; [unrolled: 1-line block ×12, first 2 shown]
.LBB176_2:                              ; =>This Inner Loop Header: Depth=1
	v_add_u32_e32 v16, s24, v28
	v_mad_i64_i32 v[16:17], s[16:17], v16, s22, v[14:15]
	global_load_dword v46, v[10:11], off offset:16
	global_load_dwordx4 v[2:5], v[10:11], off
	global_load_dwordx4 v[6:9], v[10:11], off offset:-16
	s_getpc_b64 s[16:17]
	s_add_u32 s16, s16, _ZL10iq2xs_grid@rel32@lo+4
	s_addc_u32 s17, s17, _ZL10iq2xs_grid@rel32@hi+12
	v_add_co_u32_e32 v34, vcc, v16, v32
	v_addc_co_u32_e32 v35, vcc, 0, v17, vcc
	global_load_dwordx2 v[38:39], v[34:35], off offset:2
	v_add_co_u32_e32 v34, vcc, v16, v30
	v_addc_co_u32_e32 v35, vcc, 0, v17, vcc
	global_load_ubyte v42, v[34:35], off offset:66
	s_waitcnt vmcnt(2)
	v_cvt_f32_f16_e32 v47, v6
	global_load_ushort v16, v[16:17], off
	s_waitcnt vmcnt(2)
	v_and_b32_e32 v6, 0x1ff, v38
	v_lshlrev_b32_e32 v6, 3, v6
	global_load_dwordx2 v[34:35], v6, s[16:17]
	v_bfe_u32 v6, v38, 9, 7
	v_bcnt_u32_b32 v36, v6, 0
	v_and_b32_e32 v36, 1, v36
	v_lshl_or_b32 v6, v36, 7, v6
	v_mul_lo_u32 v36, v6, s23
	v_and_b32_e32 v6, 0x8040201, v36
	v_cmp_ne_u16_sdwa s[20:21], v6, v29 src0_sel:BYTE_3 src1_sel:DWORD
	v_cmp_ne_u16_sdwa s[28:29], v6, v29 src0_sel:BYTE_1 src1_sel:DWORD
	v_lshrrev_b32_e32 v37, 18, v36
	v_cndmask_b32_e64 v40, 0, -1, s[28:29]
	v_cndmask_b32_e64 v43, 0, -1, s[20:21]
	v_bfe_i32 v6, v36, 0, 1
	v_lshlrev_b16_e32 v40, 8, v40
	v_bfe_i32 v37, v37, 0, 1
	v_lshlrev_b16_e32 v43, 8, v43
	v_or_b32_sdwa v41, v6, v40 dst_sel:DWORD dst_unused:UNUSED_PAD src0_sel:BYTE_0 src1_sel:DWORD
	v_or_b32_sdwa v44, v37, v43 dst_sel:WORD_1 dst_unused:UNUSED_PAD src0_sel:BYTE_0 src1_sel:DWORD
	v_or_b32_sdwa v41, v41, v44 dst_sel:DWORD dst_unused:UNUSED_PAD src0_sel:WORD_0 src1_sel:DWORD
	v_lshlrev_b16_e32 v6, 8, v6
	v_lshlrev_b16_e32 v37, 8, v37
	s_waitcnt vmcnt(0)
	v_xor_b32_e32 v34, v34, v41
	v_and_b32_e32 v41, 0xffffff00, v34
	v_sub_i16 v40, v41, v40 clamp
	v_lshlrev_b16_e32 v41, 8, v34
	v_sub_i16 v6, v41, v6 clamp
	v_perm_b32 v6, v6, v40, s26
	v_and_b32_sdwa v40, v34, s25 dst_sel:DWORD dst_unused:UNUSED_PAD src0_sel:WORD_1 src1_sel:DWORD
	v_lshlrev_b16_sdwa v34, v33, v34 dst_sel:DWORD dst_unused:UNUSED_PAD src0_sel:DWORD src1_sel:WORD_1
	v_sub_i16 v40, v40, v43 clamp
	v_sub_i16 v34, v34, v37 clamp
	v_perm_b32 v34, v34, v40, s26
	v_lshl_or_b32 v6, v34, 16, v6
	v_and_b32_e32 v34, 0x80402010, v36
	v_cmp_ne_u16_sdwa s[20:21], v34, v29 src0_sel:BYTE_3 src1_sel:DWORD
	v_cmp_ne_u16_sdwa s[28:29], v34, v29 src0_sel:BYTE_1 src1_sel:DWORD
	v_lshrrev_b32_e32 v36, 22, v36
	v_lshrrev_b16_e32 v34, 4, v34
	v_cndmask_b32_e64 v37, 0, -1, s[28:29]
	v_cndmask_b32_e64 v41, 0, -1, s[20:21]
	v_bfe_i32 v34, v34, 0, 1
	v_lshlrev_b16_e32 v37, 8, v37
	v_bfe_i32 v36, v36, 0, 1
	v_lshlrev_b16_e32 v41, 8, v41
	v_or_b32_sdwa v40, v34, v37 dst_sel:DWORD dst_unused:UNUSED_PAD src0_sel:BYTE_0 src1_sel:DWORD
	v_or_b32_sdwa v43, v36, v41 dst_sel:WORD_1 dst_unused:UNUSED_PAD src0_sel:BYTE_0 src1_sel:DWORD
	v_or_b32_sdwa v40, v40, v43 dst_sel:DWORD dst_unused:UNUSED_PAD src0_sel:WORD_0 src1_sel:DWORD
	v_xor_b32_e32 v35, v35, v40
	v_and_b32_e32 v40, 0xffffff00, v35
	v_sub_i16 v37, v40, v37 clamp
	v_lshlrev_b16_e32 v40, 8, v35
	v_lshlrev_b16_e32 v34, 8, v34
	v_sub_i16 v34, v40, v34 clamp
	v_perm_b32 v34, v34, v37, s26
	v_and_b32_sdwa v37, v35, s25 dst_sel:DWORD dst_unused:UNUSED_PAD src0_sel:WORD_1 src1_sel:DWORD
	v_lshlrev_b16_sdwa v35, v33, v35 dst_sel:DWORD dst_unused:UNUSED_PAD src0_sel:DWORD src1_sel:WORD_1
	v_lshlrev_b16_e32 v36, 8, v36
	v_sub_i16 v37, v37, v41 clamp
	v_sub_i16 v35, v35, v36 clamp
	v_perm_b32 v35, v35, v37, s26
	v_lshl_or_b32 v34, v35, 16, v34
	v_dot4_i32_i8 v35, v6, v7, 0
	v_dot4_i32_i8 v37, v34, v8, v35
	v_lshrrev_b32_e32 v35, 13, v38
	v_and_b32_e32 v35, 0xff8, v35
	global_load_dwordx2 v[35:36], v35, s[16:17]
	v_lshrrev_b32_e32 v40, 25, v38
	v_bcnt_u32_b32 v40, v40, 0
	v_and_b32_e32 v40, 1, v40
	v_alignbit_b32 v38, v40, v38, 25
	v_mul_lo_u32 v38, v38, s23
	v_and_b32_e32 v40, 0x8040201, v38
	v_cmp_ne_u16_sdwa s[20:21], v40, v29 src0_sel:BYTE_3 src1_sel:DWORD
	v_cmp_ne_u16_sdwa s[28:29], v40, v29 src0_sel:BYTE_1 src1_sel:DWORD
	v_lshrrev_b32_e32 v41, 18, v38
	v_cndmask_b32_e64 v43, 0, -1, s[28:29]
	v_cndmask_b32_e64 v45, 0, -1, s[20:21]
	v_bfe_i32 v40, v38, 0, 1
	v_lshlrev_b16_e32 v43, 8, v43
	v_bfe_i32 v41, v41, 0, 1
	v_lshlrev_b16_e32 v45, 8, v45
	v_or_b32_sdwa v44, v40, v43 dst_sel:DWORD dst_unused:UNUSED_PAD src0_sel:BYTE_0 src1_sel:DWORD
	v_or_b32_sdwa v48, v41, v45 dst_sel:WORD_1 dst_unused:UNUSED_PAD src0_sel:BYTE_0 src1_sel:DWORD
	v_or_b32_sdwa v44, v44, v48 dst_sel:DWORD dst_unused:UNUSED_PAD src0_sel:WORD_0 src1_sel:DWORD
	v_lshlrev_b16_e32 v40, 8, v40
	v_lshlrev_b16_e32 v41, 8, v41
	s_waitcnt vmcnt(0)
	v_xor_b32_e32 v35, v35, v44
	v_and_b32_e32 v44, 0xffffff00, v35
	v_sub_i16 v43, v44, v43 clamp
	v_lshlrev_b16_e32 v44, 8, v35
	v_sub_i16 v40, v44, v40 clamp
	v_perm_b32 v40, v40, v43, s26
	v_and_b32_sdwa v43, v35, s25 dst_sel:DWORD dst_unused:UNUSED_PAD src0_sel:WORD_1 src1_sel:DWORD
	v_lshlrev_b16_sdwa v35, v33, v35 dst_sel:DWORD dst_unused:UNUSED_PAD src0_sel:DWORD src1_sel:WORD_1
	v_sub_i16 v43, v43, v45 clamp
	v_sub_i16 v35, v35, v41 clamp
	v_perm_b32 v35, v35, v43, s26
	v_lshl_or_b32 v35, v35, 16, v40
	v_and_b32_e32 v40, 0x80402010, v38
	v_cmp_ne_u16_sdwa s[20:21], v40, v29 src0_sel:BYTE_3 src1_sel:DWORD
	v_cmp_ne_u16_sdwa s[28:29], v40, v29 src0_sel:BYTE_1 src1_sel:DWORD
	v_lshrrev_b32_e32 v38, 22, v38
	v_lshrrev_b16_e32 v40, 4, v40
	v_cndmask_b32_e64 v41, 0, -1, s[28:29]
	v_cndmask_b32_e64 v44, 0, -1, s[20:21]
	v_bfe_i32 v40, v40, 0, 1
	v_lshlrev_b16_e32 v41, 8, v41
	v_bfe_i32 v38, v38, 0, 1
	v_lshlrev_b16_e32 v44, 8, v44
	v_or_b32_sdwa v43, v40, v41 dst_sel:DWORD dst_unused:UNUSED_PAD src0_sel:BYTE_0 src1_sel:DWORD
	v_or_b32_sdwa v45, v38, v44 dst_sel:WORD_1 dst_unused:UNUSED_PAD src0_sel:BYTE_0 src1_sel:DWORD
	v_or_b32_sdwa v43, v43, v45 dst_sel:DWORD dst_unused:UNUSED_PAD src0_sel:WORD_0 src1_sel:DWORD
	v_xor_b32_e32 v36, v36, v43
	v_and_b32_e32 v43, 0xffffff00, v36
	v_sub_i16 v41, v43, v41 clamp
	v_lshlrev_b16_e32 v43, 8, v36
	v_lshlrev_b16_e32 v40, 8, v40
	v_sub_i16 v40, v43, v40 clamp
	v_perm_b32 v40, v40, v41, s26
	v_and_b32_sdwa v41, v36, s25 dst_sel:DWORD dst_unused:UNUSED_PAD src0_sel:WORD_1 src1_sel:DWORD
	v_lshlrev_b16_sdwa v36, v33, v36 dst_sel:DWORD dst_unused:UNUSED_PAD src0_sel:DWORD src1_sel:WORD_1
	v_lshlrev_b16_e32 v38, 8, v38
	v_sub_i16 v41, v41, v44 clamp
	v_sub_i16 v36, v36, v38 clamp
	v_perm_b32 v36, v36, v41, s26
	v_lshl_or_b32 v36, v36, 16, v40
	v_dot4_i32_i8 v37, v35, v9, v37
	v_dot4_i32_i8 v43, v36, v2, v37
	v_and_b32_e32 v37, 0x1ff, v39
	v_lshlrev_b32_e32 v37, 3, v37
	global_load_dwordx2 v[37:38], v37, s[16:17]
	v_bfe_u32 v40, v39, 9, 7
	v_bcnt_u32_b32 v41, v40, 0
	v_and_b32_e32 v41, 1, v41
	v_lshl_or_b32 v40, v41, 7, v40
	v_mul_lo_u32 v40, v40, s23
	v_and_b32_e32 v41, 0x8040201, v40
	v_cmp_ne_u16_sdwa s[20:21], v41, v29 src0_sel:BYTE_3 src1_sel:DWORD
	v_cmp_ne_u16_sdwa s[28:29], v41, v29 src0_sel:BYTE_1 src1_sel:DWORD
	v_lshrrev_b32_e32 v44, 18, v40
	v_cndmask_b32_e64 v45, 0, -1, s[28:29]
	v_cndmask_b32_e64 v49, 0, -1, s[20:21]
	v_bfe_i32 v41, v40, 0, 1
	v_lshlrev_b16_e32 v45, 8, v45
	v_bfe_i32 v44, v44, 0, 1
	v_lshlrev_b16_e32 v49, 8, v49
	v_or_b32_sdwa v48, v41, v45 dst_sel:DWORD dst_unused:UNUSED_PAD src0_sel:BYTE_0 src1_sel:DWORD
	v_or_b32_sdwa v50, v44, v49 dst_sel:WORD_1 dst_unused:UNUSED_PAD src0_sel:BYTE_0 src1_sel:DWORD
	v_or_b32_sdwa v48, v48, v50 dst_sel:DWORD dst_unused:UNUSED_PAD src0_sel:WORD_0 src1_sel:DWORD
	v_lshlrev_b16_e32 v41, 8, v41
	v_lshlrev_b16_e32 v44, 8, v44
	s_waitcnt vmcnt(0)
	v_xor_b32_e32 v37, v37, v48
	v_and_b32_e32 v48, 0xffffff00, v37
	v_sub_i16 v45, v48, v45 clamp
	v_lshlrev_b16_e32 v48, 8, v37
	v_sub_i16 v41, v48, v41 clamp
	v_perm_b32 v41, v41, v45, s26
	v_and_b32_sdwa v45, v37, s25 dst_sel:DWORD dst_unused:UNUSED_PAD src0_sel:WORD_1 src1_sel:DWORD
	v_lshlrev_b16_sdwa v37, v33, v37 dst_sel:DWORD dst_unused:UNUSED_PAD src0_sel:DWORD src1_sel:WORD_1
	v_sub_i16 v45, v45, v49 clamp
	v_sub_i16 v37, v37, v44 clamp
	v_perm_b32 v37, v37, v45, s26
	v_lshl_or_b32 v37, v37, 16, v41
	v_and_b32_e32 v41, 0x80402010, v40
	v_cmp_ne_u16_sdwa s[20:21], v41, v29 src0_sel:BYTE_3 src1_sel:DWORD
	v_cmp_ne_u16_sdwa s[28:29], v41, v29 src0_sel:BYTE_1 src1_sel:DWORD
	v_lshrrev_b32_e32 v40, 22, v40
	v_lshrrev_b16_e32 v41, 4, v41
	v_cndmask_b32_e64 v44, 0, -1, s[28:29]
	v_cndmask_b32_e64 v48, 0, -1, s[20:21]
	v_bfe_i32 v41, v41, 0, 1
	v_lshlrev_b16_e32 v44, 8, v44
	v_bfe_i32 v40, v40, 0, 1
	v_lshlrev_b16_e32 v48, 8, v48
	v_or_b32_sdwa v45, v41, v44 dst_sel:DWORD dst_unused:UNUSED_PAD src0_sel:BYTE_0 src1_sel:DWORD
	v_or_b32_sdwa v49, v40, v48 dst_sel:WORD_1 dst_unused:UNUSED_PAD src0_sel:BYTE_0 src1_sel:DWORD
	v_or_b32_sdwa v45, v45, v49 dst_sel:DWORD dst_unused:UNUSED_PAD src0_sel:WORD_0 src1_sel:DWORD
	v_xor_b32_e32 v38, v38, v45
	v_and_b32_e32 v45, 0xffffff00, v38
	v_sub_i16 v44, v45, v44 clamp
	v_lshlrev_b16_e32 v45, 8, v38
	v_lshlrev_b16_e32 v41, 8, v41
	v_sub_i16 v41, v45, v41 clamp
	v_perm_b32 v41, v41, v44, s26
	v_and_b32_sdwa v44, v38, s25 dst_sel:DWORD dst_unused:UNUSED_PAD src0_sel:WORD_1 src1_sel:DWORD
	v_lshlrev_b16_sdwa v38, v33, v38 dst_sel:DWORD dst_unused:UNUSED_PAD src0_sel:DWORD src1_sel:WORD_1
	v_lshlrev_b16_e32 v40, 8, v40
	v_sub_i16 v44, v44, v48 clamp
	v_sub_i16 v38, v38, v40 clamp
	v_perm_b32 v38, v38, v44, s26
	v_lshl_or_b32 v38, v38, 16, v41
	v_dot4_i32_i8 v40, v37, v3, 0
	v_dot4_i32_i8 v44, v38, v4, v40
	v_lshrrev_b32_e32 v40, 13, v39
	v_and_b32_e32 v40, 0xff8, v40
	global_load_dwordx2 v[40:41], v40, s[16:17]
	v_lshrrev_b32_e32 v45, 25, v39
	v_bcnt_u32_b32 v45, v45, 0
	v_and_b32_e32 v45, 1, v45
	v_alignbit_b32 v39, v45, v39, 25
	v_mul_lo_u32 v45, v39, s23
	v_and_b32_e32 v39, 0x8040201, v45
	v_cmp_ne_u16_sdwa s[20:21], v39, v29 src0_sel:BYTE_3 src1_sel:DWORD
	v_cmp_ne_u16_sdwa s[28:29], v39, v29 src0_sel:BYTE_1 src1_sel:DWORD
	v_lshrrev_b32_e32 v48, 18, v45
	v_cndmask_b32_e64 v49, 0, -1, s[28:29]
	v_cndmask_b32_e64 v51, 0, -1, s[20:21]
	v_bfe_i32 v39, v45, 0, 1
	v_lshlrev_b16_e32 v49, 8, v49
	v_bfe_i32 v48, v48, 0, 1
	v_lshlrev_b16_e32 v51, 8, v51
	v_or_b32_sdwa v50, v39, v49 dst_sel:DWORD dst_unused:UNUSED_PAD src0_sel:BYTE_0 src1_sel:DWORD
	v_or_b32_sdwa v52, v48, v51 dst_sel:WORD_1 dst_unused:UNUSED_PAD src0_sel:BYTE_0 src1_sel:DWORD
	v_or_b32_sdwa v50, v50, v52 dst_sel:DWORD dst_unused:UNUSED_PAD src0_sel:WORD_0 src1_sel:DWORD
	v_lshlrev_b16_e32 v39, 8, v39
	v_lshlrev_b16_e32 v48, 8, v48
	s_waitcnt vmcnt(0)
	v_xor_b32_e32 v40, v40, v50
	v_and_b32_e32 v50, 0xffffff00, v40
	v_sub_i16 v49, v50, v49 clamp
	v_lshlrev_b16_e32 v50, 8, v40
	v_sub_i16 v39, v50, v39 clamp
	v_perm_b32 v39, v39, v49, s26
	v_and_b32_sdwa v49, v40, s25 dst_sel:DWORD dst_unused:UNUSED_PAD src0_sel:WORD_1 src1_sel:DWORD
	v_lshlrev_b16_sdwa v40, v33, v40 dst_sel:DWORD dst_unused:UNUSED_PAD src0_sel:DWORD src1_sel:WORD_1
	v_sub_i16 v49, v49, v51 clamp
	v_sub_i16 v40, v40, v48 clamp
	v_perm_b32 v40, v40, v49, s26
	v_lshl_or_b32 v39, v40, 16, v39
	v_and_b32_e32 v40, 0x80402010, v45
	v_cmp_ne_u16_sdwa s[20:21], v40, v29 src0_sel:BYTE_3 src1_sel:DWORD
	v_cmp_ne_u16_sdwa s[28:29], v40, v29 src0_sel:BYTE_1 src1_sel:DWORD
	v_lshrrev_b32_e32 v45, 22, v45
	v_lshrrev_b16_e32 v40, 4, v40
	v_cndmask_b32_e64 v48, 0, -1, s[28:29]
	v_cndmask_b32_e64 v50, 0, -1, s[20:21]
	v_bfe_i32 v40, v40, 0, 1
	v_lshlrev_b16_e32 v48, 8, v48
	v_bfe_i32 v45, v45, 0, 1
	v_lshlrev_b16_e32 v50, 8, v50
	v_or_b32_sdwa v49, v40, v48 dst_sel:DWORD dst_unused:UNUSED_PAD src0_sel:BYTE_0 src1_sel:DWORD
	v_or_b32_sdwa v51, v45, v50 dst_sel:WORD_1 dst_unused:UNUSED_PAD src0_sel:BYTE_0 src1_sel:DWORD
	v_or_b32_sdwa v49, v49, v51 dst_sel:DWORD dst_unused:UNUSED_PAD src0_sel:WORD_0 src1_sel:DWORD
	v_xor_b32_e32 v41, v41, v49
	v_and_b32_e32 v49, 0xffffff00, v41
	v_sub_i16 v48, v49, v48 clamp
	v_lshlrev_b16_e32 v49, 8, v41
	v_lshlrev_b16_e32 v40, 8, v40
	v_sub_i16 v40, v49, v40 clamp
	v_perm_b32 v40, v40, v48, s26
	v_and_b32_sdwa v48, v41, s25 dst_sel:DWORD dst_unused:UNUSED_PAD src0_sel:WORD_1 src1_sel:DWORD
	v_lshlrev_b16_sdwa v41, v33, v41 dst_sel:DWORD dst_unused:UNUSED_PAD src0_sel:DWORD src1_sel:WORD_1
	v_lshlrev_b16_e32 v45, 8, v45
	v_sub_i16 v48, v48, v50 clamp
	v_sub_i16 v41, v41, v45 clamp
	v_perm_b32 v41, v41, v48, s26
	v_lshl_or_b32 v40, v41, 16, v40
	v_dot4_i32_i8 v41, v39, v5, v44
	v_dot4_i32_i8 v44, v40, v46, v41
	v_lshrrev_b32_e32 v41, 4, v42
	v_and_b32_e32 v42, 15, v42
	v_mul_lo_u32 v45, v43, v42
	v_mul_lo_u32 v48, v44, v41
	v_add_u32_e32 v43, v44, v43
	v_lshrrev_b32_e32 v44, 31, v43
	v_add_u32_e32 v43, v43, v44
	v_ashrrev_i32_e32 v43, 1, v43
	v_add3_u32 v43, v48, v45, v43
	v_ashrrev_i32_e32 v44, 31, v43
	v_lshrrev_b32_e32 v44, 30, v44
	v_add_u32_e32 v43, v43, v44
	v_ashrrev_i32_e32 v44, 2, v43
	v_cvt_f32_f16_e32 v43, v16
	v_cvt_f32_i32_e32 v17, v44
	v_mul_f32_e32 v16, v43, v47
	v_fmac_f32_e32 v27, v16, v17
	v_add_u32_e32 v16, s0, v28
	v_mad_i64_i32 v[16:17], s[20:21], v16, s22, v[14:15]
	v_add_u32_e32 v28, 8, v28
	v_add_co_u32_e32 v44, vcc, v16, v32
	v_addc_co_u32_e32 v45, vcc, 0, v17, vcc
	global_load_dwordx2 v[48:49], v[44:45], off offset:2
	v_add_co_u32_e32 v44, vcc, v16, v30
	v_addc_co_u32_e32 v45, vcc, 0, v17, vcc
	global_load_ubyte v52, v[44:45], off offset:66
	v_add_co_u32_e32 v10, vcc, 0x900, v10
	global_load_ushort v16, v[16:17], off
	v_addc_co_u32_e32 v11, vcc, 0, v11, vcc
	v_cmp_le_u32_e32 vcc, s9, v28
	s_or_b64 s[12:13], vcc, s[12:13]
	s_waitcnt vmcnt(2)
	v_and_b32_e32 v44, 0x1ff, v48
	v_lshlrev_b32_e32 v44, 3, v44
	global_load_dwordx2 v[44:45], v44, s[16:17]
	v_bfe_u32 v50, v48, 9, 7
	v_bcnt_u32_b32 v51, v50, 0
	v_and_b32_e32 v51, 1, v51
	v_lshl_or_b32 v50, v51, 7, v50
	v_mul_lo_u32 v50, v50, s23
	s_waitcnt vmcnt(1)
	v_cvt_f32_f16_e32 v16, v16
	v_and_b32_e32 v51, 0x8040201, v50
	v_cmp_ne_u16_sdwa s[20:21], v51, v29 src0_sel:BYTE_3 src1_sel:DWORD
	v_cmp_ne_u16_sdwa s[28:29], v51, v29 src0_sel:BYTE_1 src1_sel:DWORD
	v_lshrrev_b32_e32 v53, 18, v50
	v_cndmask_b32_e64 v54, 0, -1, s[28:29]
	v_cndmask_b32_e64 v56, 0, -1, s[20:21]
	v_bfe_i32 v51, v50, 0, 1
	v_lshlrev_b16_e32 v54, 8, v54
	v_bfe_i32 v53, v53, 0, 1
	v_lshlrev_b16_e32 v56, 8, v56
	v_or_b32_sdwa v55, v51, v54 dst_sel:DWORD dst_unused:UNUSED_PAD src0_sel:BYTE_0 src1_sel:DWORD
	v_or_b32_sdwa v57, v53, v56 dst_sel:WORD_1 dst_unused:UNUSED_PAD src0_sel:BYTE_0 src1_sel:DWORD
	v_or_b32_sdwa v55, v55, v57 dst_sel:DWORD dst_unused:UNUSED_PAD src0_sel:WORD_0 src1_sel:DWORD
	v_lshlrev_b16_e32 v51, 8, v51
	v_lshlrev_b16_e32 v53, 8, v53
	v_mul_f32_e32 v17, v16, v47
	s_waitcnt vmcnt(0)
	v_xor_b32_e32 v44, v44, v55
	v_and_b32_e32 v55, 0xffffff00, v44
	v_sub_i16 v54, v55, v54 clamp
	v_lshlrev_b16_e32 v55, 8, v44
	v_sub_i16 v51, v55, v51 clamp
	v_perm_b32 v51, v51, v54, s26
	v_and_b32_sdwa v54, v44, s25 dst_sel:DWORD dst_unused:UNUSED_PAD src0_sel:WORD_1 src1_sel:DWORD
	v_lshlrev_b16_sdwa v44, v33, v44 dst_sel:DWORD dst_unused:UNUSED_PAD src0_sel:DWORD src1_sel:WORD_1
	v_sub_i16 v54, v54, v56 clamp
	v_sub_i16 v44, v44, v53 clamp
	v_perm_b32 v44, v44, v54, s26
	v_lshl_or_b32 v44, v44, 16, v51
	v_and_b32_e32 v51, 0x80402010, v50
	v_cmp_ne_u16_sdwa s[20:21], v51, v29 src0_sel:BYTE_3 src1_sel:DWORD
	v_cmp_ne_u16_sdwa s[28:29], v51, v29 src0_sel:BYTE_1 src1_sel:DWORD
	v_lshrrev_b32_e32 v50, 22, v50
	v_lshrrev_b16_e32 v51, 4, v51
	v_cndmask_b32_e64 v53, 0, -1, s[28:29]
	v_cndmask_b32_e64 v55, 0, -1, s[20:21]
	v_bfe_i32 v51, v51, 0, 1
	v_lshlrev_b16_e32 v53, 8, v53
	v_bfe_i32 v50, v50, 0, 1
	v_lshlrev_b16_e32 v55, 8, v55
	v_or_b32_sdwa v54, v51, v53 dst_sel:DWORD dst_unused:UNUSED_PAD src0_sel:BYTE_0 src1_sel:DWORD
	v_or_b32_sdwa v56, v50, v55 dst_sel:WORD_1 dst_unused:UNUSED_PAD src0_sel:BYTE_0 src1_sel:DWORD
	v_or_b32_sdwa v54, v54, v56 dst_sel:DWORD dst_unused:UNUSED_PAD src0_sel:WORD_0 src1_sel:DWORD
	v_xor_b32_e32 v45, v45, v54
	v_and_b32_e32 v54, 0xffffff00, v45
	v_sub_i16 v53, v54, v53 clamp
	v_lshlrev_b16_e32 v54, 8, v45
	v_lshlrev_b16_e32 v51, 8, v51
	v_sub_i16 v51, v54, v51 clamp
	v_perm_b32 v51, v51, v53, s26
	v_and_b32_sdwa v53, v45, s25 dst_sel:DWORD dst_unused:UNUSED_PAD src0_sel:WORD_1 src1_sel:DWORD
	v_lshlrev_b16_sdwa v45, v33, v45 dst_sel:DWORD dst_unused:UNUSED_PAD src0_sel:DWORD src1_sel:WORD_1
	v_lshlrev_b16_e32 v50, 8, v50
	v_sub_i16 v53, v53, v55 clamp
	v_sub_i16 v45, v45, v50 clamp
	v_perm_b32 v45, v45, v53, s26
	v_lshl_or_b32 v45, v45, 16, v51
	v_dot4_i32_i8 v7, v44, v7, 0
	v_dot4_i32_i8 v50, v45, v8, v7
	v_lshrrev_b32_e32 v7, 13, v48
	v_and_b32_e32 v7, 0xff8, v7
	global_load_dwordx2 v[7:8], v7, s[16:17]
	v_lshrrev_b32_e32 v51, 25, v48
	v_bcnt_u32_b32 v51, v51, 0
	v_and_b32_e32 v51, 1, v51
	v_alignbit_b32 v48, v51, v48, 25
	v_mul_lo_u32 v48, v48, s23
	v_and_b32_e32 v51, 0x8040201, v48
	v_cmp_ne_u16_sdwa s[20:21], v51, v29 src0_sel:BYTE_3 src1_sel:DWORD
	v_cmp_ne_u16_sdwa s[28:29], v51, v29 src0_sel:BYTE_1 src1_sel:DWORD
	v_lshrrev_b32_e32 v53, 18, v48
	v_cndmask_b32_e64 v54, 0, -1, s[28:29]
	v_cndmask_b32_e64 v56, 0, -1, s[20:21]
	v_bfe_i32 v51, v48, 0, 1
	v_lshlrev_b16_e32 v54, 8, v54
	v_bfe_i32 v53, v53, 0, 1
	v_lshlrev_b16_e32 v56, 8, v56
	v_or_b32_sdwa v55, v51, v54 dst_sel:DWORD dst_unused:UNUSED_PAD src0_sel:BYTE_0 src1_sel:DWORD
	v_or_b32_sdwa v57, v53, v56 dst_sel:WORD_1 dst_unused:UNUSED_PAD src0_sel:BYTE_0 src1_sel:DWORD
	v_or_b32_sdwa v55, v55, v57 dst_sel:DWORD dst_unused:UNUSED_PAD src0_sel:WORD_0 src1_sel:DWORD
	v_lshlrev_b16_e32 v51, 8, v51
	v_lshlrev_b16_e32 v53, 8, v53
	s_waitcnt vmcnt(0)
	v_xor_b32_e32 v7, v7, v55
	v_and_b32_e32 v55, 0xffffff00, v7
	v_sub_i16 v54, v55, v54 clamp
	v_lshlrev_b16_e32 v55, 8, v7
	v_sub_i16 v51, v55, v51 clamp
	v_perm_b32 v51, v51, v54, s26
	v_and_b32_sdwa v54, v7, s25 dst_sel:DWORD dst_unused:UNUSED_PAD src0_sel:WORD_1 src1_sel:DWORD
	v_lshlrev_b16_sdwa v7, v33, v7 dst_sel:DWORD dst_unused:UNUSED_PAD src0_sel:DWORD src1_sel:WORD_1
	v_sub_i16 v54, v54, v56 clamp
	v_sub_i16 v7, v7, v53 clamp
	v_perm_b32 v7, v7, v54, s26
	v_lshl_or_b32 v7, v7, 16, v51
	v_and_b32_e32 v51, 0x80402010, v48
	v_cmp_ne_u16_sdwa s[20:21], v51, v29 src0_sel:BYTE_3 src1_sel:DWORD
	v_cmp_ne_u16_sdwa s[28:29], v51, v29 src0_sel:BYTE_1 src1_sel:DWORD
	v_lshrrev_b32_e32 v48, 22, v48
	v_lshrrev_b16_e32 v51, 4, v51
	v_cndmask_b32_e64 v53, 0, -1, s[28:29]
	v_cndmask_b32_e64 v55, 0, -1, s[20:21]
	v_bfe_i32 v51, v51, 0, 1
	v_lshlrev_b16_e32 v53, 8, v53
	v_bfe_i32 v48, v48, 0, 1
	v_lshlrev_b16_e32 v55, 8, v55
	v_or_b32_sdwa v54, v51, v53 dst_sel:DWORD dst_unused:UNUSED_PAD src0_sel:BYTE_0 src1_sel:DWORD
	v_or_b32_sdwa v56, v48, v55 dst_sel:WORD_1 dst_unused:UNUSED_PAD src0_sel:BYTE_0 src1_sel:DWORD
	v_or_b32_sdwa v54, v54, v56 dst_sel:DWORD dst_unused:UNUSED_PAD src0_sel:WORD_0 src1_sel:DWORD
	v_xor_b32_e32 v8, v8, v54
	v_and_b32_e32 v54, 0xffffff00, v8
	v_sub_i16 v53, v54, v53 clamp
	v_lshlrev_b16_e32 v54, 8, v8
	v_lshlrev_b16_e32 v51, 8, v51
	v_sub_i16 v51, v54, v51 clamp
	v_perm_b32 v51, v51, v53, s26
	v_and_b32_sdwa v53, v8, s25 dst_sel:DWORD dst_unused:UNUSED_PAD src0_sel:WORD_1 src1_sel:DWORD
	v_lshlrev_b16_sdwa v8, v33, v8 dst_sel:DWORD dst_unused:UNUSED_PAD src0_sel:DWORD src1_sel:WORD_1
	v_lshlrev_b16_e32 v48, 8, v48
	v_sub_i16 v53, v53, v55 clamp
	v_sub_i16 v8, v8, v48 clamp
	v_perm_b32 v8, v8, v53, s26
	v_lshl_or_b32 v8, v8, 16, v51
	v_dot4_i32_i8 v9, v7, v9, v50
	v_dot4_i32_i8 v48, v8, v2, v9
	v_and_b32_e32 v2, 0x1ff, v49
	v_lshlrev_b32_e32 v2, 3, v2
	global_load_dwordx2 v[50:51], v2, s[16:17]
	v_bfe_u32 v2, v49, 9, 7
	v_bcnt_u32_b32 v9, v2, 0
	v_and_b32_e32 v9, 1, v9
	v_lshl_or_b32 v2, v9, 7, v2
	v_mul_lo_u32 v9, v2, s23
	v_and_b32_e32 v2, 0x8040201, v9
	v_cmp_ne_u16_sdwa s[20:21], v2, v29 src0_sel:BYTE_3 src1_sel:DWORD
	v_cmp_ne_u16_sdwa s[28:29], v2, v29 src0_sel:BYTE_1 src1_sel:DWORD
	v_lshrrev_b32_e32 v53, 18, v9
	v_cndmask_b32_e64 v54, 0, -1, s[28:29]
	v_cndmask_b32_e64 v56, 0, -1, s[20:21]
	v_bfe_i32 v2, v9, 0, 1
	v_lshlrev_b16_e32 v54, 8, v54
	v_bfe_i32 v53, v53, 0, 1
	v_lshlrev_b16_e32 v56, 8, v56
	v_or_b32_sdwa v55, v2, v54 dst_sel:DWORD dst_unused:UNUSED_PAD src0_sel:BYTE_0 src1_sel:DWORD
	v_or_b32_sdwa v57, v53, v56 dst_sel:WORD_1 dst_unused:UNUSED_PAD src0_sel:BYTE_0 src1_sel:DWORD
	v_or_b32_sdwa v55, v55, v57 dst_sel:DWORD dst_unused:UNUSED_PAD src0_sel:WORD_0 src1_sel:DWORD
	v_lshlrev_b16_e32 v2, 8, v2
	v_lshlrev_b16_e32 v53, 8, v53
	s_waitcnt vmcnt(0)
	v_xor_b32_e32 v50, v50, v55
	v_and_b32_e32 v55, 0xffffff00, v50
	v_sub_i16 v54, v55, v54 clamp
	v_lshlrev_b16_e32 v55, 8, v50
	v_sub_i16 v2, v55, v2 clamp
	v_perm_b32 v2, v2, v54, s26
	v_and_b32_sdwa v54, v50, s25 dst_sel:DWORD dst_unused:UNUSED_PAD src0_sel:WORD_1 src1_sel:DWORD
	v_lshlrev_b16_sdwa v50, v33, v50 dst_sel:DWORD dst_unused:UNUSED_PAD src0_sel:DWORD src1_sel:WORD_1
	v_sub_i16 v54, v54, v56 clamp
	v_sub_i16 v50, v50, v53 clamp
	v_perm_b32 v50, v50, v54, s26
	v_lshl_or_b32 v2, v50, 16, v2
	v_and_b32_e32 v50, 0x80402010, v9
	v_cmp_ne_u16_sdwa s[20:21], v50, v29 src0_sel:BYTE_3 src1_sel:DWORD
	v_cmp_ne_u16_sdwa s[28:29], v50, v29 src0_sel:BYTE_1 src1_sel:DWORD
	v_lshrrev_b32_e32 v9, 22, v9
	v_lshrrev_b16_e32 v50, 4, v50
	v_cndmask_b32_e64 v53, 0, -1, s[28:29]
	v_cndmask_b32_e64 v55, 0, -1, s[20:21]
	v_bfe_i32 v50, v50, 0, 1
	v_lshlrev_b16_e32 v53, 8, v53
	v_bfe_i32 v9, v9, 0, 1
	v_lshlrev_b16_e32 v55, 8, v55
	v_or_b32_sdwa v54, v50, v53 dst_sel:DWORD dst_unused:UNUSED_PAD src0_sel:BYTE_0 src1_sel:DWORD
	v_or_b32_sdwa v56, v9, v55 dst_sel:WORD_1 dst_unused:UNUSED_PAD src0_sel:BYTE_0 src1_sel:DWORD
	v_or_b32_sdwa v54, v54, v56 dst_sel:DWORD dst_unused:UNUSED_PAD src0_sel:WORD_0 src1_sel:DWORD
	v_xor_b32_e32 v51, v51, v54
	v_and_b32_e32 v54, 0xffffff00, v51
	v_sub_i16 v53, v54, v53 clamp
	v_lshlrev_b16_e32 v54, 8, v51
	v_lshlrev_b16_e32 v50, 8, v50
	v_sub_i16 v50, v54, v50 clamp
	v_perm_b32 v50, v50, v53, s26
	v_and_b32_sdwa v53, v51, s25 dst_sel:DWORD dst_unused:UNUSED_PAD src0_sel:WORD_1 src1_sel:DWORD
	v_lshlrev_b16_sdwa v51, v33, v51 dst_sel:DWORD dst_unused:UNUSED_PAD src0_sel:DWORD src1_sel:WORD_1
	v_lshlrev_b16_e32 v9, 8, v9
	v_sub_i16 v53, v53, v55 clamp
	v_sub_i16 v9, v51, v9 clamp
	v_perm_b32 v9, v9, v53, s26
	v_lshl_or_b32 v9, v9, 16, v50
	v_dot4_i32_i8 v3, v2, v3, 0
	v_dot4_i32_i8 v50, v9, v4, v3
	v_lshrrev_b32_e32 v3, 13, v49
	v_and_b32_e32 v3, 0xff8, v3
	global_load_dwordx2 v[3:4], v3, s[16:17]
	v_lshrrev_b32_e32 v51, 25, v49
	v_bcnt_u32_b32 v51, v51, 0
	v_and_b32_e32 v51, 1, v51
	v_alignbit_b32 v49, v51, v49, 25
	v_mul_lo_u32 v49, v49, s23
	v_and_b32_e32 v51, 0x8040201, v49
	v_cmp_ne_u16_sdwa s[16:17], v51, v29 src0_sel:BYTE_3 src1_sel:DWORD
	v_cmp_ne_u16_sdwa s[20:21], v51, v29 src0_sel:BYTE_1 src1_sel:DWORD
	v_lshrrev_b32_e32 v53, 18, v49
	v_cndmask_b32_e64 v54, 0, -1, s[20:21]
	v_cndmask_b32_e64 v56, 0, -1, s[16:17]
	v_bfe_i32 v51, v49, 0, 1
	v_lshlrev_b16_e32 v54, 8, v54
	v_bfe_i32 v53, v53, 0, 1
	v_lshlrev_b16_e32 v56, 8, v56
	v_or_b32_sdwa v55, v51, v54 dst_sel:DWORD dst_unused:UNUSED_PAD src0_sel:BYTE_0 src1_sel:DWORD
	v_or_b32_sdwa v57, v53, v56 dst_sel:WORD_1 dst_unused:UNUSED_PAD src0_sel:BYTE_0 src1_sel:DWORD
	v_or_b32_sdwa v55, v55, v57 dst_sel:DWORD dst_unused:UNUSED_PAD src0_sel:WORD_0 src1_sel:DWORD
	v_lshlrev_b16_e32 v51, 8, v51
	v_lshlrev_b16_e32 v53, 8, v53
	s_waitcnt vmcnt(0)
	v_xor_b32_e32 v3, v3, v55
	v_and_b32_e32 v55, 0xffffff00, v3
	v_sub_i16 v54, v55, v54 clamp
	v_lshlrev_b16_e32 v55, 8, v3
	v_sub_i16 v51, v55, v51 clamp
	v_perm_b32 v51, v51, v54, s26
	v_and_b32_sdwa v54, v3, s25 dst_sel:DWORD dst_unused:UNUSED_PAD src0_sel:WORD_1 src1_sel:DWORD
	v_lshlrev_b16_sdwa v3, v33, v3 dst_sel:DWORD dst_unused:UNUSED_PAD src0_sel:DWORD src1_sel:WORD_1
	v_sub_i16 v54, v54, v56 clamp
	v_sub_i16 v3, v3, v53 clamp
	v_perm_b32 v3, v3, v54, s26
	v_lshl_or_b32 v3, v3, 16, v51
	v_and_b32_e32 v51, 0x80402010, v49
	v_cmp_ne_u16_sdwa s[16:17], v51, v29 src0_sel:BYTE_3 src1_sel:DWORD
	v_cmp_ne_u16_sdwa s[20:21], v51, v29 src0_sel:BYTE_1 src1_sel:DWORD
	v_lshrrev_b32_e32 v49, 22, v49
	v_lshrrev_b16_e32 v51, 4, v51
	v_cndmask_b32_e64 v53, 0, -1, s[20:21]
	v_cndmask_b32_e64 v55, 0, -1, s[16:17]
	v_bfe_i32 v51, v51, 0, 1
	v_lshlrev_b16_e32 v53, 8, v53
	v_bfe_i32 v49, v49, 0, 1
	v_lshlrev_b16_e32 v55, 8, v55
	v_or_b32_sdwa v54, v51, v53 dst_sel:DWORD dst_unused:UNUSED_PAD src0_sel:BYTE_0 src1_sel:DWORD
	v_or_b32_sdwa v56, v49, v55 dst_sel:WORD_1 dst_unused:UNUSED_PAD src0_sel:BYTE_0 src1_sel:DWORD
	v_or_b32_sdwa v54, v54, v56 dst_sel:DWORD dst_unused:UNUSED_PAD src0_sel:WORD_0 src1_sel:DWORD
	v_xor_b32_e32 v4, v4, v54
	v_and_b32_e32 v54, 0xffffff00, v4
	v_sub_i16 v53, v54, v53 clamp
	v_lshlrev_b16_e32 v54, 8, v4
	v_lshlrev_b16_e32 v51, 8, v51
	v_sub_i16 v51, v54, v51 clamp
	v_perm_b32 v51, v51, v53, s26
	v_and_b32_sdwa v53, v4, s25 dst_sel:DWORD dst_unused:UNUSED_PAD src0_sel:WORD_1 src1_sel:DWORD
	v_lshlrev_b16_sdwa v4, v33, v4 dst_sel:DWORD dst_unused:UNUSED_PAD src0_sel:DWORD src1_sel:WORD_1
	v_lshlrev_b16_e32 v49, 8, v49
	v_sub_i16 v53, v53, v55 clamp
	v_sub_i16 v4, v4, v49 clamp
	v_perm_b32 v4, v4, v53, s26
	v_lshl_or_b32 v4, v4, 16, v51
	v_dot4_i32_i8 v5, v3, v5, v50
	v_dot4_i32_i8 v49, v4, v46, v5
	v_lshrrev_b32_e32 v5, 4, v52
	v_and_b32_e32 v46, 15, v52
	v_mul_lo_u32 v50, v48, v46
	v_mul_lo_u32 v51, v49, v5
	v_add_u32_e32 v48, v49, v48
	v_lshrrev_b32_e32 v49, 31, v48
	v_add_u32_e32 v48, v48, v49
	v_ashrrev_i32_e32 v48, 1, v48
	v_add3_u32 v48, v51, v50, v48
	v_ashrrev_i32_e32 v49, 31, v48
	v_lshrrev_b32_e32 v49, 30, v49
	v_add_u32_e32 v48, v48, v49
	v_ashrrev_i32_e32 v48, 2, v48
	v_cvt_f32_i32_e32 v47, v48
	v_fmac_f32_e32 v26, v17, v47
	v_add_u32_e32 v17, s1, v31
	v_mad_u64_u32 v[55:56], s[16:17], v17, 36, v[12:13]
	global_load_dword v17, v[55:56], off offset:32
	global_load_dwordx4 v[47:50], v[55:56], off offset:16
	global_load_dwordx4 v[51:54], v[55:56], off
	s_waitcnt vmcnt(1)
	v_dot4_i32_i8 v56, v37, v48, 0
	s_waitcnt vmcnt(0)
	v_dot4_i32_i8 v55, v6, v52, 0
	v_dot4_i32_i8 v52, v44, v52, 0
	v_dot4_i32_i8 v48, v2, v48, 0
	v_dot4_i32_i8 v55, v34, v53, v55
	v_dot4_i32_i8 v56, v38, v49, v56
	v_dot4_i32_i8 v52, v45, v53, v52
	v_dot4_i32_i8 v48, v9, v49, v48
	v_dot4_i32_i8 v55, v35, v54, v55
	v_dot4_i32_i8 v56, v39, v50, v56
	v_dot4_i32_i8 v52, v7, v54, v52
	v_dot4_i32_i8 v48, v3, v50, v48
	v_dot4_i32_i8 v55, v36, v47, v55
	v_dot4_i32_i8 v56, v40, v17, v56
	v_dot4_i32_i8 v47, v8, v47, v52
	v_dot4_i32_i8 v17, v4, v17, v48
	v_mul_lo_u32 v48, v47, v46
	v_mul_lo_u32 v49, v17, v5
	v_add_u32_e32 v17, v17, v47
	v_mul_lo_u32 v57, v55, v42
	v_mul_lo_u32 v58, v56, v41
	v_add_u32_e32 v55, v56, v55
	v_lshrrev_b32_e32 v47, 31, v17
	v_lshrrev_b32_e32 v56, 31, v55
	v_add_u32_e32 v17, v17, v47
	v_add_u32_e32 v55, v55, v56
	v_ashrrev_i32_e32 v17, 1, v17
	v_ashrrev_i32_e32 v55, 1, v55
	v_add3_u32 v17, v49, v48, v17
	v_add3_u32 v55, v58, v57, v55
	v_ashrrev_i32_e32 v47, 31, v17
	v_ashrrev_i32_e32 v56, 31, v55
	v_lshrrev_b32_e32 v47, 30, v47
	v_lshrrev_b32_e32 v56, 30, v56
	v_add_u32_e32 v17, v17, v47
	v_cvt_f32_f16_e32 v51, v51
	v_add_u32_e32 v55, v55, v56
	v_ashrrev_i32_e32 v17, 2, v17
	v_ashrrev_i32_e32 v55, 2, v55
	v_cvt_f32_i32_e32 v17, v17
	v_cvt_f32_i32_e32 v55, v55
	v_mul_f32_e32 v47, v16, v51
	v_mul_f32_e32 v56, v43, v51
	v_fmac_f32_e32 v24, v47, v17
	v_add_u32_e32 v17, s3, v31
	v_fmac_f32_e32 v25, v56, v55
	v_mad_u64_u32 v[55:56], s[16:17], v17, 36, v[12:13]
	global_load_dword v17, v[55:56], off offset:32
	global_load_dwordx4 v[47:50], v[55:56], off offset:16
	global_load_dwordx4 v[51:54], v[55:56], off
	s_waitcnt vmcnt(1)
	v_dot4_i32_i8 v56, v37, v48, 0
	s_waitcnt vmcnt(0)
	v_dot4_i32_i8 v55, v6, v52, 0
	v_dot4_i32_i8 v52, v44, v52, 0
	v_dot4_i32_i8 v48, v2, v48, 0
	v_dot4_i32_i8 v55, v34, v53, v55
	v_dot4_i32_i8 v56, v38, v49, v56
	v_dot4_i32_i8 v52, v45, v53, v52
	v_dot4_i32_i8 v48, v9, v49, v48
	v_dot4_i32_i8 v55, v35, v54, v55
	v_dot4_i32_i8 v56, v39, v50, v56
	v_dot4_i32_i8 v52, v7, v54, v52
	v_dot4_i32_i8 v48, v3, v50, v48
	v_dot4_i32_i8 v55, v36, v47, v55
	v_dot4_i32_i8 v56, v40, v17, v56
	v_dot4_i32_i8 v47, v8, v47, v52
	v_dot4_i32_i8 v17, v4, v17, v48
	v_mul_lo_u32 v48, v47, v46
	v_mul_lo_u32 v49, v17, v5
	v_add_u32_e32 v17, v17, v47
	v_mul_lo_u32 v57, v55, v42
	v_mul_lo_u32 v58, v56, v41
	v_add_u32_e32 v55, v56, v55
	v_lshrrev_b32_e32 v47, 31, v17
	v_lshrrev_b32_e32 v56, 31, v55
	v_add_u32_e32 v17, v17, v47
	v_add_u32_e32 v55, v55, v56
	v_ashrrev_i32_e32 v17, 1, v17
	v_ashrrev_i32_e32 v55, 1, v55
	v_add3_u32 v17, v49, v48, v17
	v_add3_u32 v55, v58, v57, v55
	v_ashrrev_i32_e32 v47, 31, v17
	v_ashrrev_i32_e32 v56, 31, v55
	v_lshrrev_b32_e32 v47, 30, v47
	v_lshrrev_b32_e32 v56, 30, v56
	v_add_u32_e32 v17, v17, v47
	v_cvt_f32_f16_e32 v51, v51
	v_add_u32_e32 v55, v55, v56
	v_ashrrev_i32_e32 v17, 2, v17
	v_ashrrev_i32_e32 v55, 2, v55
	v_cvt_f32_i32_e32 v17, v17
	v_cvt_f32_i32_e32 v55, v55
	v_mul_f32_e32 v47, v16, v51
	v_mul_f32_e32 v56, v43, v51
	v_fmac_f32_e32 v22, v47, v17
	v_add_u32_e32 v17, s15, v31
	v_fmac_f32_e32 v23, v56, v55
	;; [unrolled: 52-line block ×3, first 2 shown]
	v_mad_u64_u32 v[55:56], s[16:17], v17, 36, v[12:13]
	global_load_dword v17, v[55:56], off offset:32
	global_load_dwordx4 v[47:50], v[55:56], off offset:16
	global_load_dwordx4 v[51:54], v[55:56], off
	v_add_u32_e32 v31, 64, v31
	s_waitcnt vmcnt(1)
	v_dot4_i32_i8 v2, v2, v48, 0
	s_waitcnt vmcnt(0)
	v_dot4_i32_i8 v6, v6, v52, 0
	v_dot4_i32_i8 v6, v34, v53, v6
	;; [unrolled: 1-line block ×8, first 2 shown]
	v_mul_lo_u32 v35, v6, v42
	v_mul_lo_u32 v36, v34, v41
	v_add_u32_e32 v6, v34, v6
	v_lshrrev_b32_e32 v34, 31, v6
	v_add_u32_e32 v6, v6, v34
	v_ashrrev_i32_e32 v6, 1, v6
	v_add3_u32 v6, v36, v35, v6
	v_ashrrev_i32_e32 v34, 31, v6
	v_lshrrev_b32_e32 v34, 30, v34
	v_add_u32_e32 v6, v6, v34
	v_cvt_f32_f16_e32 v51, v51
	v_ashrrev_i32_e32 v6, 2, v6
	v_cvt_f32_i32_e32 v6, v6
	v_dot4_i32_i8 v2, v9, v49, v2
	v_mul_f32_e32 v34, v43, v51
	v_dot4_i32_i8 v2, v3, v50, v2
	v_fmac_f32_e32 v19, v34, v6
	v_dot4_i32_i8 v6, v44, v52, 0
	v_dot4_i32_i8 v6, v45, v53, v6
	v_dot4_i32_i8 v6, v7, v54, v6
	v_dot4_i32_i8 v6, v8, v47, v6
	v_dot4_i32_i8 v2, v4, v17, v2
	v_mul_lo_u32 v3, v6, v46
	v_mul_lo_u32 v4, v2, v5
	v_add_u32_e32 v2, v2, v6
	v_lshrrev_b32_e32 v5, 31, v2
	v_add_u32_e32 v2, v2, v5
	v_ashrrev_i32_e32 v2, 1, v2
	v_add3_u32 v2, v4, v3, v2
	v_ashrrev_i32_e32 v3, 31, v2
	v_lshrrev_b32_e32 v3, 30, v3
	v_add_u32_e32 v2, v2, v3
	v_ashrrev_i32_e32 v2, 2, v2
	v_cvt_f32_i32_e32 v2, v2
	v_mul_f32_e32 v3, v16, v51
	v_fmac_f32_e32 v18, v3, v2
	s_andn2_b64 exec, exec, s[12:13]
	s_cbranch_execnz .LBB176_2
; %bb.3:
	s_or_b64 exec, exec, s[12:13]
.LBB176_4:
	s_or_b64 exec, exec, s[10:11]
	s_mov_b32 s1, 0
	v_cmp_eq_u32_e32 vcc, 0, v1
	; wave barrier
	s_and_saveexec_b64 s[10:11], vcc
	s_cbranch_execz .LBB176_15
; %bb.5:
	v_mbcnt_lo_u32_b32 v1, -1, 0
	v_mbcnt_hi_u32_b32 v6, -1, v1
	v_and_b32_e32 v1, 64, v6
	v_add_u32_e32 v7, 64, v1
	v_xor_b32_e32 v1, 32, v6
	v_cmp_lt_i32_e32 vcc, v1, v7
	v_cndmask_b32_e32 v1, v6, v1, vcc
	v_lshlrev_b32_e32 v1, 2, v1
	ds_bpermute_b32 v5, v1, v27
	ds_bpermute_b32 v8, v1, v26
	v_xor_b32_e32 v2, 16, v6
	v_cmp_lt_i32_e32 vcc, v2, v7
	v_cndmask_b32_e32 v2, v6, v2, vcc
	v_lshlrev_b32_e32 v2, 2, v2
	s_waitcnt lgkmcnt(1)
	v_add_f32_e32 v5, v27, v5
	s_waitcnt lgkmcnt(0)
	v_add_f32_e32 v8, v26, v8
	ds_bpermute_b32 v10, v2, v5
	ds_bpermute_b32 v11, v2, v8
	v_xor_b32_e32 v3, 8, v6
	v_cmp_lt_i32_e32 vcc, v3, v7
	v_cndmask_b32_e32 v3, v6, v3, vcc
	v_lshlrev_b32_e32 v3, 2, v3
	s_waitcnt lgkmcnt(1)
	v_add_f32_e32 v10, v5, v10
	s_waitcnt lgkmcnt(0)
	v_add_f32_e32 v8, v8, v11
	ds_bpermute_b32 v12, v3, v10
	ds_bpermute_b32 v11, v3, v8
	v_xor_b32_e32 v4, 4, v6
	v_cmp_lt_i32_e32 vcc, v4, v7
	v_cndmask_b32_e32 v4, v6, v4, vcc
	v_lshlrev_b32_e32 v4, 2, v4
	s_waitcnt lgkmcnt(1)
	v_add_f32_e32 v10, v10, v12
	s_waitcnt lgkmcnt(0)
	v_add_f32_e32 v8, v8, v11
	ds_bpermute_b32 v12, v4, v10
	ds_bpermute_b32 v11, v4, v8
	v_xor_b32_e32 v9, 2, v6
	v_cmp_lt_i32_e32 vcc, v9, v7
	v_cndmask_b32_e32 v9, v6, v9, vcc
	v_lshlrev_b32_e32 v5, 2, v9
	v_xor_b32_e32 v9, 1, v6
	v_cmp_lt_i32_e32 vcc, v9, v7
	s_waitcnt lgkmcnt(1)
	v_add_f32_e32 v7, v10, v12
	s_waitcnt lgkmcnt(0)
	v_add_f32_e32 v10, v8, v11
	v_cndmask_b32_e32 v6, v6, v9, vcc
	ds_bpermute_b32 v9, v5, v7
	ds_bpermute_b32 v11, v5, v10
	s_load_dwordx2 s[4:5], s[4:5], 0x38
	s_mul_i32 s3, s14, s7
	v_lshlrev_b32_e32 v8, 2, v6
	s_waitcnt lgkmcnt(0)
	v_add_f32_e32 v6, v7, v9
	v_add_f32_e32 v9, v10, v11
	s_mul_i32 s0, s18, s8
	s_add_i32 s3, s3, s6
	ds_bpermute_b32 v7, v8, v6
	ds_bpermute_b32 v10, v8, v9
	s_add_i32 s0, s3, s0
	s_lshl_b64 s[0:1], s[0:1], 2
	s_add_u32 s4, s4, s0
	v_add_u32_e32 v11, s6, v0
	s_addc_u32 s5, s5, s1
	v_cmp_gt_u32_e32 vcc, 2, v0
	v_cmp_gt_u32_e64 s[0:1], s2, v11
	s_and_b64 s[0:1], vcc, s[0:1]
	s_waitcnt lgkmcnt(1)
	v_add_f32_e32 v6, v6, v7
	s_waitcnt lgkmcnt(0)
	v_add_f32_e32 v7, v9, v10
	s_and_saveexec_b64 s[6:7], s[0:1]
	s_cbranch_execz .LBB176_7
; %bb.6:
	v_cmp_eq_u32_e32 vcc, 1, v0
	v_cndmask_b32_e32 v9, v6, v7, vcc
	v_cmp_eq_u32_e32 vcc, 2, v0
	v_cndmask_b32_e32 v9, v9, v25, vcc
	;; [unrolled: 2-line block ×9, first 2 shown]
	v_lshlrev_b32_e32 v10, 2, v0
	global_store_dword v10, v9, s[4:5]
.LBB176_7:
	s_or_b64 exec, exec, s[6:7]
	ds_bpermute_b32 v9, v1, v25
	ds_bpermute_b32 v10, v1, v24
	s_waitcnt lgkmcnt(1)
	v_add_f32_e32 v9, v25, v9
	s_waitcnt lgkmcnt(0)
	v_add_f32_e32 v10, v24, v10
	ds_bpermute_b32 v11, v2, v9
	ds_bpermute_b32 v12, v2, v10
	s_waitcnt lgkmcnt(1)
	v_add_f32_e32 v9, v9, v11
	s_waitcnt lgkmcnt(0)
	v_add_f32_e32 v10, v10, v12
	;; [unrolled: 6-line block ×6, first 2 shown]
	s_and_saveexec_b64 s[6:7], s[0:1]
	s_cbranch_execz .LBB176_9
; %bb.8:
	v_add_u32_e32 v11, 2, v0
	v_cmp_eq_u32_e32 vcc, 1, v11
	v_cndmask_b32_e32 v12, v6, v7, vcc
	v_cmp_eq_u32_e32 vcc, 2, v11
	v_cndmask_b32_e32 v12, v12, v10, vcc
	v_cmp_eq_u32_e32 vcc, 3, v11
	v_cndmask_b32_e32 v12, v12, v9, vcc
	v_cmp_eq_u32_e32 vcc, 4, v11
	v_cndmask_b32_e32 v12, v12, v23, vcc
	v_cmp_eq_u32_e32 vcc, 5, v11
	v_cndmask_b32_e32 v12, v12, v22, vcc
	v_cmp_eq_u32_e32 vcc, 6, v11
	v_cndmask_b32_e32 v12, v12, v21, vcc
	v_cmp_eq_u32_e32 vcc, 7, v11
	v_cndmask_b32_e32 v12, v12, v20, vcc
	v_cmp_eq_u32_e32 vcc, 8, v11
	v_cndmask_b32_e32 v12, v12, v19, vcc
	v_cmp_eq_u32_e32 vcc, 9, v11
	v_cndmask_b32_e32 v13, v12, v18, vcc
	v_add_u32_e32 v11, s2, v0
	v_mov_b32_e32 v12, 0
	v_lshlrev_b64 v[11:12], 2, v[11:12]
	v_mov_b32_e32 v14, s5
	v_add_co_u32_e32 v11, vcc, s4, v11
	v_addc_co_u32_e32 v12, vcc, v14, v12, vcc
	global_store_dword v[11:12], v13, off
.LBB176_9:
	s_or_b64 exec, exec, s[6:7]
	ds_bpermute_b32 v11, v1, v23
	ds_bpermute_b32 v12, v1, v22
	s_waitcnt lgkmcnt(1)
	v_add_f32_e32 v11, v23, v11
	s_waitcnt lgkmcnt(0)
	v_add_f32_e32 v12, v22, v12
	ds_bpermute_b32 v13, v2, v11
	ds_bpermute_b32 v14, v2, v12
	s_waitcnt lgkmcnt(1)
	v_add_f32_e32 v11, v11, v13
	s_waitcnt lgkmcnt(0)
	v_add_f32_e32 v12, v12, v14
	;; [unrolled: 6-line block ×6, first 2 shown]
	s_and_saveexec_b64 s[6:7], s[0:1]
	s_cbranch_execz .LBB176_11
; %bb.10:
	v_add_u32_e32 v13, 4, v0
	v_cmp_eq_u32_e32 vcc, 1, v13
	v_cndmask_b32_e32 v14, v6, v7, vcc
	v_cmp_eq_u32_e32 vcc, 2, v13
	v_cndmask_b32_e32 v14, v14, v10, vcc
	;; [unrolled: 2-line block ×9, first 2 shown]
	v_lshl_or_b32 v13, s2, 1, v0
	v_mov_b32_e32 v14, 0
	v_lshlrev_b64 v[13:14], 2, v[13:14]
	v_mov_b32_e32 v16, s5
	v_add_co_u32_e32 v13, vcc, s4, v13
	v_addc_co_u32_e32 v14, vcc, v16, v14, vcc
	global_store_dword v[13:14], v15, off
.LBB176_11:
	s_or_b64 exec, exec, s[6:7]
	ds_bpermute_b32 v13, v1, v21
	ds_bpermute_b32 v14, v1, v20
	s_waitcnt lgkmcnt(1)
	v_add_f32_e32 v13, v21, v13
	s_waitcnt lgkmcnt(0)
	v_add_f32_e32 v14, v20, v14
	ds_bpermute_b32 v15, v2, v13
	ds_bpermute_b32 v16, v2, v14
	s_waitcnt lgkmcnt(1)
	v_add_f32_e32 v13, v13, v15
	s_waitcnt lgkmcnt(0)
	v_add_f32_e32 v14, v14, v16
	;; [unrolled: 6-line block ×6, first 2 shown]
	s_and_saveexec_b64 s[6:7], s[0:1]
	s_cbranch_execz .LBB176_13
; %bb.12:
	v_add_u32_e32 v17, 6, v0
	v_cmp_eq_u32_e32 vcc, 1, v17
	v_cndmask_b32_e32 v15, v6, v7, vcc
	v_cmp_eq_u32_e32 vcc, 2, v17
	v_cndmask_b32_e32 v15, v15, v10, vcc
	;; [unrolled: 2-line block ×8, first 2 shown]
	v_mad_u64_u32 v[15:16], s[8:9], s2, 3, v[0:1]
	v_mov_b32_e32 v16, 0
	v_cmp_eq_u32_e32 vcc, 9, v17
	v_lshlrev_b64 v[15:16], 2, v[15:16]
	v_cndmask_b32_e32 v17, v20, v18, vcc
	v_mov_b32_e32 v20, s5
	v_add_co_u32_e32 v15, vcc, s4, v15
	v_addc_co_u32_e32 v16, vcc, v20, v16, vcc
	global_store_dword v[15:16], v17, off
.LBB176_13:
	s_or_b64 exec, exec, s[6:7]
	ds_bpermute_b32 v15, v1, v19
	ds_bpermute_b32 v1, v1, v18
	s_waitcnt lgkmcnt(1)
	v_add_f32_e32 v15, v19, v15
	s_waitcnt lgkmcnt(0)
	v_add_f32_e32 v1, v18, v1
	ds_bpermute_b32 v16, v2, v15
	ds_bpermute_b32 v2, v2, v1
	s_waitcnt lgkmcnt(1)
	v_add_f32_e32 v15, v15, v16
	s_waitcnt lgkmcnt(0)
	v_add_f32_e32 v1, v1, v2
	;; [unrolled: 6-line block ×5, first 2 shown]
	ds_bpermute_b32 v3, v8, v1
	ds_bpermute_b32 v4, v8, v2
	s_and_b64 exec, exec, s[0:1]
	s_cbranch_execz .LBB176_15
; %bb.14:
	s_waitcnt lgkmcnt(1)
	v_add_f32_e32 v1, v1, v3
	v_add_u32_e32 v3, 8, v0
	v_cmp_eq_u32_e32 vcc, 1, v3
	s_waitcnt lgkmcnt(0)
	v_add_f32_e32 v2, v2, v4
	v_cndmask_b32_e32 v4, v6, v7, vcc
	v_cmp_eq_u32_e32 vcc, 2, v3
	v_cndmask_b32_e32 v4, v4, v10, vcc
	v_cmp_eq_u32_e32 vcc, 3, v3
	;; [unrolled: 2-line block ×8, first 2 shown]
	v_cndmask_b32_e32 v2, v1, v2, vcc
	v_lshl_or_b32 v0, s2, 2, v0
	v_mov_b32_e32 v1, 0
	v_lshlrev_b64 v[0:1], 2, v[0:1]
	v_mov_b32_e32 v3, s5
	v_add_co_u32_e32 v0, vcc, s4, v0
	v_addc_co_u32_e32 v1, vcc, v3, v1, vcc
	global_store_dword v[0:1], v2, off
.LBB176_15:
	s_endpgm
	.section	.rodata,"a",@progbits
	.p2align	6, 0x0
	.amdhsa_kernel _ZL13mul_mat_vec_qIL9ggml_type17ELi5ELb0ELb0EEvPKvS2_PKi31ggml_cuda_mm_fusion_args_devicePfj15HIP_vector_typeIjLj3EEjjjS8_jjjS8_jjjj
		.amdhsa_group_segment_fixed_size 0
		.amdhsa_private_segment_fixed_size 0
		.amdhsa_kernarg_size 144
		.amdhsa_user_sgpr_count 6
		.amdhsa_user_sgpr_private_segment_buffer 1
		.amdhsa_user_sgpr_dispatch_ptr 0
		.amdhsa_user_sgpr_queue_ptr 0
		.amdhsa_user_sgpr_kernarg_segment_ptr 1
		.amdhsa_user_sgpr_dispatch_id 0
		.amdhsa_user_sgpr_flat_scratch_init 0
		.amdhsa_user_sgpr_private_segment_size 0
		.amdhsa_uses_dynamic_stack 0
		.amdhsa_system_sgpr_private_segment_wavefront_offset 0
		.amdhsa_system_sgpr_workgroup_id_x 1
		.amdhsa_system_sgpr_workgroup_id_y 1
		.amdhsa_system_sgpr_workgroup_id_z 1
		.amdhsa_system_sgpr_workgroup_info 0
		.amdhsa_system_vgpr_workitem_id 1
		.amdhsa_next_free_vgpr 59
		.amdhsa_next_free_sgpr 30
		.amdhsa_reserve_vcc 1
		.amdhsa_reserve_flat_scratch 0
		.amdhsa_float_round_mode_32 0
		.amdhsa_float_round_mode_16_64 0
		.amdhsa_float_denorm_mode_32 3
		.amdhsa_float_denorm_mode_16_64 3
		.amdhsa_dx10_clamp 1
		.amdhsa_ieee_mode 1
		.amdhsa_fp16_overflow 0
		.amdhsa_exception_fp_ieee_invalid_op 0
		.amdhsa_exception_fp_denorm_src 0
		.amdhsa_exception_fp_ieee_div_zero 0
		.amdhsa_exception_fp_ieee_overflow 0
		.amdhsa_exception_fp_ieee_underflow 0
		.amdhsa_exception_fp_ieee_inexact 0
		.amdhsa_exception_int_div_zero 0
	.end_amdhsa_kernel
	.section	.text._ZL13mul_mat_vec_qIL9ggml_type17ELi5ELb0ELb0EEvPKvS2_PKi31ggml_cuda_mm_fusion_args_devicePfj15HIP_vector_typeIjLj3EEjjjS8_jjjS8_jjjj,"axG",@progbits,_ZL13mul_mat_vec_qIL9ggml_type17ELi5ELb0ELb0EEvPKvS2_PKi31ggml_cuda_mm_fusion_args_devicePfj15HIP_vector_typeIjLj3EEjjjS8_jjjS8_jjjj,comdat
.Lfunc_end176:
	.size	_ZL13mul_mat_vec_qIL9ggml_type17ELi5ELb0ELb0EEvPKvS2_PKi31ggml_cuda_mm_fusion_args_devicePfj15HIP_vector_typeIjLj3EEjjjS8_jjjS8_jjjj, .Lfunc_end176-_ZL13mul_mat_vec_qIL9ggml_type17ELi5ELb0ELb0EEvPKvS2_PKi31ggml_cuda_mm_fusion_args_devicePfj15HIP_vector_typeIjLj3EEjjjS8_jjjS8_jjjj
                                        ; -- End function
	.set _ZL13mul_mat_vec_qIL9ggml_type17ELi5ELb0ELb0EEvPKvS2_PKi31ggml_cuda_mm_fusion_args_devicePfj15HIP_vector_typeIjLj3EEjjjS8_jjjS8_jjjj.num_vgpr, 59
	.set _ZL13mul_mat_vec_qIL9ggml_type17ELi5ELb0ELb0EEvPKvS2_PKi31ggml_cuda_mm_fusion_args_devicePfj15HIP_vector_typeIjLj3EEjjjS8_jjjS8_jjjj.num_agpr, 0
	.set _ZL13mul_mat_vec_qIL9ggml_type17ELi5ELb0ELb0EEvPKvS2_PKi31ggml_cuda_mm_fusion_args_devicePfj15HIP_vector_typeIjLj3EEjjjS8_jjjS8_jjjj.numbered_sgpr, 30
	.set _ZL13mul_mat_vec_qIL9ggml_type17ELi5ELb0ELb0EEvPKvS2_PKi31ggml_cuda_mm_fusion_args_devicePfj15HIP_vector_typeIjLj3EEjjjS8_jjjS8_jjjj.num_named_barrier, 0
	.set _ZL13mul_mat_vec_qIL9ggml_type17ELi5ELb0ELb0EEvPKvS2_PKi31ggml_cuda_mm_fusion_args_devicePfj15HIP_vector_typeIjLj3EEjjjS8_jjjS8_jjjj.private_seg_size, 0
	.set _ZL13mul_mat_vec_qIL9ggml_type17ELi5ELb0ELb0EEvPKvS2_PKi31ggml_cuda_mm_fusion_args_devicePfj15HIP_vector_typeIjLj3EEjjjS8_jjjS8_jjjj.uses_vcc, 1
	.set _ZL13mul_mat_vec_qIL9ggml_type17ELi5ELb0ELb0EEvPKvS2_PKi31ggml_cuda_mm_fusion_args_devicePfj15HIP_vector_typeIjLj3EEjjjS8_jjjS8_jjjj.uses_flat_scratch, 0
	.set _ZL13mul_mat_vec_qIL9ggml_type17ELi5ELb0ELb0EEvPKvS2_PKi31ggml_cuda_mm_fusion_args_devicePfj15HIP_vector_typeIjLj3EEjjjS8_jjjS8_jjjj.has_dyn_sized_stack, 0
	.set _ZL13mul_mat_vec_qIL9ggml_type17ELi5ELb0ELb0EEvPKvS2_PKi31ggml_cuda_mm_fusion_args_devicePfj15HIP_vector_typeIjLj3EEjjjS8_jjjS8_jjjj.has_recursion, 0
	.set _ZL13mul_mat_vec_qIL9ggml_type17ELi5ELb0ELb0EEvPKvS2_PKi31ggml_cuda_mm_fusion_args_devicePfj15HIP_vector_typeIjLj3EEjjjS8_jjjS8_jjjj.has_indirect_call, 0
	.section	.AMDGPU.csdata,"",@progbits
; Kernel info:
; codeLenInByte = 7420
; TotalNumSgprs: 34
; NumVgprs: 59
; ScratchSize: 0
; MemoryBound: 0
; FloatMode: 240
; IeeeMode: 1
; LDSByteSize: 0 bytes/workgroup (compile time only)
; SGPRBlocks: 4
; VGPRBlocks: 14
; NumSGPRsForWavesPerEU: 34
; NumVGPRsForWavesPerEU: 59
; Occupancy: 4
; WaveLimiterHint : 0
; COMPUTE_PGM_RSRC2:SCRATCH_EN: 0
; COMPUTE_PGM_RSRC2:USER_SGPR: 6
; COMPUTE_PGM_RSRC2:TRAP_HANDLER: 0
; COMPUTE_PGM_RSRC2:TGID_X_EN: 1
; COMPUTE_PGM_RSRC2:TGID_Y_EN: 1
; COMPUTE_PGM_RSRC2:TGID_Z_EN: 1
; COMPUTE_PGM_RSRC2:TIDIG_COMP_CNT: 1
	.section	.text._ZL13mul_mat_vec_qIL9ggml_type17ELi6ELb0ELb0EEvPKvS2_PKi31ggml_cuda_mm_fusion_args_devicePfj15HIP_vector_typeIjLj3EEjjjS8_jjjS8_jjjj,"axG",@progbits,_ZL13mul_mat_vec_qIL9ggml_type17ELi6ELb0ELb0EEvPKvS2_PKi31ggml_cuda_mm_fusion_args_devicePfj15HIP_vector_typeIjLj3EEjjjS8_jjjS8_jjjj,comdat
	.globl	_ZL13mul_mat_vec_qIL9ggml_type17ELi6ELb0ELb0EEvPKvS2_PKi31ggml_cuda_mm_fusion_args_devicePfj15HIP_vector_typeIjLj3EEjjjS8_jjjS8_jjjj ; -- Begin function _ZL13mul_mat_vec_qIL9ggml_type17ELi6ELb0ELb0EEvPKvS2_PKi31ggml_cuda_mm_fusion_args_devicePfj15HIP_vector_typeIjLj3EEjjjS8_jjjS8_jjjj
	.p2align	8
	.type	_ZL13mul_mat_vec_qIL9ggml_type17ELi6ELb0ELb0EEvPKvS2_PKi31ggml_cuda_mm_fusion_args_devicePfj15HIP_vector_typeIjLj3EEjjjS8_jjjS8_jjjj,@function
_ZL13mul_mat_vec_qIL9ggml_type17ELi6ELb0ELb0EEvPKvS2_PKi31ggml_cuda_mm_fusion_args_devicePfj15HIP_vector_typeIjLj3EEjjjS8_jjjS8_jjjj: ; @_ZL13mul_mat_vec_qIL9ggml_type17ELi6ELb0ELb0EEvPKvS2_PKi31ggml_cuda_mm_fusion_args_devicePfj15HIP_vector_typeIjLj3EEjjjS8_jjjS8_jjjj
; %bb.0:
	s_load_dword s9, s[4:5], 0x40
	s_load_dwordx4 s[0:3], s[4:5], 0x50
	s_load_dword s25, s[4:5], 0x60
	s_load_dwordx4 s[12:15], s[4:5], 0x68
	;; [unrolled: 2-line block ×3, first 2 shown]
	v_lshl_or_b32 v2, v1, 6, v0
	s_waitcnt lgkmcnt(0)
	s_lshr_b32 s9, s9, 8
	v_lshrrev_b32_e32 v30, 3, v2
	v_mov_b32_e32 v18, 0
	s_lshl_b32 s6, s6, 1
	v_cmp_gt_u32_e32 vcc, s9, v30
	v_mov_b32_e32 v19, v18
	v_mov_b32_e32 v20, v18
	v_mov_b32_e32 v21, v18
	v_mov_b32_e32 v22, v18
	v_mov_b32_e32 v23, v18
	v_mov_b32_e32 v24, v18
	v_mov_b32_e32 v25, v18
	v_mov_b32_e32 v26, v18
	v_mov_b32_e32 v27, v18
	v_mov_b32_e32 v28, v18
	v_mov_b32_e32 v29, v18
	s_and_saveexec_b64 s[10:11], vcc
	s_cbranch_execz .LBB177_4
; %bb.1:
	s_mul_hi_u32 s3, s3, s7
	s_add_i32 s3, s7, s3
	s_load_dwordx4 s[20:23], s[4:5], 0x0
	s_lshr_b32 s3, s3, s25
	s_mul_i32 s3, s3, s12
	s_mul_hi_u32 s12, s15, s8
	s_add_i32 s12, s8, s12
	s_lshr_b32 s12, s12, s24
	s_mul_i32 s26, s17, s8
	s_mul_i32 s15, s12, s16
	;; [unrolled: 1-line block ×3, first 2 shown]
	s_mul_hi_u32 s12, s26, 36
	s_waitcnt lgkmcnt(0)
	s_add_u32 s16, s22, s16
	s_addc_u32 s17, s23, s12
	s_mul_i32 s12, s13, s7
	v_lshlrev_b32_e32 v2, 1, v0
	s_mul_hi_u32 s13, s12, 36
	s_mul_i32 s12, s12, 36
	v_and_b32_e32 v2, 14, v2
	v_lshlrev_b32_e32 v4, 1, v2
	v_mov_b32_e32 v2, s12
	s_add_u32 s16, s16, s12
	s_movk_i32 s28, 0x120
	v_mov_b32_e32 v3, s13
	s_addc_u32 s17, s17, s13
	v_mad_u64_u32 v[2:3], s[12:13], v30, s28, v[2:3]
	v_and_b32_e32 v32, 7, v0
	v_mov_b32_e32 v5, s23
	v_mad_u64_u32 v[2:3], s[12:13], s26, 36, v[2:3]
	v_mad_u64_u32 v[12:13], s[16:17], v32, 36, s[16:17]
	;; [unrolled: 1-line block ×3, first 2 shown]
	s_add_i32 s28, s6, 1
	s_add_i32 s27, s15, s3
	v_add_co_u32_e32 v2, vcc, s22, v2
	v_addc_co_u32_e32 v3, vcc, v5, v3, vcc
	s_mul_i32 s25, s6, s0
	s_mul_i32 s0, s0, s28
	v_add_co_u32_e32 v10, vcc, 16, v2
	v_mov_b32_e32 v14, s20
	v_mov_b32_e32 v31, 0
	s_lshl_b32 s3, s1, 1
	s_mul_i32 s15, s1, 3
	s_lshl_b32 s19, s1, 2
	s_mul_i32 s24, s1, 5
	s_add_i32 s25, s27, s25
	s_add_i32 s0, s27, s0
	v_lshlrev_b32_e32 v33, 3, v30
	v_addc_co_u32_e32 v11, vcc, 0, v3, vcc
	s_mov_b64 s[12:13], 0
	s_movk_i32 s22, 0x4a
	v_lshlrev_b32_e32 v34, 1, v4
	s_mov_b32 s23, 0x1010101
	s_movk_i32 s26, 0xff00
	s_mov_b32 s27, 0xc0c0105
	v_mov_b32_e32 v35, 8
	v_mov_b32_e32 v18, 0
	;; [unrolled: 1-line block ×14, first 2 shown]
.LBB177_2:                              ; =>This Inner Loop Header: Depth=1
	v_add_u32_e32 v16, s25, v30
	v_mad_i64_i32 v[16:17], s[16:17], v16, s22, v[14:15]
	global_load_dword v51, v[10:11], off offset:16
	global_load_dwordx4 v[2:5], v[10:11], off
	global_load_dwordx4 v[6:9], v[10:11], off offset:-16
	s_getpc_b64 s[16:17]
	s_add_u32 s16, s16, _ZL10iq2xs_grid@rel32@lo+4
	s_addc_u32 s17, s17, _ZL10iq2xs_grid@rel32@hi+12
	v_add_co_u32_e32 v36, vcc, v16, v34
	v_addc_co_u32_e32 v37, vcc, 0, v17, vcc
	global_load_dwordx2 v[40:41], v[36:37], off offset:2
	v_add_co_u32_e32 v36, vcc, v16, v32
	v_addc_co_u32_e32 v37, vcc, 0, v17, vcc
	global_load_ubyte v44, v[36:37], off offset:66
	s_waitcnt vmcnt(2)
	v_cvt_f32_f16_e32 v50, v6
	global_load_ushort v16, v[16:17], off
	s_waitcnt vmcnt(2)
	v_and_b32_e32 v6, 0x1ff, v40
	v_lshlrev_b32_e32 v6, 3, v6
	global_load_dwordx2 v[36:37], v6, s[16:17]
	v_bfe_u32 v6, v40, 9, 7
	v_bcnt_u32_b32 v38, v6, 0
	v_and_b32_e32 v38, 1, v38
	v_lshl_or_b32 v6, v38, 7, v6
	v_mul_lo_u32 v38, v6, s23
	v_and_b32_e32 v6, 0x8040201, v38
	v_cmp_ne_u16_sdwa s[20:21], v6, v31 src0_sel:BYTE_3 src1_sel:DWORD
	v_cmp_ne_u16_sdwa s[28:29], v6, v31 src0_sel:BYTE_1 src1_sel:DWORD
	v_lshrrev_b32_e32 v39, 18, v38
	v_cndmask_b32_e64 v42, 0, -1, s[28:29]
	v_cndmask_b32_e64 v45, 0, -1, s[20:21]
	v_bfe_i32 v6, v38, 0, 1
	v_lshlrev_b16_e32 v42, 8, v42
	v_bfe_i32 v39, v39, 0, 1
	v_lshlrev_b16_e32 v45, 8, v45
	v_or_b32_sdwa v43, v6, v42 dst_sel:DWORD dst_unused:UNUSED_PAD src0_sel:BYTE_0 src1_sel:DWORD
	v_or_b32_sdwa v46, v39, v45 dst_sel:WORD_1 dst_unused:UNUSED_PAD src0_sel:BYTE_0 src1_sel:DWORD
	v_or_b32_sdwa v43, v43, v46 dst_sel:DWORD dst_unused:UNUSED_PAD src0_sel:WORD_0 src1_sel:DWORD
	v_lshlrev_b16_e32 v6, 8, v6
	v_lshlrev_b16_e32 v39, 8, v39
	s_waitcnt vmcnt(0)
	v_xor_b32_e32 v36, v36, v43
	v_and_b32_e32 v43, 0xffffff00, v36
	v_sub_i16 v42, v43, v42 clamp
	v_lshlrev_b16_e32 v43, 8, v36
	v_sub_i16 v6, v43, v6 clamp
	v_perm_b32 v6, v6, v42, s27
	v_and_b32_sdwa v42, v36, s26 dst_sel:DWORD dst_unused:UNUSED_PAD src0_sel:WORD_1 src1_sel:DWORD
	v_lshlrev_b16_sdwa v36, v35, v36 dst_sel:DWORD dst_unused:UNUSED_PAD src0_sel:DWORD src1_sel:WORD_1
	v_sub_i16 v42, v42, v45 clamp
	v_sub_i16 v36, v36, v39 clamp
	v_perm_b32 v36, v36, v42, s27
	v_lshl_or_b32 v6, v36, 16, v6
	v_and_b32_e32 v36, 0x80402010, v38
	v_cmp_ne_u16_sdwa s[20:21], v36, v31 src0_sel:BYTE_3 src1_sel:DWORD
	v_cmp_ne_u16_sdwa s[28:29], v36, v31 src0_sel:BYTE_1 src1_sel:DWORD
	v_lshrrev_b32_e32 v38, 22, v38
	v_lshrrev_b16_e32 v36, 4, v36
	v_cndmask_b32_e64 v39, 0, -1, s[28:29]
	v_cndmask_b32_e64 v43, 0, -1, s[20:21]
	v_bfe_i32 v36, v36, 0, 1
	v_lshlrev_b16_e32 v39, 8, v39
	v_bfe_i32 v38, v38, 0, 1
	v_lshlrev_b16_e32 v43, 8, v43
	v_or_b32_sdwa v42, v36, v39 dst_sel:DWORD dst_unused:UNUSED_PAD src0_sel:BYTE_0 src1_sel:DWORD
	v_or_b32_sdwa v45, v38, v43 dst_sel:WORD_1 dst_unused:UNUSED_PAD src0_sel:BYTE_0 src1_sel:DWORD
	v_or_b32_sdwa v42, v42, v45 dst_sel:DWORD dst_unused:UNUSED_PAD src0_sel:WORD_0 src1_sel:DWORD
	v_xor_b32_e32 v37, v37, v42
	v_and_b32_e32 v42, 0xffffff00, v37
	v_sub_i16 v39, v42, v39 clamp
	v_lshlrev_b16_e32 v42, 8, v37
	v_lshlrev_b16_e32 v36, 8, v36
	v_sub_i16 v36, v42, v36 clamp
	v_perm_b32 v36, v36, v39, s27
	v_and_b32_sdwa v39, v37, s26 dst_sel:DWORD dst_unused:UNUSED_PAD src0_sel:WORD_1 src1_sel:DWORD
	v_lshlrev_b16_sdwa v37, v35, v37 dst_sel:DWORD dst_unused:UNUSED_PAD src0_sel:DWORD src1_sel:WORD_1
	v_lshlrev_b16_e32 v38, 8, v38
	v_sub_i16 v39, v39, v43 clamp
	v_sub_i16 v37, v37, v38 clamp
	v_perm_b32 v37, v37, v39, s27
	v_lshl_or_b32 v36, v37, 16, v36
	v_dot4_i32_i8 v37, v6, v7, 0
	v_dot4_i32_i8 v39, v36, v8, v37
	v_lshrrev_b32_e32 v37, 13, v40
	v_and_b32_e32 v37, 0xff8, v37
	global_load_dwordx2 v[37:38], v37, s[16:17]
	v_lshrrev_b32_e32 v42, 25, v40
	v_bcnt_u32_b32 v42, v42, 0
	v_and_b32_e32 v42, 1, v42
	v_alignbit_b32 v40, v42, v40, 25
	v_mul_lo_u32 v40, v40, s23
	v_and_b32_e32 v42, 0x8040201, v40
	v_cmp_ne_u16_sdwa s[20:21], v42, v31 src0_sel:BYTE_3 src1_sel:DWORD
	v_cmp_ne_u16_sdwa s[28:29], v42, v31 src0_sel:BYTE_1 src1_sel:DWORD
	v_lshrrev_b32_e32 v43, 18, v40
	v_cndmask_b32_e64 v45, 0, -1, s[28:29]
	v_cndmask_b32_e64 v47, 0, -1, s[20:21]
	v_bfe_i32 v42, v40, 0, 1
	v_lshlrev_b16_e32 v45, 8, v45
	v_bfe_i32 v43, v43, 0, 1
	v_lshlrev_b16_e32 v47, 8, v47
	v_or_b32_sdwa v46, v42, v45 dst_sel:DWORD dst_unused:UNUSED_PAD src0_sel:BYTE_0 src1_sel:DWORD
	v_or_b32_sdwa v48, v43, v47 dst_sel:WORD_1 dst_unused:UNUSED_PAD src0_sel:BYTE_0 src1_sel:DWORD
	v_or_b32_sdwa v46, v46, v48 dst_sel:DWORD dst_unused:UNUSED_PAD src0_sel:WORD_0 src1_sel:DWORD
	v_lshlrev_b16_e32 v42, 8, v42
	v_lshlrev_b16_e32 v43, 8, v43
	s_waitcnt vmcnt(0)
	v_xor_b32_e32 v37, v37, v46
	v_and_b32_e32 v46, 0xffffff00, v37
	v_sub_i16 v45, v46, v45 clamp
	v_lshlrev_b16_e32 v46, 8, v37
	v_sub_i16 v42, v46, v42 clamp
	v_perm_b32 v42, v42, v45, s27
	v_and_b32_sdwa v45, v37, s26 dst_sel:DWORD dst_unused:UNUSED_PAD src0_sel:WORD_1 src1_sel:DWORD
	v_lshlrev_b16_sdwa v37, v35, v37 dst_sel:DWORD dst_unused:UNUSED_PAD src0_sel:DWORD src1_sel:WORD_1
	v_sub_i16 v45, v45, v47 clamp
	v_sub_i16 v37, v37, v43 clamp
	v_perm_b32 v37, v37, v45, s27
	v_lshl_or_b32 v37, v37, 16, v42
	v_and_b32_e32 v42, 0x80402010, v40
	v_cmp_ne_u16_sdwa s[20:21], v42, v31 src0_sel:BYTE_3 src1_sel:DWORD
	v_cmp_ne_u16_sdwa s[28:29], v42, v31 src0_sel:BYTE_1 src1_sel:DWORD
	v_lshrrev_b32_e32 v40, 22, v40
	v_lshrrev_b16_e32 v42, 4, v42
	v_cndmask_b32_e64 v43, 0, -1, s[28:29]
	v_cndmask_b32_e64 v46, 0, -1, s[20:21]
	v_bfe_i32 v42, v42, 0, 1
	v_lshlrev_b16_e32 v43, 8, v43
	v_bfe_i32 v40, v40, 0, 1
	v_lshlrev_b16_e32 v46, 8, v46
	v_or_b32_sdwa v45, v42, v43 dst_sel:DWORD dst_unused:UNUSED_PAD src0_sel:BYTE_0 src1_sel:DWORD
	v_or_b32_sdwa v47, v40, v46 dst_sel:WORD_1 dst_unused:UNUSED_PAD src0_sel:BYTE_0 src1_sel:DWORD
	v_or_b32_sdwa v45, v45, v47 dst_sel:DWORD dst_unused:UNUSED_PAD src0_sel:WORD_0 src1_sel:DWORD
	v_xor_b32_e32 v38, v38, v45
	v_and_b32_e32 v45, 0xffffff00, v38
	v_sub_i16 v43, v45, v43 clamp
	v_lshlrev_b16_e32 v45, 8, v38
	v_lshlrev_b16_e32 v42, 8, v42
	v_sub_i16 v42, v45, v42 clamp
	v_perm_b32 v42, v42, v43, s27
	v_and_b32_sdwa v43, v38, s26 dst_sel:DWORD dst_unused:UNUSED_PAD src0_sel:WORD_1 src1_sel:DWORD
	v_lshlrev_b16_sdwa v38, v35, v38 dst_sel:DWORD dst_unused:UNUSED_PAD src0_sel:DWORD src1_sel:WORD_1
	v_lshlrev_b16_e32 v40, 8, v40
	v_sub_i16 v43, v43, v46 clamp
	v_sub_i16 v38, v38, v40 clamp
	v_perm_b32 v38, v38, v43, s27
	v_lshl_or_b32 v38, v38, 16, v42
	v_dot4_i32_i8 v39, v37, v9, v39
	v_dot4_i32_i8 v45, v38, v2, v39
	v_and_b32_e32 v39, 0x1ff, v41
	v_lshlrev_b32_e32 v39, 3, v39
	global_load_dwordx2 v[39:40], v39, s[16:17]
	v_bfe_u32 v42, v41, 9, 7
	v_bcnt_u32_b32 v43, v42, 0
	v_and_b32_e32 v43, 1, v43
	v_lshl_or_b32 v42, v43, 7, v42
	v_mul_lo_u32 v42, v42, s23
	v_and_b32_e32 v43, 0x8040201, v42
	v_cmp_ne_u16_sdwa s[20:21], v43, v31 src0_sel:BYTE_3 src1_sel:DWORD
	v_cmp_ne_u16_sdwa s[28:29], v43, v31 src0_sel:BYTE_1 src1_sel:DWORD
	v_lshrrev_b32_e32 v46, 18, v42
	v_cndmask_b32_e64 v47, 0, -1, s[28:29]
	v_cndmask_b32_e64 v49, 0, -1, s[20:21]
	v_bfe_i32 v43, v42, 0, 1
	v_lshlrev_b16_e32 v47, 8, v47
	v_bfe_i32 v46, v46, 0, 1
	v_lshlrev_b16_e32 v49, 8, v49
	v_or_b32_sdwa v48, v43, v47 dst_sel:DWORD dst_unused:UNUSED_PAD src0_sel:BYTE_0 src1_sel:DWORD
	v_or_b32_sdwa v52, v46, v49 dst_sel:WORD_1 dst_unused:UNUSED_PAD src0_sel:BYTE_0 src1_sel:DWORD
	v_or_b32_sdwa v48, v48, v52 dst_sel:DWORD dst_unused:UNUSED_PAD src0_sel:WORD_0 src1_sel:DWORD
	v_lshlrev_b16_e32 v43, 8, v43
	v_lshlrev_b16_e32 v46, 8, v46
	s_waitcnt vmcnt(0)
	v_xor_b32_e32 v39, v39, v48
	v_and_b32_e32 v48, 0xffffff00, v39
	v_sub_i16 v47, v48, v47 clamp
	v_lshlrev_b16_e32 v48, 8, v39
	v_sub_i16 v43, v48, v43 clamp
	v_perm_b32 v43, v43, v47, s27
	v_and_b32_sdwa v47, v39, s26 dst_sel:DWORD dst_unused:UNUSED_PAD src0_sel:WORD_1 src1_sel:DWORD
	v_lshlrev_b16_sdwa v39, v35, v39 dst_sel:DWORD dst_unused:UNUSED_PAD src0_sel:DWORD src1_sel:WORD_1
	v_sub_i16 v47, v47, v49 clamp
	v_sub_i16 v39, v39, v46 clamp
	v_perm_b32 v39, v39, v47, s27
	v_lshl_or_b32 v39, v39, 16, v43
	v_and_b32_e32 v43, 0x80402010, v42
	v_cmp_ne_u16_sdwa s[20:21], v43, v31 src0_sel:BYTE_3 src1_sel:DWORD
	v_cmp_ne_u16_sdwa s[28:29], v43, v31 src0_sel:BYTE_1 src1_sel:DWORD
	v_lshrrev_b32_e32 v42, 22, v42
	v_lshrrev_b16_e32 v43, 4, v43
	v_cndmask_b32_e64 v46, 0, -1, s[28:29]
	v_cndmask_b32_e64 v48, 0, -1, s[20:21]
	v_bfe_i32 v43, v43, 0, 1
	v_lshlrev_b16_e32 v46, 8, v46
	v_bfe_i32 v42, v42, 0, 1
	v_lshlrev_b16_e32 v48, 8, v48
	v_or_b32_sdwa v47, v43, v46 dst_sel:DWORD dst_unused:UNUSED_PAD src0_sel:BYTE_0 src1_sel:DWORD
	v_or_b32_sdwa v49, v42, v48 dst_sel:WORD_1 dst_unused:UNUSED_PAD src0_sel:BYTE_0 src1_sel:DWORD
	v_or_b32_sdwa v47, v47, v49 dst_sel:DWORD dst_unused:UNUSED_PAD src0_sel:WORD_0 src1_sel:DWORD
	v_xor_b32_e32 v40, v40, v47
	v_and_b32_e32 v47, 0xffffff00, v40
	v_sub_i16 v46, v47, v46 clamp
	v_lshlrev_b16_e32 v47, 8, v40
	v_lshlrev_b16_e32 v43, 8, v43
	v_sub_i16 v43, v47, v43 clamp
	v_perm_b32 v43, v43, v46, s27
	v_and_b32_sdwa v46, v40, s26 dst_sel:DWORD dst_unused:UNUSED_PAD src0_sel:WORD_1 src1_sel:DWORD
	v_lshlrev_b16_sdwa v40, v35, v40 dst_sel:DWORD dst_unused:UNUSED_PAD src0_sel:DWORD src1_sel:WORD_1
	v_lshlrev_b16_e32 v42, 8, v42
	v_sub_i16 v46, v46, v48 clamp
	v_sub_i16 v40, v40, v42 clamp
	v_perm_b32 v40, v40, v46, s27
	v_lshl_or_b32 v40, v40, 16, v43
	v_dot4_i32_i8 v42, v39, v3, 0
	v_dot4_i32_i8 v46, v40, v4, v42
	v_lshrrev_b32_e32 v42, 13, v41
	v_and_b32_e32 v42, 0xff8, v42
	global_load_dwordx2 v[42:43], v42, s[16:17]
	v_lshrrev_b32_e32 v47, 25, v41
	v_bcnt_u32_b32 v47, v47, 0
	v_and_b32_e32 v47, 1, v47
	v_alignbit_b32 v41, v47, v41, 25
	v_mul_lo_u32 v47, v41, s23
	v_and_b32_e32 v41, 0x8040201, v47
	v_cmp_ne_u16_sdwa s[20:21], v41, v31 src0_sel:BYTE_3 src1_sel:DWORD
	v_cmp_ne_u16_sdwa s[28:29], v41, v31 src0_sel:BYTE_1 src1_sel:DWORD
	v_lshrrev_b32_e32 v48, 18, v47
	v_cndmask_b32_e64 v49, 0, -1, s[28:29]
	v_cndmask_b32_e64 v53, 0, -1, s[20:21]
	v_bfe_i32 v41, v47, 0, 1
	v_lshlrev_b16_e32 v49, 8, v49
	v_bfe_i32 v48, v48, 0, 1
	v_lshlrev_b16_e32 v53, 8, v53
	v_or_b32_sdwa v52, v41, v49 dst_sel:DWORD dst_unused:UNUSED_PAD src0_sel:BYTE_0 src1_sel:DWORD
	v_or_b32_sdwa v54, v48, v53 dst_sel:WORD_1 dst_unused:UNUSED_PAD src0_sel:BYTE_0 src1_sel:DWORD
	v_or_b32_sdwa v52, v52, v54 dst_sel:DWORD dst_unused:UNUSED_PAD src0_sel:WORD_0 src1_sel:DWORD
	v_lshlrev_b16_e32 v41, 8, v41
	v_lshlrev_b16_e32 v48, 8, v48
	s_waitcnt vmcnt(0)
	v_xor_b32_e32 v42, v42, v52
	v_and_b32_e32 v52, 0xffffff00, v42
	v_sub_i16 v49, v52, v49 clamp
	v_lshlrev_b16_e32 v52, 8, v42
	v_sub_i16 v41, v52, v41 clamp
	v_perm_b32 v41, v41, v49, s27
	v_and_b32_sdwa v49, v42, s26 dst_sel:DWORD dst_unused:UNUSED_PAD src0_sel:WORD_1 src1_sel:DWORD
	v_lshlrev_b16_sdwa v42, v35, v42 dst_sel:DWORD dst_unused:UNUSED_PAD src0_sel:DWORD src1_sel:WORD_1
	v_sub_i16 v49, v49, v53 clamp
	v_sub_i16 v42, v42, v48 clamp
	v_perm_b32 v42, v42, v49, s27
	v_lshl_or_b32 v41, v42, 16, v41
	v_and_b32_e32 v42, 0x80402010, v47
	v_cmp_ne_u16_sdwa s[20:21], v42, v31 src0_sel:BYTE_3 src1_sel:DWORD
	v_cmp_ne_u16_sdwa s[28:29], v42, v31 src0_sel:BYTE_1 src1_sel:DWORD
	v_lshrrev_b32_e32 v47, 22, v47
	v_lshrrev_b16_e32 v42, 4, v42
	v_cndmask_b32_e64 v48, 0, -1, s[28:29]
	v_cndmask_b32_e64 v52, 0, -1, s[20:21]
	v_bfe_i32 v42, v42, 0, 1
	v_lshlrev_b16_e32 v48, 8, v48
	v_bfe_i32 v47, v47, 0, 1
	v_lshlrev_b16_e32 v52, 8, v52
	v_or_b32_sdwa v49, v42, v48 dst_sel:DWORD dst_unused:UNUSED_PAD src0_sel:BYTE_0 src1_sel:DWORD
	v_or_b32_sdwa v53, v47, v52 dst_sel:WORD_1 dst_unused:UNUSED_PAD src0_sel:BYTE_0 src1_sel:DWORD
	v_or_b32_sdwa v49, v49, v53 dst_sel:DWORD dst_unused:UNUSED_PAD src0_sel:WORD_0 src1_sel:DWORD
	v_xor_b32_e32 v43, v43, v49
	v_and_b32_e32 v49, 0xffffff00, v43
	v_sub_i16 v48, v49, v48 clamp
	v_lshlrev_b16_e32 v49, 8, v43
	v_lshlrev_b16_e32 v42, 8, v42
	v_sub_i16 v42, v49, v42 clamp
	v_perm_b32 v42, v42, v48, s27
	v_and_b32_sdwa v48, v43, s26 dst_sel:DWORD dst_unused:UNUSED_PAD src0_sel:WORD_1 src1_sel:DWORD
	v_lshlrev_b16_sdwa v43, v35, v43 dst_sel:DWORD dst_unused:UNUSED_PAD src0_sel:DWORD src1_sel:WORD_1
	v_lshlrev_b16_e32 v47, 8, v47
	v_sub_i16 v48, v48, v52 clamp
	v_sub_i16 v43, v43, v47 clamp
	v_perm_b32 v43, v43, v48, s27
	v_lshl_or_b32 v42, v43, 16, v42
	v_dot4_i32_i8 v43, v41, v5, v46
	v_dot4_i32_i8 v46, v42, v51, v43
	v_lshrrev_b32_e32 v43, 4, v44
	v_and_b32_e32 v44, 15, v44
	v_mul_lo_u32 v47, v45, v44
	v_mul_lo_u32 v48, v46, v43
	v_add_u32_e32 v45, v46, v45
	v_lshrrev_b32_e32 v46, 31, v45
	v_add_u32_e32 v45, v45, v46
	v_ashrrev_i32_e32 v45, 1, v45
	v_add3_u32 v45, v48, v47, v45
	v_ashrrev_i32_e32 v46, 31, v45
	v_lshrrev_b32_e32 v46, 30, v46
	v_add_u32_e32 v45, v45, v46
	v_ashrrev_i32_e32 v46, 2, v45
	v_cvt_f32_f16_e32 v45, v16
	v_cvt_f32_i32_e32 v17, v46
	v_mul_f32_e32 v16, v45, v50
	v_fmac_f32_e32 v29, v16, v17
	v_add_u32_e32 v16, s0, v30
	v_mad_i64_i32 v[16:17], s[20:21], v16, s22, v[14:15]
	v_add_u32_e32 v30, 8, v30
	v_add_co_u32_e32 v46, vcc, v16, v34
	v_addc_co_u32_e32 v47, vcc, 0, v17, vcc
	global_load_dwordx2 v[48:49], v[46:47], off offset:2
	v_add_co_u32_e32 v46, vcc, v16, v32
	v_addc_co_u32_e32 v47, vcc, 0, v17, vcc
	global_load_ubyte v54, v[46:47], off offset:66
	v_add_co_u32_e32 v10, vcc, 0x900, v10
	v_addc_co_u32_e32 v11, vcc, 0, v11, vcc
	v_cmp_le_u32_e32 vcc, s9, v30
	s_or_b64 s[12:13], vcc, s[12:13]
	s_waitcnt vmcnt(1)
	v_and_b32_e32 v46, 0x1ff, v48
	v_lshlrev_b32_e32 v46, 3, v46
	global_load_dwordx2 v[46:47], v46, s[16:17]
	v_bfe_u32 v52, v48, 9, 7
	v_bcnt_u32_b32 v53, v52, 0
	v_and_b32_e32 v53, 1, v53
	v_lshl_or_b32 v52, v53, 7, v52
	v_mul_lo_u32 v52, v52, s23
	v_and_b32_e32 v53, 0x8040201, v52
	v_cmp_ne_u16_sdwa s[20:21], v53, v31 src0_sel:BYTE_3 src1_sel:DWORD
	v_cmp_ne_u16_sdwa s[28:29], v53, v31 src0_sel:BYTE_1 src1_sel:DWORD
	v_lshrrev_b32_e32 v55, 18, v52
	v_cndmask_b32_e64 v56, 0, -1, s[28:29]
	v_cndmask_b32_e64 v58, 0, -1, s[20:21]
	v_bfe_i32 v53, v52, 0, 1
	v_lshlrev_b16_e32 v56, 8, v56
	v_bfe_i32 v55, v55, 0, 1
	v_lshlrev_b16_e32 v58, 8, v58
	v_or_b32_sdwa v57, v53, v56 dst_sel:DWORD dst_unused:UNUSED_PAD src0_sel:BYTE_0 src1_sel:DWORD
	v_or_b32_sdwa v59, v55, v58 dst_sel:WORD_1 dst_unused:UNUSED_PAD src0_sel:BYTE_0 src1_sel:DWORD
	v_or_b32_sdwa v57, v57, v59 dst_sel:DWORD dst_unused:UNUSED_PAD src0_sel:WORD_0 src1_sel:DWORD
	v_lshlrev_b16_e32 v53, 8, v53
	v_lshlrev_b16_e32 v55, 8, v55
	s_waitcnt vmcnt(0)
	v_xor_b32_e32 v46, v46, v57
	v_and_b32_e32 v57, 0xffffff00, v46
	v_sub_i16 v56, v57, v56 clamp
	v_lshlrev_b16_e32 v57, 8, v46
	v_sub_i16 v53, v57, v53 clamp
	v_perm_b32 v53, v53, v56, s27
	v_and_b32_sdwa v56, v46, s26 dst_sel:DWORD dst_unused:UNUSED_PAD src0_sel:WORD_1 src1_sel:DWORD
	v_lshlrev_b16_sdwa v46, v35, v46 dst_sel:DWORD dst_unused:UNUSED_PAD src0_sel:DWORD src1_sel:WORD_1
	v_sub_i16 v56, v56, v58 clamp
	v_sub_i16 v46, v46, v55 clamp
	v_perm_b32 v46, v46, v56, s27
	v_lshl_or_b32 v46, v46, 16, v53
	v_and_b32_e32 v53, 0x80402010, v52
	v_cmp_ne_u16_sdwa s[20:21], v53, v31 src0_sel:BYTE_3 src1_sel:DWORD
	v_cmp_ne_u16_sdwa s[28:29], v53, v31 src0_sel:BYTE_1 src1_sel:DWORD
	v_lshrrev_b32_e32 v52, 22, v52
	v_lshrrev_b16_e32 v53, 4, v53
	v_cndmask_b32_e64 v55, 0, -1, s[28:29]
	v_cndmask_b32_e64 v57, 0, -1, s[20:21]
	v_bfe_i32 v53, v53, 0, 1
	v_lshlrev_b16_e32 v55, 8, v55
	v_bfe_i32 v52, v52, 0, 1
	v_lshlrev_b16_e32 v57, 8, v57
	v_or_b32_sdwa v56, v53, v55 dst_sel:DWORD dst_unused:UNUSED_PAD src0_sel:BYTE_0 src1_sel:DWORD
	v_or_b32_sdwa v58, v52, v57 dst_sel:WORD_1 dst_unused:UNUSED_PAD src0_sel:BYTE_0 src1_sel:DWORD
	v_or_b32_sdwa v56, v56, v58 dst_sel:DWORD dst_unused:UNUSED_PAD src0_sel:WORD_0 src1_sel:DWORD
	v_xor_b32_e32 v47, v47, v56
	v_and_b32_e32 v56, 0xffffff00, v47
	v_sub_i16 v55, v56, v55 clamp
	v_lshlrev_b16_e32 v56, 8, v47
	v_lshlrev_b16_e32 v53, 8, v53
	v_sub_i16 v53, v56, v53 clamp
	v_perm_b32 v53, v53, v55, s27
	v_and_b32_sdwa v55, v47, s26 dst_sel:DWORD dst_unused:UNUSED_PAD src0_sel:WORD_1 src1_sel:DWORD
	v_lshlrev_b16_sdwa v47, v35, v47 dst_sel:DWORD dst_unused:UNUSED_PAD src0_sel:DWORD src1_sel:WORD_1
	v_lshlrev_b16_e32 v52, 8, v52
	v_sub_i16 v55, v55, v57 clamp
	v_sub_i16 v47, v47, v52 clamp
	v_perm_b32 v47, v47, v55, s27
	v_lshl_or_b32 v47, v47, 16, v53
	v_dot4_i32_i8 v7, v46, v7, 0
	v_dot4_i32_i8 v52, v47, v8, v7
	v_lshrrev_b32_e32 v7, 13, v48
	v_and_b32_e32 v7, 0xff8, v7
	global_load_dwordx2 v[7:8], v7, s[16:17]
	v_lshrrev_b32_e32 v53, 25, v48
	v_bcnt_u32_b32 v53, v53, 0
	v_and_b32_e32 v53, 1, v53
	v_alignbit_b32 v48, v53, v48, 25
	v_mul_lo_u32 v48, v48, s23
	v_and_b32_e32 v53, 0x8040201, v48
	v_cmp_ne_u16_sdwa s[20:21], v53, v31 src0_sel:BYTE_3 src1_sel:DWORD
	v_cmp_ne_u16_sdwa s[28:29], v53, v31 src0_sel:BYTE_1 src1_sel:DWORD
	v_lshrrev_b32_e32 v55, 18, v48
	v_cndmask_b32_e64 v56, 0, -1, s[28:29]
	v_cndmask_b32_e64 v58, 0, -1, s[20:21]
	v_bfe_i32 v53, v48, 0, 1
	v_lshlrev_b16_e32 v56, 8, v56
	v_bfe_i32 v55, v55, 0, 1
	v_lshlrev_b16_e32 v58, 8, v58
	v_or_b32_sdwa v57, v53, v56 dst_sel:DWORD dst_unused:UNUSED_PAD src0_sel:BYTE_0 src1_sel:DWORD
	v_or_b32_sdwa v59, v55, v58 dst_sel:WORD_1 dst_unused:UNUSED_PAD src0_sel:BYTE_0 src1_sel:DWORD
	v_or_b32_sdwa v57, v57, v59 dst_sel:DWORD dst_unused:UNUSED_PAD src0_sel:WORD_0 src1_sel:DWORD
	v_lshlrev_b16_e32 v53, 8, v53
	v_lshlrev_b16_e32 v55, 8, v55
	s_waitcnt vmcnt(0)
	v_xor_b32_e32 v7, v7, v57
	v_and_b32_e32 v57, 0xffffff00, v7
	v_sub_i16 v56, v57, v56 clamp
	v_lshlrev_b16_e32 v57, 8, v7
	v_sub_i16 v53, v57, v53 clamp
	v_perm_b32 v53, v53, v56, s27
	v_and_b32_sdwa v56, v7, s26 dst_sel:DWORD dst_unused:UNUSED_PAD src0_sel:WORD_1 src1_sel:DWORD
	v_lshlrev_b16_sdwa v7, v35, v7 dst_sel:DWORD dst_unused:UNUSED_PAD src0_sel:DWORD src1_sel:WORD_1
	v_sub_i16 v56, v56, v58 clamp
	v_sub_i16 v7, v7, v55 clamp
	v_perm_b32 v7, v7, v56, s27
	v_lshl_or_b32 v7, v7, 16, v53
	v_and_b32_e32 v53, 0x80402010, v48
	v_cmp_ne_u16_sdwa s[20:21], v53, v31 src0_sel:BYTE_3 src1_sel:DWORD
	v_cmp_ne_u16_sdwa s[28:29], v53, v31 src0_sel:BYTE_1 src1_sel:DWORD
	v_lshrrev_b32_e32 v48, 22, v48
	v_lshrrev_b16_e32 v53, 4, v53
	v_cndmask_b32_e64 v55, 0, -1, s[28:29]
	v_cndmask_b32_e64 v57, 0, -1, s[20:21]
	v_bfe_i32 v53, v53, 0, 1
	v_lshlrev_b16_e32 v55, 8, v55
	v_bfe_i32 v48, v48, 0, 1
	v_lshlrev_b16_e32 v57, 8, v57
	v_or_b32_sdwa v56, v53, v55 dst_sel:DWORD dst_unused:UNUSED_PAD src0_sel:BYTE_0 src1_sel:DWORD
	v_or_b32_sdwa v58, v48, v57 dst_sel:WORD_1 dst_unused:UNUSED_PAD src0_sel:BYTE_0 src1_sel:DWORD
	v_or_b32_sdwa v56, v56, v58 dst_sel:DWORD dst_unused:UNUSED_PAD src0_sel:WORD_0 src1_sel:DWORD
	v_xor_b32_e32 v8, v8, v56
	v_and_b32_e32 v56, 0xffffff00, v8
	v_sub_i16 v55, v56, v55 clamp
	v_lshlrev_b16_e32 v56, 8, v8
	v_lshlrev_b16_e32 v53, 8, v53
	v_sub_i16 v53, v56, v53 clamp
	v_perm_b32 v53, v53, v55, s27
	v_and_b32_sdwa v55, v8, s26 dst_sel:DWORD dst_unused:UNUSED_PAD src0_sel:WORD_1 src1_sel:DWORD
	v_lshlrev_b16_sdwa v8, v35, v8 dst_sel:DWORD dst_unused:UNUSED_PAD src0_sel:DWORD src1_sel:WORD_1
	v_lshlrev_b16_e32 v48, 8, v48
	v_sub_i16 v55, v55, v57 clamp
	v_sub_i16 v8, v8, v48 clamp
	v_perm_b32 v8, v8, v55, s27
	v_lshl_or_b32 v8, v8, 16, v53
	v_dot4_i32_i8 v9, v7, v9, v52
	v_dot4_i32_i8 v55, v8, v2, v9
	v_and_b32_e32 v2, 0x1ff, v49
	v_lshlrev_b32_e32 v2, 3, v2
	global_load_dwordx2 v[52:53], v2, s[16:17]
	v_bfe_u32 v2, v49, 9, 7
	v_bcnt_u32_b32 v9, v2, 0
	v_and_b32_e32 v9, 1, v9
	v_lshl_or_b32 v2, v9, 7, v2
	v_mul_lo_u32 v2, v2, s23
	v_and_b32_e32 v9, 0x8040201, v2
	v_cmp_ne_u16_sdwa s[20:21], v9, v31 src0_sel:BYTE_3 src1_sel:DWORD
	v_cmp_ne_u16_sdwa s[28:29], v9, v31 src0_sel:BYTE_1 src1_sel:DWORD
	v_lshrrev_b32_e32 v48, 18, v2
	v_cndmask_b32_e64 v56, 0, -1, s[28:29]
	v_cndmask_b32_e64 v58, 0, -1, s[20:21]
	v_bfe_i32 v9, v2, 0, 1
	v_lshlrev_b16_e32 v56, 8, v56
	v_bfe_i32 v48, v48, 0, 1
	v_lshlrev_b16_e32 v58, 8, v58
	v_or_b32_sdwa v57, v9, v56 dst_sel:DWORD dst_unused:UNUSED_PAD src0_sel:BYTE_0 src1_sel:DWORD
	v_or_b32_sdwa v59, v48, v58 dst_sel:WORD_1 dst_unused:UNUSED_PAD src0_sel:BYTE_0 src1_sel:DWORD
	v_or_b32_sdwa v57, v57, v59 dst_sel:DWORD dst_unused:UNUSED_PAD src0_sel:WORD_0 src1_sel:DWORD
	v_lshlrev_b16_e32 v9, 8, v9
	v_lshlrev_b16_e32 v48, 8, v48
	s_waitcnt vmcnt(0)
	v_xor_b32_e32 v52, v52, v57
	v_and_b32_e32 v57, 0xffffff00, v52
	v_sub_i16 v56, v57, v56 clamp
	v_lshlrev_b16_e32 v57, 8, v52
	v_sub_i16 v9, v57, v9 clamp
	v_perm_b32 v9, v9, v56, s27
	v_and_b32_sdwa v56, v52, s26 dst_sel:DWORD dst_unused:UNUSED_PAD src0_sel:WORD_1 src1_sel:DWORD
	v_lshlrev_b16_sdwa v52, v35, v52 dst_sel:DWORD dst_unused:UNUSED_PAD src0_sel:DWORD src1_sel:WORD_1
	v_sub_i16 v56, v56, v58 clamp
	v_sub_i16 v48, v52, v48 clamp
	v_perm_b32 v48, v48, v56, s27
	v_lshl_or_b32 v9, v48, 16, v9
	v_and_b32_e32 v48, 0x80402010, v2
	v_cmp_ne_u16_sdwa s[20:21], v48, v31 src0_sel:BYTE_3 src1_sel:DWORD
	v_cmp_ne_u16_sdwa s[28:29], v48, v31 src0_sel:BYTE_1 src1_sel:DWORD
	v_lshrrev_b32_e32 v2, 22, v2
	v_lshrrev_b16_e32 v48, 4, v48
	v_cndmask_b32_e64 v52, 0, -1, s[28:29]
	v_cndmask_b32_e64 v57, 0, -1, s[20:21]
	v_bfe_i32 v48, v48, 0, 1
	v_lshlrev_b16_e32 v52, 8, v52
	v_bfe_i32 v2, v2, 0, 1
	v_lshlrev_b16_e32 v57, 8, v57
	v_or_b32_sdwa v56, v48, v52 dst_sel:DWORD dst_unused:UNUSED_PAD src0_sel:BYTE_0 src1_sel:DWORD
	v_or_b32_sdwa v58, v2, v57 dst_sel:WORD_1 dst_unused:UNUSED_PAD src0_sel:BYTE_0 src1_sel:DWORD
	v_or_b32_sdwa v56, v56, v58 dst_sel:DWORD dst_unused:UNUSED_PAD src0_sel:WORD_0 src1_sel:DWORD
	v_xor_b32_e32 v53, v53, v56
	v_and_b32_e32 v56, 0xffffff00, v53
	v_sub_i16 v52, v56, v52 clamp
	v_lshlrev_b16_e32 v56, 8, v53
	v_lshlrev_b16_e32 v48, 8, v48
	v_sub_i16 v48, v56, v48 clamp
	v_perm_b32 v48, v48, v52, s27
	v_and_b32_sdwa v52, v53, s26 dst_sel:DWORD dst_unused:UNUSED_PAD src0_sel:WORD_1 src1_sel:DWORD
	v_lshlrev_b16_sdwa v53, v35, v53 dst_sel:DWORD dst_unused:UNUSED_PAD src0_sel:DWORD src1_sel:WORD_1
	v_lshlrev_b16_e32 v2, 8, v2
	v_sub_i16 v52, v52, v57 clamp
	v_sub_i16 v2, v53, v2 clamp
	v_perm_b32 v2, v2, v52, s27
	v_lshl_or_b32 v48, v2, 16, v48
	v_dot4_i32_i8 v2, v9, v3, 0
	v_dot4_i32_i8 v4, v48, v4, v2
	v_lshrrev_b32_e32 v2, 13, v49
	v_and_b32_e32 v2, 0xff8, v2
	global_load_dwordx2 v[2:3], v2, s[16:17]
	v_lshrrev_b32_e32 v52, 25, v49
	v_bcnt_u32_b32 v52, v52, 0
	v_and_b32_e32 v52, 1, v52
	v_alignbit_b32 v49, v52, v49, 25
	v_mul_lo_u32 v52, v49, s23
	v_and_b32_e32 v49, 0x8040201, v52
	v_cmp_ne_u16_sdwa s[16:17], v49, v31 src0_sel:BYTE_3 src1_sel:DWORD
	v_cmp_ne_u16_sdwa s[20:21], v49, v31 src0_sel:BYTE_1 src1_sel:DWORD
	v_lshrrev_b32_e32 v53, 18, v52
	v_cndmask_b32_e64 v56, 0, -1, s[20:21]
	v_cndmask_b32_e64 v58, 0, -1, s[16:17]
	v_bfe_i32 v49, v52, 0, 1
	v_lshlrev_b16_e32 v56, 8, v56
	v_bfe_i32 v53, v53, 0, 1
	v_lshlrev_b16_e32 v58, 8, v58
	v_or_b32_sdwa v57, v49, v56 dst_sel:DWORD dst_unused:UNUSED_PAD src0_sel:BYTE_0 src1_sel:DWORD
	v_or_b32_sdwa v59, v53, v58 dst_sel:WORD_1 dst_unused:UNUSED_PAD src0_sel:BYTE_0 src1_sel:DWORD
	v_or_b32_sdwa v57, v57, v59 dst_sel:DWORD dst_unused:UNUSED_PAD src0_sel:WORD_0 src1_sel:DWORD
	v_lshlrev_b16_e32 v49, 8, v49
	v_lshlrev_b16_e32 v53, 8, v53
	s_waitcnt vmcnt(0)
	v_xor_b32_e32 v2, v2, v57
	v_and_b32_e32 v57, 0xffffff00, v2
	v_sub_i16 v56, v57, v56 clamp
	v_lshlrev_b16_e32 v57, 8, v2
	v_sub_i16 v49, v57, v49 clamp
	v_perm_b32 v49, v49, v56, s27
	v_and_b32_sdwa v56, v2, s26 dst_sel:DWORD dst_unused:UNUSED_PAD src0_sel:WORD_1 src1_sel:DWORD
	v_lshlrev_b16_sdwa v2, v35, v2 dst_sel:DWORD dst_unused:UNUSED_PAD src0_sel:DWORD src1_sel:WORD_1
	v_sub_i16 v56, v56, v58 clamp
	v_sub_i16 v2, v2, v53 clamp
	v_perm_b32 v2, v2, v56, s27
	v_lshl_or_b32 v49, v2, 16, v49
	v_and_b32_e32 v2, 0x80402010, v52
	v_cmp_ne_u16_sdwa s[16:17], v2, v31 src0_sel:BYTE_3 src1_sel:DWORD
	v_cmp_ne_u16_sdwa s[20:21], v2, v31 src0_sel:BYTE_1 src1_sel:DWORD
	v_lshrrev_b32_e32 v52, 22, v52
	v_lshrrev_b16_e32 v2, 4, v2
	v_cndmask_b32_e64 v53, 0, -1, s[20:21]
	v_cndmask_b32_e64 v57, 0, -1, s[16:17]
	v_bfe_i32 v2, v2, 0, 1
	v_lshlrev_b16_e32 v53, 8, v53
	v_bfe_i32 v52, v52, 0, 1
	v_lshlrev_b16_e32 v57, 8, v57
	v_or_b32_sdwa v56, v2, v53 dst_sel:DWORD dst_unused:UNUSED_PAD src0_sel:BYTE_0 src1_sel:DWORD
	v_or_b32_sdwa v58, v52, v57 dst_sel:WORD_1 dst_unused:UNUSED_PAD src0_sel:BYTE_0 src1_sel:DWORD
	v_or_b32_sdwa v56, v56, v58 dst_sel:DWORD dst_unused:UNUSED_PAD src0_sel:WORD_0 src1_sel:DWORD
	v_xor_b32_e32 v3, v3, v56
	v_and_b32_e32 v56, 0xffffff00, v3
	v_sub_i16 v53, v56, v53 clamp
	v_lshlrev_b16_e32 v56, 8, v3
	v_lshlrev_b16_e32 v2, 8, v2
	v_sub_i16 v2, v56, v2 clamp
	v_perm_b32 v2, v2, v53, s27
	v_and_b32_sdwa v53, v3, s26 dst_sel:DWORD dst_unused:UNUSED_PAD src0_sel:WORD_1 src1_sel:DWORD
	v_lshlrev_b16_sdwa v3, v35, v3 dst_sel:DWORD dst_unused:UNUSED_PAD src0_sel:DWORD src1_sel:WORD_1
	v_lshlrev_b16_e32 v52, 8, v52
	v_sub_i16 v53, v53, v57 clamp
	v_sub_i16 v3, v3, v52 clamp
	v_perm_b32 v3, v3, v53, s27
	v_lshl_or_b32 v2, v3, 16, v2
	v_dot4_i32_i8 v3, v49, v5, v4
	v_dot4_i32_i8 v5, v2, v51, v3
	v_lshrrev_b32_e32 v3, 4, v54
	v_and_b32_e32 v4, 15, v54
	v_mul_lo_u32 v51, v55, v4
	v_mul_lo_u32 v52, v5, v3
	v_add_u32_e32 v5, v5, v55
	v_lshrrev_b32_e32 v53, 31, v5
	v_add_u32_e32 v5, v5, v53
	v_ashrrev_i32_e32 v5, 1, v5
	v_add3_u32 v5, v52, v51, v5
	v_ashrrev_i32_e32 v51, 31, v5
	v_lshrrev_b32_e32 v51, 30, v51
	v_add_u32_e32 v5, v5, v51
	v_ashrrev_i32_e32 v51, 2, v5
	global_load_ushort v5, v[16:17], off
	v_cvt_f32_i32_e32 v17, v51
	s_waitcnt vmcnt(0)
	v_cvt_f32_f16_e32 v5, v5
	v_mul_f32_e32 v16, v5, v50
	v_fmac_f32_e32 v28, v16, v17
	v_add_u32_e32 v16, s1, v33
	v_mad_u64_u32 v[16:17], s[16:17], v16, 36, v[12:13]
	global_load_dword v58, v[16:17], off offset:32
	global_load_dwordx4 v[50:53], v[16:17], off offset:16
	global_load_dwordx4 v[54:57], v[16:17], off
	s_waitcnt vmcnt(0)
	v_cvt_f32_f16_e32 v16, v54
	v_dot4_i32_i8 v17, v6, v55, 0
	v_dot4_i32_i8 v54, v39, v51, 0
	v_dot4_i32_i8 v17, v36, v56, v17
	v_dot4_i32_i8 v54, v40, v52, v54
	v_dot4_i32_i8 v17, v37, v57, v17
	v_dot4_i32_i8 v54, v41, v53, v54
	v_dot4_i32_i8 v17, v38, v50, v17
	v_dot4_i32_i8 v54, v42, v58, v54
	v_mul_lo_u32 v59, v17, v44
	v_mul_lo_u32 v60, v54, v43
	v_add_u32_e32 v17, v54, v17
	v_lshrrev_b32_e32 v54, 31, v17
	v_add_u32_e32 v17, v17, v54
	v_ashrrev_i32_e32 v17, 1, v17
	v_add3_u32 v17, v60, v59, v17
	v_ashrrev_i32_e32 v54, 31, v17
	v_lshrrev_b32_e32 v54, 30, v54
	v_add_u32_e32 v17, v17, v54
	v_ashrrev_i32_e32 v17, 2, v17
	v_cvt_f32_i32_e32 v17, v17
	v_mul_f32_e32 v54, v45, v16
	v_mul_f32_e32 v16, v5, v16
	v_fmac_f32_e32 v27, v54, v17
	v_dot4_i32_i8 v17, v46, v55, 0
	v_dot4_i32_i8 v17, v47, v56, v17
	v_dot4_i32_i8 v17, v7, v57, v17
	v_dot4_i32_i8 v17, v8, v50, v17
	v_dot4_i32_i8 v50, v9, v51, 0
	v_dot4_i32_i8 v50, v48, v52, v50
	v_dot4_i32_i8 v50, v49, v53, v50
	v_dot4_i32_i8 v50, v2, v58, v50
	v_mul_lo_u32 v51, v17, v4
	v_mul_lo_u32 v52, v50, v3
	v_add_u32_e32 v17, v50, v17
	v_lshrrev_b32_e32 v50, 31, v17
	v_add_u32_e32 v17, v17, v50
	v_ashrrev_i32_e32 v17, 1, v17
	v_add3_u32 v17, v52, v51, v17
	v_ashrrev_i32_e32 v50, 31, v17
	v_lshrrev_b32_e32 v50, 30, v50
	v_add_u32_e32 v17, v17, v50
	v_ashrrev_i32_e32 v17, 2, v17
	v_cvt_f32_i32_e32 v17, v17
	v_fmac_f32_e32 v26, v16, v17
	v_add_u32_e32 v16, s3, v33
	v_mad_u64_u32 v[16:17], s[16:17], v16, 36, v[12:13]
	global_load_dword v58, v[16:17], off offset:32
	global_load_dwordx4 v[50:53], v[16:17], off offset:16
	global_load_dwordx4 v[54:57], v[16:17], off
	s_waitcnt vmcnt(0)
	v_cvt_f32_f16_e32 v16, v54
	v_dot4_i32_i8 v17, v6, v55, 0
	v_dot4_i32_i8 v54, v39, v51, 0
	v_dot4_i32_i8 v17, v36, v56, v17
	v_dot4_i32_i8 v54, v40, v52, v54
	v_dot4_i32_i8 v17, v37, v57, v17
	v_dot4_i32_i8 v54, v41, v53, v54
	v_dot4_i32_i8 v17, v38, v50, v17
	v_dot4_i32_i8 v54, v42, v58, v54
	v_mul_lo_u32 v59, v17, v44
	v_mul_lo_u32 v60, v54, v43
	v_add_u32_e32 v17, v54, v17
	v_lshrrev_b32_e32 v54, 31, v17
	v_add_u32_e32 v17, v17, v54
	v_ashrrev_i32_e32 v17, 1, v17
	v_add3_u32 v17, v60, v59, v17
	v_ashrrev_i32_e32 v54, 31, v17
	v_lshrrev_b32_e32 v54, 30, v54
	v_add_u32_e32 v17, v17, v54
	v_ashrrev_i32_e32 v17, 2, v17
	v_cvt_f32_i32_e32 v17, v17
	v_mul_f32_e32 v54, v45, v16
	v_mul_f32_e32 v16, v5, v16
	v_fmac_f32_e32 v25, v54, v17
	v_dot4_i32_i8 v17, v46, v55, 0
	v_dot4_i32_i8 v17, v47, v56, v17
	v_dot4_i32_i8 v17, v7, v57, v17
	v_dot4_i32_i8 v17, v8, v50, v17
	v_dot4_i32_i8 v50, v9, v51, 0
	v_dot4_i32_i8 v50, v48, v52, v50
	v_dot4_i32_i8 v50, v49, v53, v50
	v_dot4_i32_i8 v50, v2, v58, v50
	v_mul_lo_u32 v51, v17, v4
	v_mul_lo_u32 v52, v50, v3
	v_add_u32_e32 v17, v50, v17
	v_lshrrev_b32_e32 v50, 31, v17
	v_add_u32_e32 v17, v17, v50
	v_ashrrev_i32_e32 v17, 1, v17
	v_add3_u32 v17, v52, v51, v17
	v_ashrrev_i32_e32 v50, 31, v17
	v_lshrrev_b32_e32 v50, 30, v50
	v_add_u32_e32 v17, v17, v50
	v_ashrrev_i32_e32 v17, 2, v17
	v_cvt_f32_i32_e32 v17, v17
	;; [unrolled: 51-line block ×4, first 2 shown]
	v_fmac_f32_e32 v20, v16, v17
	v_add_u32_e32 v16, s24, v33
	v_mad_u64_u32 v[16:17], s[16:17], v16, 36, v[12:13]
	global_load_dword v58, v[16:17], off offset:32
	global_load_dwordx4 v[50:53], v[16:17], off offset:16
	global_load_dwordx4 v[54:57], v[16:17], off
	v_add_u32_e32 v33, 64, v33
	s_waitcnt vmcnt(1)
	v_dot4_i32_i8 v17, v39, v51, 0
	s_waitcnt vmcnt(0)
	v_dot4_i32_i8 v6, v6, v55, 0
	v_dot4_i32_i8 v6, v36, v56, v6
	;; [unrolled: 1-line block ×7, first 2 shown]
	v_mul_lo_u32 v36, v6, v44
	v_mul_lo_u32 v37, v17, v43
	v_add_u32_e32 v6, v17, v6
	v_lshrrev_b32_e32 v17, 31, v6
	v_add_u32_e32 v6, v6, v17
	v_ashrrev_i32_e32 v6, 1, v6
	v_add3_u32 v6, v37, v36, v6
	v_ashrrev_i32_e32 v17, 31, v6
	v_lshrrev_b32_e32 v17, 30, v17
	v_add_u32_e32 v6, v6, v17
	v_cvt_f32_f16_e32 v16, v54
	v_ashrrev_i32_e32 v6, 2, v6
	v_cvt_f32_i32_e32 v6, v6
	v_mul_f32_e32 v17, v45, v16
	v_fmac_f32_e32 v19, v17, v6
	v_dot4_i32_i8 v6, v46, v55, 0
	v_dot4_i32_i8 v6, v47, v56, v6
	;; [unrolled: 1-line block ×8, first 2 shown]
	v_mul_lo_u32 v4, v6, v4
	v_mul_lo_u32 v3, v2, v3
	v_add_u32_e32 v2, v2, v6
	v_lshrrev_b32_e32 v6, 31, v2
	v_add_u32_e32 v2, v2, v6
	v_ashrrev_i32_e32 v2, 1, v2
	v_add3_u32 v2, v3, v4, v2
	v_ashrrev_i32_e32 v3, 31, v2
	v_lshrrev_b32_e32 v3, 30, v3
	v_add_u32_e32 v2, v2, v3
	v_ashrrev_i32_e32 v2, 2, v2
	v_cvt_f32_i32_e32 v2, v2
	v_mul_f32_e32 v3, v5, v16
	v_fmac_f32_e32 v18, v3, v2
	s_andn2_b64 exec, exec, s[12:13]
	s_cbranch_execnz .LBB177_2
; %bb.3:
	s_or_b64 exec, exec, s[12:13]
.LBB177_4:
	s_or_b64 exec, exec, s[10:11]
	s_mov_b32 s1, 0
	v_cmp_eq_u32_e32 vcc, 0, v1
	; wave barrier
	s_and_saveexec_b64 s[10:11], vcc
	s_cbranch_execz .LBB177_17
; %bb.5:
	v_mbcnt_lo_u32_b32 v1, -1, 0
	v_mbcnt_hi_u32_b32 v6, -1, v1
	v_and_b32_e32 v1, 64, v6
	v_add_u32_e32 v7, 64, v1
	v_xor_b32_e32 v1, 32, v6
	v_cmp_lt_i32_e32 vcc, v1, v7
	v_cndmask_b32_e32 v1, v6, v1, vcc
	v_lshlrev_b32_e32 v1, 2, v1
	ds_bpermute_b32 v5, v1, v29
	ds_bpermute_b32 v8, v1, v28
	v_xor_b32_e32 v2, 16, v6
	v_cmp_lt_i32_e32 vcc, v2, v7
	v_cndmask_b32_e32 v2, v6, v2, vcc
	v_lshlrev_b32_e32 v2, 2, v2
	s_waitcnt lgkmcnt(1)
	v_add_f32_e32 v5, v29, v5
	s_waitcnt lgkmcnt(0)
	v_add_f32_e32 v8, v28, v8
	ds_bpermute_b32 v10, v2, v5
	ds_bpermute_b32 v11, v2, v8
	v_xor_b32_e32 v3, 8, v6
	v_cmp_lt_i32_e32 vcc, v3, v7
	v_cndmask_b32_e32 v3, v6, v3, vcc
	v_lshlrev_b32_e32 v3, 2, v3
	s_waitcnt lgkmcnt(1)
	v_add_f32_e32 v10, v5, v10
	s_waitcnt lgkmcnt(0)
	v_add_f32_e32 v8, v8, v11
	;; [unrolled: 10-line block ×3, first 2 shown]
	ds_bpermute_b32 v12, v4, v10
	ds_bpermute_b32 v11, v4, v8
	v_xor_b32_e32 v9, 2, v6
	v_cmp_lt_i32_e32 vcc, v9, v7
	v_cndmask_b32_e32 v9, v6, v9, vcc
	v_lshlrev_b32_e32 v5, 2, v9
	v_xor_b32_e32 v9, 1, v6
	v_cmp_lt_i32_e32 vcc, v9, v7
	s_waitcnt lgkmcnt(1)
	v_add_f32_e32 v7, v10, v12
	s_waitcnt lgkmcnt(0)
	v_add_f32_e32 v10, v8, v11
	v_cndmask_b32_e32 v6, v6, v9, vcc
	ds_bpermute_b32 v9, v5, v7
	ds_bpermute_b32 v11, v5, v10
	s_load_dwordx2 s[4:5], s[4:5], 0x38
	s_mul_i32 s3, s14, s7
	v_lshlrev_b32_e32 v8, 2, v6
	s_waitcnt lgkmcnt(0)
	v_add_f32_e32 v6, v7, v9
	v_add_f32_e32 v9, v10, v11
	s_mul_i32 s0, s18, s8
	s_add_i32 s3, s3, s6
	ds_bpermute_b32 v7, v8, v6
	ds_bpermute_b32 v10, v8, v9
	s_add_i32 s0, s3, s0
	s_lshl_b64 s[0:1], s[0:1], 2
	s_add_u32 s4, s4, s0
	v_add_u32_e32 v11, s6, v0
	s_addc_u32 s5, s5, s1
	v_cmp_gt_u32_e32 vcc, 2, v0
	v_cmp_gt_u32_e64 s[0:1], s2, v11
	s_and_b64 s[0:1], vcc, s[0:1]
	s_waitcnt lgkmcnt(1)
	v_add_f32_e32 v6, v6, v7
	s_waitcnt lgkmcnt(0)
	v_add_f32_e32 v7, v9, v10
	s_and_saveexec_b64 s[6:7], s[0:1]
	s_cbranch_execz .LBB177_7
; %bb.6:
	v_cmp_eq_u32_e32 vcc, 1, v0
	v_cndmask_b32_e32 v9, v6, v7, vcc
	v_cmp_eq_u32_e32 vcc, 2, v0
	v_cndmask_b32_e32 v9, v9, v27, vcc
	;; [unrolled: 2-line block ×11, first 2 shown]
	v_lshlrev_b32_e32 v10, 2, v0
	global_store_dword v10, v9, s[4:5]
.LBB177_7:
	s_or_b64 exec, exec, s[6:7]
	ds_bpermute_b32 v9, v1, v27
	ds_bpermute_b32 v10, v1, v26
	s_waitcnt lgkmcnt(1)
	v_add_f32_e32 v9, v27, v9
	s_waitcnt lgkmcnt(0)
	v_add_f32_e32 v10, v26, v10
	ds_bpermute_b32 v11, v2, v9
	ds_bpermute_b32 v12, v2, v10
	s_waitcnt lgkmcnt(1)
	v_add_f32_e32 v9, v9, v11
	s_waitcnt lgkmcnt(0)
	v_add_f32_e32 v10, v10, v12
	;; [unrolled: 6-line block ×6, first 2 shown]
	s_and_saveexec_b64 s[6:7], s[0:1]
	s_cbranch_execz .LBB177_9
; %bb.8:
	v_add_u32_e32 v11, 2, v0
	v_cmp_eq_u32_e32 vcc, 1, v11
	v_cndmask_b32_e32 v12, v6, v7, vcc
	v_cmp_eq_u32_e32 vcc, 2, v11
	v_cndmask_b32_e32 v12, v12, v10, vcc
	;; [unrolled: 2-line block ×11, first 2 shown]
	v_add_u32_e32 v11, s2, v0
	v_mov_b32_e32 v12, 0
	v_lshlrev_b64 v[11:12], 2, v[11:12]
	v_mov_b32_e32 v14, s5
	v_add_co_u32_e32 v11, vcc, s4, v11
	v_addc_co_u32_e32 v12, vcc, v14, v12, vcc
	global_store_dword v[11:12], v13, off
.LBB177_9:
	s_or_b64 exec, exec, s[6:7]
	ds_bpermute_b32 v11, v1, v25
	ds_bpermute_b32 v12, v1, v24
	s_waitcnt lgkmcnt(1)
	v_add_f32_e32 v11, v25, v11
	s_waitcnt lgkmcnt(0)
	v_add_f32_e32 v12, v24, v12
	ds_bpermute_b32 v13, v2, v11
	ds_bpermute_b32 v14, v2, v12
	s_waitcnt lgkmcnt(1)
	v_add_f32_e32 v11, v11, v13
	s_waitcnt lgkmcnt(0)
	v_add_f32_e32 v12, v12, v14
	;; [unrolled: 6-line block ×6, first 2 shown]
	s_and_saveexec_b64 s[6:7], s[0:1]
	s_cbranch_execz .LBB177_11
; %bb.10:
	v_add_u32_e32 v13, 4, v0
	v_cmp_eq_u32_e32 vcc, 1, v13
	v_cndmask_b32_e32 v14, v6, v7, vcc
	v_cmp_eq_u32_e32 vcc, 2, v13
	v_cndmask_b32_e32 v14, v14, v10, vcc
	;; [unrolled: 2-line block ×11, first 2 shown]
	v_lshl_or_b32 v13, s2, 1, v0
	v_mov_b32_e32 v14, 0
	v_lshlrev_b64 v[13:14], 2, v[13:14]
	v_mov_b32_e32 v16, s5
	v_add_co_u32_e32 v13, vcc, s4, v13
	v_addc_co_u32_e32 v14, vcc, v16, v14, vcc
	global_store_dword v[13:14], v15, off
.LBB177_11:
	s_or_b64 exec, exec, s[6:7]
	ds_bpermute_b32 v13, v1, v23
	ds_bpermute_b32 v14, v1, v22
	s_waitcnt lgkmcnt(1)
	v_add_f32_e32 v13, v23, v13
	s_waitcnt lgkmcnt(0)
	v_add_f32_e32 v14, v22, v14
	ds_bpermute_b32 v15, v2, v13
	ds_bpermute_b32 v16, v2, v14
	s_waitcnt lgkmcnt(1)
	v_add_f32_e32 v13, v13, v15
	s_waitcnt lgkmcnt(0)
	v_add_f32_e32 v14, v14, v16
	;; [unrolled: 6-line block ×6, first 2 shown]
	s_and_saveexec_b64 s[6:7], s[0:1]
	s_cbranch_execz .LBB177_13
; %bb.12:
	v_add_u32_e32 v17, 6, v0
	v_cmp_eq_u32_e32 vcc, 1, v17
	v_cndmask_b32_e32 v15, v6, v7, vcc
	v_cmp_eq_u32_e32 vcc, 2, v17
	v_cndmask_b32_e32 v15, v15, v10, vcc
	v_cmp_eq_u32_e32 vcc, 3, v17
	v_cndmask_b32_e32 v15, v15, v9, vcc
	v_cmp_eq_u32_e32 vcc, 4, v17
	v_cndmask_b32_e32 v15, v15, v12, vcc
	v_cmp_eq_u32_e32 vcc, 5, v17
	v_cndmask_b32_e32 v15, v15, v11, vcc
	v_cmp_eq_u32_e32 vcc, 6, v17
	v_cndmask_b32_e32 v15, v15, v14, vcc
	v_cmp_eq_u32_e32 vcc, 7, v17
	v_cndmask_b32_e32 v15, v15, v13, vcc
	v_cmp_eq_u32_e32 vcc, 8, v17
	v_cndmask_b32_e32 v15, v15, v21, vcc
	v_cmp_eq_u32_e32 vcc, 9, v17
	v_cndmask_b32_e32 v15, v15, v20, vcc
	v_cmp_eq_u32_e32 vcc, 10, v17
	v_cndmask_b32_e32 v22, v15, v19, vcc
	v_mad_u64_u32 v[15:16], s[8:9], s2, 3, v[0:1]
	v_mov_b32_e32 v16, 0
	v_cmp_eq_u32_e32 vcc, 11, v17
	v_lshlrev_b64 v[15:16], 2, v[15:16]
	v_cndmask_b32_e32 v17, v22, v18, vcc
	v_mov_b32_e32 v22, s5
	v_add_co_u32_e32 v15, vcc, s4, v15
	v_addc_co_u32_e32 v16, vcc, v22, v16, vcc
	global_store_dword v[15:16], v17, off
.LBB177_13:
	s_or_b64 exec, exec, s[6:7]
	ds_bpermute_b32 v15, v1, v21
	ds_bpermute_b32 v16, v1, v20
	s_waitcnt lgkmcnt(1)
	v_add_f32_e32 v15, v21, v15
	s_waitcnt lgkmcnt(0)
	v_add_f32_e32 v16, v20, v16
	ds_bpermute_b32 v17, v2, v15
	ds_bpermute_b32 v20, v2, v16
	s_waitcnt lgkmcnt(1)
	v_add_f32_e32 v15, v15, v17
	s_waitcnt lgkmcnt(0)
	v_add_f32_e32 v16, v16, v20
	;; [unrolled: 6-line block ×6, first 2 shown]
	s_and_saveexec_b64 s[6:7], s[0:1]
	s_cbranch_execz .LBB177_15
; %bb.14:
	v_add_u32_e32 v17, 8, v0
	v_cmp_eq_u32_e32 vcc, 1, v17
	v_cndmask_b32_e32 v20, v6, v7, vcc
	v_cmp_eq_u32_e32 vcc, 2, v17
	v_cndmask_b32_e32 v20, v20, v10, vcc
	;; [unrolled: 2-line block ×11, first 2 shown]
	v_lshl_or_b32 v20, s2, 2, v0
	v_mov_b32_e32 v21, 0
	v_lshlrev_b64 v[20:21], 2, v[20:21]
	v_mov_b32_e32 v22, s5
	v_add_co_u32_e32 v20, vcc, s4, v20
	v_addc_co_u32_e32 v21, vcc, v22, v21, vcc
	global_store_dword v[20:21], v17, off
.LBB177_15:
	s_or_b64 exec, exec, s[6:7]
	ds_bpermute_b32 v17, v1, v19
	ds_bpermute_b32 v1, v1, v18
	s_waitcnt lgkmcnt(1)
	v_add_f32_e32 v17, v19, v17
	s_waitcnt lgkmcnt(0)
	v_add_f32_e32 v1, v18, v1
	ds_bpermute_b32 v18, v2, v17
	ds_bpermute_b32 v2, v2, v1
	s_waitcnt lgkmcnt(1)
	v_add_f32_e32 v17, v17, v18
	s_waitcnt lgkmcnt(0)
	v_add_f32_e32 v1, v1, v2
	;; [unrolled: 6-line block ×5, first 2 shown]
	ds_bpermute_b32 v3, v8, v1
	ds_bpermute_b32 v4, v8, v2
	s_and_b64 exec, exec, s[0:1]
	s_cbranch_execz .LBB177_17
; %bb.16:
	s_waitcnt lgkmcnt(1)
	v_add_f32_e32 v1, v1, v3
	v_add_u32_e32 v3, 10, v0
	v_cmp_eq_u32_e32 vcc, 1, v3
	s_waitcnt lgkmcnt(0)
	v_add_f32_e32 v2, v2, v4
	v_cndmask_b32_e32 v4, v6, v7, vcc
	v_cmp_eq_u32_e32 vcc, 2, v3
	v_cndmask_b32_e32 v4, v4, v10, vcc
	v_cmp_eq_u32_e32 vcc, 3, v3
	;; [unrolled: 2-line block ×9, first 2 shown]
	v_cndmask_b32_e32 v4, v4, v1, vcc
	v_mad_u64_u32 v[0:1], s[0:1], s2, 5, v[0:1]
	v_mov_b32_e32 v1, 0
	v_cmp_eq_u32_e32 vcc, 11, v3
	v_lshlrev_b64 v[0:1], 2, v[0:1]
	v_cndmask_b32_e32 v2, v4, v2, vcc
	v_mov_b32_e32 v3, s5
	v_add_co_u32_e32 v0, vcc, s4, v0
	v_addc_co_u32_e32 v1, vcc, v3, v1, vcc
	global_store_dword v[0:1], v2, off
.LBB177_17:
	s_endpgm
	.section	.rodata,"a",@progbits
	.p2align	6, 0x0
	.amdhsa_kernel _ZL13mul_mat_vec_qIL9ggml_type17ELi6ELb0ELb0EEvPKvS2_PKi31ggml_cuda_mm_fusion_args_devicePfj15HIP_vector_typeIjLj3EEjjjS8_jjjS8_jjjj
		.amdhsa_group_segment_fixed_size 0
		.amdhsa_private_segment_fixed_size 0
		.amdhsa_kernarg_size 144
		.amdhsa_user_sgpr_count 6
		.amdhsa_user_sgpr_private_segment_buffer 1
		.amdhsa_user_sgpr_dispatch_ptr 0
		.amdhsa_user_sgpr_queue_ptr 0
		.amdhsa_user_sgpr_kernarg_segment_ptr 1
		.amdhsa_user_sgpr_dispatch_id 0
		.amdhsa_user_sgpr_flat_scratch_init 0
		.amdhsa_user_sgpr_private_segment_size 0
		.amdhsa_uses_dynamic_stack 0
		.amdhsa_system_sgpr_private_segment_wavefront_offset 0
		.amdhsa_system_sgpr_workgroup_id_x 1
		.amdhsa_system_sgpr_workgroup_id_y 1
		.amdhsa_system_sgpr_workgroup_id_z 1
		.amdhsa_system_sgpr_workgroup_info 0
		.amdhsa_system_vgpr_workitem_id 1
		.amdhsa_next_free_vgpr 61
		.amdhsa_next_free_sgpr 30
		.amdhsa_reserve_vcc 1
		.amdhsa_reserve_flat_scratch 0
		.amdhsa_float_round_mode_32 0
		.amdhsa_float_round_mode_16_64 0
		.amdhsa_float_denorm_mode_32 3
		.amdhsa_float_denorm_mode_16_64 3
		.amdhsa_dx10_clamp 1
		.amdhsa_ieee_mode 1
		.amdhsa_fp16_overflow 0
		.amdhsa_exception_fp_ieee_invalid_op 0
		.amdhsa_exception_fp_denorm_src 0
		.amdhsa_exception_fp_ieee_div_zero 0
		.amdhsa_exception_fp_ieee_overflow 0
		.amdhsa_exception_fp_ieee_underflow 0
		.amdhsa_exception_fp_ieee_inexact 0
		.amdhsa_exception_int_div_zero 0
	.end_amdhsa_kernel
	.section	.text._ZL13mul_mat_vec_qIL9ggml_type17ELi6ELb0ELb0EEvPKvS2_PKi31ggml_cuda_mm_fusion_args_devicePfj15HIP_vector_typeIjLj3EEjjjS8_jjjS8_jjjj,"axG",@progbits,_ZL13mul_mat_vec_qIL9ggml_type17ELi6ELb0ELb0EEvPKvS2_PKi31ggml_cuda_mm_fusion_args_devicePfj15HIP_vector_typeIjLj3EEjjjS8_jjjS8_jjjj,comdat
.Lfunc_end177:
	.size	_ZL13mul_mat_vec_qIL9ggml_type17ELi6ELb0ELb0EEvPKvS2_PKi31ggml_cuda_mm_fusion_args_devicePfj15HIP_vector_typeIjLj3EEjjjS8_jjjS8_jjjj, .Lfunc_end177-_ZL13mul_mat_vec_qIL9ggml_type17ELi6ELb0ELb0EEvPKvS2_PKi31ggml_cuda_mm_fusion_args_devicePfj15HIP_vector_typeIjLj3EEjjjS8_jjjS8_jjjj
                                        ; -- End function
	.set _ZL13mul_mat_vec_qIL9ggml_type17ELi6ELb0ELb0EEvPKvS2_PKi31ggml_cuda_mm_fusion_args_devicePfj15HIP_vector_typeIjLj3EEjjjS8_jjjS8_jjjj.num_vgpr, 61
	.set _ZL13mul_mat_vec_qIL9ggml_type17ELi6ELb0ELb0EEvPKvS2_PKi31ggml_cuda_mm_fusion_args_devicePfj15HIP_vector_typeIjLj3EEjjjS8_jjjS8_jjjj.num_agpr, 0
	.set _ZL13mul_mat_vec_qIL9ggml_type17ELi6ELb0ELb0EEvPKvS2_PKi31ggml_cuda_mm_fusion_args_devicePfj15HIP_vector_typeIjLj3EEjjjS8_jjjS8_jjjj.numbered_sgpr, 30
	.set _ZL13mul_mat_vec_qIL9ggml_type17ELi6ELb0ELb0EEvPKvS2_PKi31ggml_cuda_mm_fusion_args_devicePfj15HIP_vector_typeIjLj3EEjjjS8_jjjS8_jjjj.num_named_barrier, 0
	.set _ZL13mul_mat_vec_qIL9ggml_type17ELi6ELb0ELb0EEvPKvS2_PKi31ggml_cuda_mm_fusion_args_devicePfj15HIP_vector_typeIjLj3EEjjjS8_jjjS8_jjjj.private_seg_size, 0
	.set _ZL13mul_mat_vec_qIL9ggml_type17ELi6ELb0ELb0EEvPKvS2_PKi31ggml_cuda_mm_fusion_args_devicePfj15HIP_vector_typeIjLj3EEjjjS8_jjjS8_jjjj.uses_vcc, 1
	.set _ZL13mul_mat_vec_qIL9ggml_type17ELi6ELb0ELb0EEvPKvS2_PKi31ggml_cuda_mm_fusion_args_devicePfj15HIP_vector_typeIjLj3EEjjjS8_jjjS8_jjjj.uses_flat_scratch, 0
	.set _ZL13mul_mat_vec_qIL9ggml_type17ELi6ELb0ELb0EEvPKvS2_PKi31ggml_cuda_mm_fusion_args_devicePfj15HIP_vector_typeIjLj3EEjjjS8_jjjS8_jjjj.has_dyn_sized_stack, 0
	.set _ZL13mul_mat_vec_qIL9ggml_type17ELi6ELb0ELb0EEvPKvS2_PKi31ggml_cuda_mm_fusion_args_devicePfj15HIP_vector_typeIjLj3EEjjjS8_jjjS8_jjjj.has_recursion, 0
	.set _ZL13mul_mat_vec_qIL9ggml_type17ELi6ELb0ELb0EEvPKvS2_PKi31ggml_cuda_mm_fusion_args_devicePfj15HIP_vector_typeIjLj3EEjjjS8_jjjS8_jjjj.has_indirect_call, 0
	.section	.AMDGPU.csdata,"",@progbits
; Kernel info:
; codeLenInByte = 8152
; TotalNumSgprs: 34
; NumVgprs: 61
; ScratchSize: 0
; MemoryBound: 0
; FloatMode: 240
; IeeeMode: 1
; LDSByteSize: 0 bytes/workgroup (compile time only)
; SGPRBlocks: 4
; VGPRBlocks: 15
; NumSGPRsForWavesPerEU: 34
; NumVGPRsForWavesPerEU: 61
; Occupancy: 4
; WaveLimiterHint : 0
; COMPUTE_PGM_RSRC2:SCRATCH_EN: 0
; COMPUTE_PGM_RSRC2:USER_SGPR: 6
; COMPUTE_PGM_RSRC2:TRAP_HANDLER: 0
; COMPUTE_PGM_RSRC2:TGID_X_EN: 1
; COMPUTE_PGM_RSRC2:TGID_Y_EN: 1
; COMPUTE_PGM_RSRC2:TGID_Z_EN: 1
; COMPUTE_PGM_RSRC2:TIDIG_COMP_CNT: 1
	.section	.text._ZL13mul_mat_vec_qIL9ggml_type17ELi7ELb0ELb0EEvPKvS2_PKi31ggml_cuda_mm_fusion_args_devicePfj15HIP_vector_typeIjLj3EEjjjS8_jjjS8_jjjj,"axG",@progbits,_ZL13mul_mat_vec_qIL9ggml_type17ELi7ELb0ELb0EEvPKvS2_PKi31ggml_cuda_mm_fusion_args_devicePfj15HIP_vector_typeIjLj3EEjjjS8_jjjS8_jjjj,comdat
	.globl	_ZL13mul_mat_vec_qIL9ggml_type17ELi7ELb0ELb0EEvPKvS2_PKi31ggml_cuda_mm_fusion_args_devicePfj15HIP_vector_typeIjLj3EEjjjS8_jjjS8_jjjj ; -- Begin function _ZL13mul_mat_vec_qIL9ggml_type17ELi7ELb0ELb0EEvPKvS2_PKi31ggml_cuda_mm_fusion_args_devicePfj15HIP_vector_typeIjLj3EEjjjS8_jjjS8_jjjj
	.p2align	8
	.type	_ZL13mul_mat_vec_qIL9ggml_type17ELi7ELb0ELb0EEvPKvS2_PKi31ggml_cuda_mm_fusion_args_devicePfj15HIP_vector_typeIjLj3EEjjjS8_jjjS8_jjjj,@function
_ZL13mul_mat_vec_qIL9ggml_type17ELi7ELb0ELb0EEvPKvS2_PKi31ggml_cuda_mm_fusion_args_devicePfj15HIP_vector_typeIjLj3EEjjjS8_jjjS8_jjjj: ; @_ZL13mul_mat_vec_qIL9ggml_type17ELi7ELb0ELb0EEvPKvS2_PKi31ggml_cuda_mm_fusion_args_devicePfj15HIP_vector_typeIjLj3EEjjjS8_jjjS8_jjjj
; %bb.0:
	s_load_dword s9, s[4:5], 0x40
	s_load_dwordx4 s[0:3], s[4:5], 0x50
	s_load_dword s25, s[4:5], 0x60
	s_load_dwordx4 s[12:15], s[4:5], 0x68
	;; [unrolled: 2-line block ×3, first 2 shown]
	v_lshl_or_b32 v2, v1, 6, v0
	s_waitcnt lgkmcnt(0)
	s_lshr_b32 s9, s9, 8
	v_lshrrev_b32_e32 v32, 3, v2
	s_lshl_b32 s6, s6, 1
	v_cmp_gt_u32_e32 vcc, s9, v32
	v_mov_b32_e32 v18, 0
	v_mov_b32_e32 v19, 0
	;; [unrolled: 1-line block ×14, first 2 shown]
	s_and_saveexec_b64 s[10:11], vcc
	s_cbranch_execz .LBB178_4
; %bb.1:
	s_mul_hi_u32 s3, s3, s7
	s_add_i32 s3, s7, s3
	s_load_dwordx4 s[20:23], s[4:5], 0x0
	s_lshr_b32 s3, s3, s25
	s_mul_i32 s3, s3, s12
	s_mul_hi_u32 s12, s15, s8
	s_add_i32 s12, s8, s12
	s_lshr_b32 s12, s12, s24
	s_mul_i32 s27, s17, s8
	s_mul_i32 s15, s12, s16
	;; [unrolled: 1-line block ×3, first 2 shown]
	s_mul_hi_u32 s12, s27, 36
	s_waitcnt lgkmcnt(0)
	s_add_u32 s16, s22, s16
	s_addc_u32 s17, s23, s12
	s_mul_i32 s12, s13, s7
	v_lshlrev_b32_e32 v2, 1, v0
	s_mul_hi_u32 s13, s12, 36
	s_mul_i32 s12, s12, 36
	v_and_b32_e32 v2, 14, v2
	v_lshlrev_b32_e32 v4, 1, v2
	v_mov_b32_e32 v2, s12
	s_add_u32 s16, s16, s12
	s_movk_i32 s29, 0x120
	v_mov_b32_e32 v3, s13
	s_addc_u32 s17, s17, s13
	v_mad_u64_u32 v[2:3], s[12:13], v32, s29, v[2:3]
	v_and_b32_e32 v34, 7, v0
	v_mov_b32_e32 v5, s23
	v_mad_u64_u32 v[2:3], s[12:13], s27, 36, v[2:3]
	v_mad_u64_u32 v[12:13], s[16:17], v34, 36, s[16:17]
	;; [unrolled: 1-line block ×3, first 2 shown]
	s_add_i32 s29, s6, 1
	s_add_i32 s28, s15, s3
	v_add_co_u32_e32 v2, vcc, s22, v2
	v_addc_co_u32_e32 v3, vcc, v5, v3, vcc
	s_mul_i32 s26, s6, s0
	s_mul_i32 s0, s0, s29
	v_add_co_u32_e32 v10, vcc, 16, v2
	v_mov_b32_e32 v14, s20
	v_mov_b32_e32 v33, 0
	s_lshl_b32 s3, s1, 1
	s_mul_i32 s15, s1, 3
	s_lshl_b32 s19, s1, 2
	s_mul_i32 s24, s1, 5
	s_mul_i32 s25, s1, 6
	s_add_i32 s26, s28, s26
	s_add_i32 s0, s28, s0
	v_lshlrev_b32_e32 v35, 3, v32
	v_addc_co_u32_e32 v11, vcc, 0, v3, vcc
	s_mov_b64 s[12:13], 0
	s_movk_i32 s22, 0x4a
	v_lshlrev_b32_e32 v36, 1, v4
	s_mov_b32 s23, 0x1010101
	s_movk_i32 s27, 0xff00
	s_mov_b32 s28, 0xc0c0105
	v_mov_b32_e32 v37, 8
	v_mov_b32_e32 v31, 0
	;; [unrolled: 1-line block ×16, first 2 shown]
.LBB178_2:                              ; =>This Inner Loop Header: Depth=1
	v_add_u32_e32 v16, s26, v32
	v_mad_i64_i32 v[16:17], s[16:17], v16, s22, v[14:15]
	global_load_dword v53, v[10:11], off offset:16
	global_load_dwordx4 v[2:5], v[10:11], off
	global_load_dwordx4 v[6:9], v[10:11], off offset:-16
	s_getpc_b64 s[16:17]
	s_add_u32 s16, s16, _ZL10iq2xs_grid@rel32@lo+4
	s_addc_u32 s17, s17, _ZL10iq2xs_grid@rel32@hi+12
	v_add_co_u32_e32 v38, vcc, v16, v36
	v_addc_co_u32_e32 v39, vcc, 0, v17, vcc
	global_load_dwordx2 v[42:43], v[38:39], off offset:2
	v_add_co_u32_e32 v38, vcc, v16, v34
	v_addc_co_u32_e32 v39, vcc, 0, v17, vcc
	global_load_ubyte v46, v[38:39], off offset:66
	s_waitcnt vmcnt(2)
	v_cvt_f32_f16_e32 v52, v6
	global_load_ushort v16, v[16:17], off
	s_waitcnt vmcnt(2)
	v_and_b32_e32 v6, 0x1ff, v42
	v_lshlrev_b32_e32 v6, 3, v6
	global_load_dwordx2 v[38:39], v6, s[16:17]
	v_bfe_u32 v6, v42, 9, 7
	v_bcnt_u32_b32 v40, v6, 0
	v_and_b32_e32 v40, 1, v40
	v_lshl_or_b32 v6, v40, 7, v6
	v_mul_lo_u32 v40, v6, s23
	v_and_b32_e32 v6, 0x8040201, v40
	v_cmp_ne_u16_sdwa s[20:21], v6, v33 src0_sel:BYTE_3 src1_sel:DWORD
	v_cmp_ne_u16_sdwa s[30:31], v6, v33 src0_sel:BYTE_1 src1_sel:DWORD
	v_lshrrev_b32_e32 v41, 18, v40
	v_cndmask_b32_e64 v44, 0, -1, s[30:31]
	v_cndmask_b32_e64 v47, 0, -1, s[20:21]
	v_bfe_i32 v6, v40, 0, 1
	v_lshlrev_b16_e32 v44, 8, v44
	v_bfe_i32 v41, v41, 0, 1
	v_lshlrev_b16_e32 v47, 8, v47
	v_or_b32_sdwa v45, v6, v44 dst_sel:DWORD dst_unused:UNUSED_PAD src0_sel:BYTE_0 src1_sel:DWORD
	v_or_b32_sdwa v48, v41, v47 dst_sel:WORD_1 dst_unused:UNUSED_PAD src0_sel:BYTE_0 src1_sel:DWORD
	v_or_b32_sdwa v45, v45, v48 dst_sel:DWORD dst_unused:UNUSED_PAD src0_sel:WORD_0 src1_sel:DWORD
	v_lshlrev_b16_e32 v6, 8, v6
	v_lshlrev_b16_e32 v41, 8, v41
	s_waitcnt vmcnt(0)
	v_xor_b32_e32 v38, v38, v45
	v_and_b32_e32 v45, 0xffffff00, v38
	v_sub_i16 v44, v45, v44 clamp
	v_lshlrev_b16_e32 v45, 8, v38
	v_sub_i16 v6, v45, v6 clamp
	v_perm_b32 v6, v6, v44, s28
	v_and_b32_sdwa v44, v38, s27 dst_sel:DWORD dst_unused:UNUSED_PAD src0_sel:WORD_1 src1_sel:DWORD
	v_lshlrev_b16_sdwa v38, v37, v38 dst_sel:DWORD dst_unused:UNUSED_PAD src0_sel:DWORD src1_sel:WORD_1
	v_sub_i16 v44, v44, v47 clamp
	v_sub_i16 v38, v38, v41 clamp
	v_perm_b32 v38, v38, v44, s28
	v_lshl_or_b32 v6, v38, 16, v6
	v_and_b32_e32 v38, 0x80402010, v40
	v_cmp_ne_u16_sdwa s[20:21], v38, v33 src0_sel:BYTE_3 src1_sel:DWORD
	v_cmp_ne_u16_sdwa s[30:31], v38, v33 src0_sel:BYTE_1 src1_sel:DWORD
	v_lshrrev_b32_e32 v40, 22, v40
	v_lshrrev_b16_e32 v38, 4, v38
	v_cndmask_b32_e64 v41, 0, -1, s[30:31]
	v_cndmask_b32_e64 v45, 0, -1, s[20:21]
	v_bfe_i32 v38, v38, 0, 1
	v_lshlrev_b16_e32 v41, 8, v41
	v_bfe_i32 v40, v40, 0, 1
	v_lshlrev_b16_e32 v45, 8, v45
	v_or_b32_sdwa v44, v38, v41 dst_sel:DWORD dst_unused:UNUSED_PAD src0_sel:BYTE_0 src1_sel:DWORD
	v_or_b32_sdwa v47, v40, v45 dst_sel:WORD_1 dst_unused:UNUSED_PAD src0_sel:BYTE_0 src1_sel:DWORD
	v_or_b32_sdwa v44, v44, v47 dst_sel:DWORD dst_unused:UNUSED_PAD src0_sel:WORD_0 src1_sel:DWORD
	v_xor_b32_e32 v39, v39, v44
	v_and_b32_e32 v44, 0xffffff00, v39
	v_sub_i16 v41, v44, v41 clamp
	v_lshlrev_b16_e32 v44, 8, v39
	v_lshlrev_b16_e32 v38, 8, v38
	v_sub_i16 v38, v44, v38 clamp
	v_perm_b32 v38, v38, v41, s28
	v_and_b32_sdwa v41, v39, s27 dst_sel:DWORD dst_unused:UNUSED_PAD src0_sel:WORD_1 src1_sel:DWORD
	v_lshlrev_b16_sdwa v39, v37, v39 dst_sel:DWORD dst_unused:UNUSED_PAD src0_sel:DWORD src1_sel:WORD_1
	v_lshlrev_b16_e32 v40, 8, v40
	v_sub_i16 v41, v41, v45 clamp
	v_sub_i16 v39, v39, v40 clamp
	v_perm_b32 v39, v39, v41, s28
	v_lshl_or_b32 v38, v39, 16, v38
	v_dot4_i32_i8 v39, v6, v7, 0
	v_dot4_i32_i8 v41, v38, v8, v39
	v_lshrrev_b32_e32 v39, 13, v42
	v_and_b32_e32 v39, 0xff8, v39
	global_load_dwordx2 v[39:40], v39, s[16:17]
	v_lshrrev_b32_e32 v44, 25, v42
	v_bcnt_u32_b32 v44, v44, 0
	v_and_b32_e32 v44, 1, v44
	v_alignbit_b32 v42, v44, v42, 25
	v_mul_lo_u32 v42, v42, s23
	v_and_b32_e32 v44, 0x8040201, v42
	v_cmp_ne_u16_sdwa s[20:21], v44, v33 src0_sel:BYTE_3 src1_sel:DWORD
	v_cmp_ne_u16_sdwa s[30:31], v44, v33 src0_sel:BYTE_1 src1_sel:DWORD
	v_lshrrev_b32_e32 v45, 18, v42
	v_cndmask_b32_e64 v47, 0, -1, s[30:31]
	v_cndmask_b32_e64 v49, 0, -1, s[20:21]
	v_bfe_i32 v44, v42, 0, 1
	v_lshlrev_b16_e32 v47, 8, v47
	v_bfe_i32 v45, v45, 0, 1
	v_lshlrev_b16_e32 v49, 8, v49
	v_or_b32_sdwa v48, v44, v47 dst_sel:DWORD dst_unused:UNUSED_PAD src0_sel:BYTE_0 src1_sel:DWORD
	v_or_b32_sdwa v50, v45, v49 dst_sel:WORD_1 dst_unused:UNUSED_PAD src0_sel:BYTE_0 src1_sel:DWORD
	v_or_b32_sdwa v48, v48, v50 dst_sel:DWORD dst_unused:UNUSED_PAD src0_sel:WORD_0 src1_sel:DWORD
	v_lshlrev_b16_e32 v44, 8, v44
	v_lshlrev_b16_e32 v45, 8, v45
	s_waitcnt vmcnt(0)
	v_xor_b32_e32 v39, v39, v48
	v_and_b32_e32 v48, 0xffffff00, v39
	v_sub_i16 v47, v48, v47 clamp
	v_lshlrev_b16_e32 v48, 8, v39
	v_sub_i16 v44, v48, v44 clamp
	v_perm_b32 v44, v44, v47, s28
	v_and_b32_sdwa v47, v39, s27 dst_sel:DWORD dst_unused:UNUSED_PAD src0_sel:WORD_1 src1_sel:DWORD
	v_lshlrev_b16_sdwa v39, v37, v39 dst_sel:DWORD dst_unused:UNUSED_PAD src0_sel:DWORD src1_sel:WORD_1
	v_sub_i16 v47, v47, v49 clamp
	v_sub_i16 v39, v39, v45 clamp
	v_perm_b32 v39, v39, v47, s28
	v_lshl_or_b32 v39, v39, 16, v44
	v_and_b32_e32 v44, 0x80402010, v42
	v_cmp_ne_u16_sdwa s[20:21], v44, v33 src0_sel:BYTE_3 src1_sel:DWORD
	v_cmp_ne_u16_sdwa s[30:31], v44, v33 src0_sel:BYTE_1 src1_sel:DWORD
	v_lshrrev_b32_e32 v42, 22, v42
	v_lshrrev_b16_e32 v44, 4, v44
	v_cndmask_b32_e64 v45, 0, -1, s[30:31]
	v_cndmask_b32_e64 v48, 0, -1, s[20:21]
	v_bfe_i32 v44, v44, 0, 1
	v_lshlrev_b16_e32 v45, 8, v45
	v_bfe_i32 v42, v42, 0, 1
	v_lshlrev_b16_e32 v48, 8, v48
	v_or_b32_sdwa v47, v44, v45 dst_sel:DWORD dst_unused:UNUSED_PAD src0_sel:BYTE_0 src1_sel:DWORD
	v_or_b32_sdwa v49, v42, v48 dst_sel:WORD_1 dst_unused:UNUSED_PAD src0_sel:BYTE_0 src1_sel:DWORD
	v_or_b32_sdwa v47, v47, v49 dst_sel:DWORD dst_unused:UNUSED_PAD src0_sel:WORD_0 src1_sel:DWORD
	v_xor_b32_e32 v40, v40, v47
	v_and_b32_e32 v47, 0xffffff00, v40
	v_sub_i16 v45, v47, v45 clamp
	v_lshlrev_b16_e32 v47, 8, v40
	v_lshlrev_b16_e32 v44, 8, v44
	v_sub_i16 v44, v47, v44 clamp
	v_perm_b32 v44, v44, v45, s28
	v_and_b32_sdwa v45, v40, s27 dst_sel:DWORD dst_unused:UNUSED_PAD src0_sel:WORD_1 src1_sel:DWORD
	v_lshlrev_b16_sdwa v40, v37, v40 dst_sel:DWORD dst_unused:UNUSED_PAD src0_sel:DWORD src1_sel:WORD_1
	v_lshlrev_b16_e32 v42, 8, v42
	v_sub_i16 v45, v45, v48 clamp
	v_sub_i16 v40, v40, v42 clamp
	v_perm_b32 v40, v40, v45, s28
	v_lshl_or_b32 v40, v40, 16, v44
	v_dot4_i32_i8 v41, v39, v9, v41
	v_dot4_i32_i8 v47, v40, v2, v41
	v_and_b32_e32 v41, 0x1ff, v43
	v_lshlrev_b32_e32 v41, 3, v41
	global_load_dwordx2 v[41:42], v41, s[16:17]
	v_bfe_u32 v44, v43, 9, 7
	v_bcnt_u32_b32 v45, v44, 0
	v_and_b32_e32 v45, 1, v45
	v_lshl_or_b32 v44, v45, 7, v44
	v_mul_lo_u32 v44, v44, s23
	v_and_b32_e32 v45, 0x8040201, v44
	v_cmp_ne_u16_sdwa s[20:21], v45, v33 src0_sel:BYTE_3 src1_sel:DWORD
	v_cmp_ne_u16_sdwa s[30:31], v45, v33 src0_sel:BYTE_1 src1_sel:DWORD
	v_lshrrev_b32_e32 v48, 18, v44
	v_cndmask_b32_e64 v49, 0, -1, s[30:31]
	v_cndmask_b32_e64 v51, 0, -1, s[20:21]
	v_bfe_i32 v45, v44, 0, 1
	v_lshlrev_b16_e32 v49, 8, v49
	v_bfe_i32 v48, v48, 0, 1
	v_lshlrev_b16_e32 v51, 8, v51
	v_or_b32_sdwa v50, v45, v49 dst_sel:DWORD dst_unused:UNUSED_PAD src0_sel:BYTE_0 src1_sel:DWORD
	v_or_b32_sdwa v54, v48, v51 dst_sel:WORD_1 dst_unused:UNUSED_PAD src0_sel:BYTE_0 src1_sel:DWORD
	v_or_b32_sdwa v50, v50, v54 dst_sel:DWORD dst_unused:UNUSED_PAD src0_sel:WORD_0 src1_sel:DWORD
	v_lshlrev_b16_e32 v45, 8, v45
	v_lshlrev_b16_e32 v48, 8, v48
	s_waitcnt vmcnt(0)
	v_xor_b32_e32 v41, v41, v50
	v_and_b32_e32 v50, 0xffffff00, v41
	v_sub_i16 v49, v50, v49 clamp
	v_lshlrev_b16_e32 v50, 8, v41
	v_sub_i16 v45, v50, v45 clamp
	v_perm_b32 v45, v45, v49, s28
	v_and_b32_sdwa v49, v41, s27 dst_sel:DWORD dst_unused:UNUSED_PAD src0_sel:WORD_1 src1_sel:DWORD
	v_lshlrev_b16_sdwa v41, v37, v41 dst_sel:DWORD dst_unused:UNUSED_PAD src0_sel:DWORD src1_sel:WORD_1
	v_sub_i16 v49, v49, v51 clamp
	v_sub_i16 v41, v41, v48 clamp
	v_perm_b32 v41, v41, v49, s28
	v_lshl_or_b32 v41, v41, 16, v45
	v_and_b32_e32 v45, 0x80402010, v44
	v_cmp_ne_u16_sdwa s[20:21], v45, v33 src0_sel:BYTE_3 src1_sel:DWORD
	v_cmp_ne_u16_sdwa s[30:31], v45, v33 src0_sel:BYTE_1 src1_sel:DWORD
	v_lshrrev_b32_e32 v44, 22, v44
	v_lshrrev_b16_e32 v45, 4, v45
	v_cndmask_b32_e64 v48, 0, -1, s[30:31]
	v_cndmask_b32_e64 v50, 0, -1, s[20:21]
	v_bfe_i32 v45, v45, 0, 1
	v_lshlrev_b16_e32 v48, 8, v48
	v_bfe_i32 v44, v44, 0, 1
	v_lshlrev_b16_e32 v50, 8, v50
	v_or_b32_sdwa v49, v45, v48 dst_sel:DWORD dst_unused:UNUSED_PAD src0_sel:BYTE_0 src1_sel:DWORD
	v_or_b32_sdwa v51, v44, v50 dst_sel:WORD_1 dst_unused:UNUSED_PAD src0_sel:BYTE_0 src1_sel:DWORD
	v_or_b32_sdwa v49, v49, v51 dst_sel:DWORD dst_unused:UNUSED_PAD src0_sel:WORD_0 src1_sel:DWORD
	v_xor_b32_e32 v42, v42, v49
	v_and_b32_e32 v49, 0xffffff00, v42
	v_sub_i16 v48, v49, v48 clamp
	v_lshlrev_b16_e32 v49, 8, v42
	v_lshlrev_b16_e32 v45, 8, v45
	v_sub_i16 v45, v49, v45 clamp
	v_perm_b32 v45, v45, v48, s28
	v_and_b32_sdwa v48, v42, s27 dst_sel:DWORD dst_unused:UNUSED_PAD src0_sel:WORD_1 src1_sel:DWORD
	v_lshlrev_b16_sdwa v42, v37, v42 dst_sel:DWORD dst_unused:UNUSED_PAD src0_sel:DWORD src1_sel:WORD_1
	v_lshlrev_b16_e32 v44, 8, v44
	v_sub_i16 v48, v48, v50 clamp
	v_sub_i16 v42, v42, v44 clamp
	v_perm_b32 v42, v42, v48, s28
	v_lshl_or_b32 v42, v42, 16, v45
	v_dot4_i32_i8 v44, v41, v3, 0
	v_dot4_i32_i8 v48, v42, v4, v44
	v_lshrrev_b32_e32 v44, 13, v43
	v_and_b32_e32 v44, 0xff8, v44
	global_load_dwordx2 v[44:45], v44, s[16:17]
	v_lshrrev_b32_e32 v49, 25, v43
	v_bcnt_u32_b32 v49, v49, 0
	v_and_b32_e32 v49, 1, v49
	v_alignbit_b32 v43, v49, v43, 25
	v_mul_lo_u32 v49, v43, s23
	v_and_b32_e32 v43, 0x8040201, v49
	v_cmp_ne_u16_sdwa s[20:21], v43, v33 src0_sel:BYTE_3 src1_sel:DWORD
	v_cmp_ne_u16_sdwa s[30:31], v43, v33 src0_sel:BYTE_1 src1_sel:DWORD
	v_lshrrev_b32_e32 v50, 18, v49
	v_cndmask_b32_e64 v51, 0, -1, s[30:31]
	v_cndmask_b32_e64 v55, 0, -1, s[20:21]
	v_bfe_i32 v43, v49, 0, 1
	v_lshlrev_b16_e32 v51, 8, v51
	v_bfe_i32 v50, v50, 0, 1
	v_lshlrev_b16_e32 v55, 8, v55
	v_or_b32_sdwa v54, v43, v51 dst_sel:DWORD dst_unused:UNUSED_PAD src0_sel:BYTE_0 src1_sel:DWORD
	v_or_b32_sdwa v56, v50, v55 dst_sel:WORD_1 dst_unused:UNUSED_PAD src0_sel:BYTE_0 src1_sel:DWORD
	v_or_b32_sdwa v54, v54, v56 dst_sel:DWORD dst_unused:UNUSED_PAD src0_sel:WORD_0 src1_sel:DWORD
	v_lshlrev_b16_e32 v43, 8, v43
	v_lshlrev_b16_e32 v50, 8, v50
	s_waitcnt vmcnt(0)
	v_xor_b32_e32 v44, v44, v54
	v_and_b32_e32 v54, 0xffffff00, v44
	v_sub_i16 v51, v54, v51 clamp
	v_lshlrev_b16_e32 v54, 8, v44
	v_sub_i16 v43, v54, v43 clamp
	v_perm_b32 v43, v43, v51, s28
	v_and_b32_sdwa v51, v44, s27 dst_sel:DWORD dst_unused:UNUSED_PAD src0_sel:WORD_1 src1_sel:DWORD
	v_lshlrev_b16_sdwa v44, v37, v44 dst_sel:DWORD dst_unused:UNUSED_PAD src0_sel:DWORD src1_sel:WORD_1
	v_sub_i16 v51, v51, v55 clamp
	v_sub_i16 v44, v44, v50 clamp
	v_perm_b32 v44, v44, v51, s28
	v_lshl_or_b32 v43, v44, 16, v43
	v_and_b32_e32 v44, 0x80402010, v49
	v_cmp_ne_u16_sdwa s[20:21], v44, v33 src0_sel:BYTE_3 src1_sel:DWORD
	v_cmp_ne_u16_sdwa s[30:31], v44, v33 src0_sel:BYTE_1 src1_sel:DWORD
	v_lshrrev_b32_e32 v49, 22, v49
	v_lshrrev_b16_e32 v44, 4, v44
	v_cndmask_b32_e64 v50, 0, -1, s[30:31]
	v_cndmask_b32_e64 v54, 0, -1, s[20:21]
	v_bfe_i32 v44, v44, 0, 1
	v_lshlrev_b16_e32 v50, 8, v50
	v_bfe_i32 v49, v49, 0, 1
	v_lshlrev_b16_e32 v54, 8, v54
	v_or_b32_sdwa v51, v44, v50 dst_sel:DWORD dst_unused:UNUSED_PAD src0_sel:BYTE_0 src1_sel:DWORD
	v_or_b32_sdwa v55, v49, v54 dst_sel:WORD_1 dst_unused:UNUSED_PAD src0_sel:BYTE_0 src1_sel:DWORD
	v_or_b32_sdwa v51, v51, v55 dst_sel:DWORD dst_unused:UNUSED_PAD src0_sel:WORD_0 src1_sel:DWORD
	v_xor_b32_e32 v45, v45, v51
	v_and_b32_e32 v51, 0xffffff00, v45
	v_sub_i16 v50, v51, v50 clamp
	v_lshlrev_b16_e32 v51, 8, v45
	v_lshlrev_b16_e32 v44, 8, v44
	v_sub_i16 v44, v51, v44 clamp
	v_perm_b32 v44, v44, v50, s28
	v_and_b32_sdwa v50, v45, s27 dst_sel:DWORD dst_unused:UNUSED_PAD src0_sel:WORD_1 src1_sel:DWORD
	v_lshlrev_b16_sdwa v45, v37, v45 dst_sel:DWORD dst_unused:UNUSED_PAD src0_sel:DWORD src1_sel:WORD_1
	v_lshlrev_b16_e32 v49, 8, v49
	v_sub_i16 v50, v50, v54 clamp
	v_sub_i16 v45, v45, v49 clamp
	v_perm_b32 v45, v45, v50, s28
	v_lshl_or_b32 v44, v45, 16, v44
	v_dot4_i32_i8 v45, v43, v5, v48
	v_dot4_i32_i8 v48, v44, v53, v45
	v_lshrrev_b32_e32 v45, 4, v46
	v_and_b32_e32 v46, 15, v46
	v_mul_lo_u32 v49, v47, v46
	v_mul_lo_u32 v50, v48, v45
	v_add_u32_e32 v47, v48, v47
	v_lshrrev_b32_e32 v48, 31, v47
	v_add_u32_e32 v47, v47, v48
	v_ashrrev_i32_e32 v47, 1, v47
	v_add3_u32 v47, v50, v49, v47
	v_ashrrev_i32_e32 v48, 31, v47
	v_lshrrev_b32_e32 v48, 30, v48
	v_add_u32_e32 v47, v47, v48
	v_ashrrev_i32_e32 v48, 2, v47
	v_cvt_f32_f16_e32 v47, v16
	v_cvt_f32_i32_e32 v17, v48
	v_mul_f32_e32 v16, v47, v52
	v_fmac_f32_e32 v31, v16, v17
	v_add_u32_e32 v16, s0, v32
	v_mad_i64_i32 v[16:17], s[20:21], v16, s22, v[14:15]
	v_add_u32_e32 v32, 8, v32
	v_add_co_u32_e32 v48, vcc, v16, v36
	v_addc_co_u32_e32 v49, vcc, 0, v17, vcc
	global_load_dwordx2 v[50:51], v[48:49], off offset:2
	v_add_co_u32_e32 v48, vcc, v16, v34
	v_addc_co_u32_e32 v49, vcc, 0, v17, vcc
	global_load_ubyte v56, v[48:49], off offset:66
	v_add_co_u32_e32 v10, vcc, 0x900, v10
	v_addc_co_u32_e32 v11, vcc, 0, v11, vcc
	v_cmp_le_u32_e32 vcc, s9, v32
	s_or_b64 s[12:13], vcc, s[12:13]
	s_waitcnt vmcnt(1)
	v_and_b32_e32 v48, 0x1ff, v50
	v_lshlrev_b32_e32 v48, 3, v48
	global_load_dwordx2 v[48:49], v48, s[16:17]
	v_bfe_u32 v54, v50, 9, 7
	v_bcnt_u32_b32 v55, v54, 0
	v_and_b32_e32 v55, 1, v55
	v_lshl_or_b32 v54, v55, 7, v54
	v_mul_lo_u32 v54, v54, s23
	v_and_b32_e32 v55, 0x8040201, v54
	v_cmp_ne_u16_sdwa s[20:21], v55, v33 src0_sel:BYTE_3 src1_sel:DWORD
	v_cmp_ne_u16_sdwa s[30:31], v55, v33 src0_sel:BYTE_1 src1_sel:DWORD
	v_lshrrev_b32_e32 v57, 18, v54
	v_cndmask_b32_e64 v58, 0, -1, s[30:31]
	v_cndmask_b32_e64 v60, 0, -1, s[20:21]
	v_bfe_i32 v55, v54, 0, 1
	v_lshlrev_b16_e32 v58, 8, v58
	v_bfe_i32 v57, v57, 0, 1
	v_lshlrev_b16_e32 v60, 8, v60
	v_or_b32_sdwa v59, v55, v58 dst_sel:DWORD dst_unused:UNUSED_PAD src0_sel:BYTE_0 src1_sel:DWORD
	v_or_b32_sdwa v61, v57, v60 dst_sel:WORD_1 dst_unused:UNUSED_PAD src0_sel:BYTE_0 src1_sel:DWORD
	v_or_b32_sdwa v59, v59, v61 dst_sel:DWORD dst_unused:UNUSED_PAD src0_sel:WORD_0 src1_sel:DWORD
	v_lshlrev_b16_e32 v55, 8, v55
	v_lshlrev_b16_e32 v57, 8, v57
	s_waitcnt vmcnt(0)
	v_xor_b32_e32 v48, v48, v59
	v_and_b32_e32 v59, 0xffffff00, v48
	v_sub_i16 v58, v59, v58 clamp
	v_lshlrev_b16_e32 v59, 8, v48
	v_sub_i16 v55, v59, v55 clamp
	v_perm_b32 v55, v55, v58, s28
	v_and_b32_sdwa v58, v48, s27 dst_sel:DWORD dst_unused:UNUSED_PAD src0_sel:WORD_1 src1_sel:DWORD
	v_lshlrev_b16_sdwa v48, v37, v48 dst_sel:DWORD dst_unused:UNUSED_PAD src0_sel:DWORD src1_sel:WORD_1
	v_sub_i16 v58, v58, v60 clamp
	v_sub_i16 v48, v48, v57 clamp
	v_perm_b32 v48, v48, v58, s28
	v_lshl_or_b32 v48, v48, 16, v55
	v_and_b32_e32 v55, 0x80402010, v54
	v_cmp_ne_u16_sdwa s[20:21], v55, v33 src0_sel:BYTE_3 src1_sel:DWORD
	v_cmp_ne_u16_sdwa s[30:31], v55, v33 src0_sel:BYTE_1 src1_sel:DWORD
	v_lshrrev_b32_e32 v54, 22, v54
	v_lshrrev_b16_e32 v55, 4, v55
	v_cndmask_b32_e64 v57, 0, -1, s[30:31]
	v_cndmask_b32_e64 v59, 0, -1, s[20:21]
	v_bfe_i32 v55, v55, 0, 1
	v_lshlrev_b16_e32 v57, 8, v57
	v_bfe_i32 v54, v54, 0, 1
	v_lshlrev_b16_e32 v59, 8, v59
	v_or_b32_sdwa v58, v55, v57 dst_sel:DWORD dst_unused:UNUSED_PAD src0_sel:BYTE_0 src1_sel:DWORD
	v_or_b32_sdwa v60, v54, v59 dst_sel:WORD_1 dst_unused:UNUSED_PAD src0_sel:BYTE_0 src1_sel:DWORD
	v_or_b32_sdwa v58, v58, v60 dst_sel:DWORD dst_unused:UNUSED_PAD src0_sel:WORD_0 src1_sel:DWORD
	v_xor_b32_e32 v49, v49, v58
	v_and_b32_e32 v58, 0xffffff00, v49
	v_sub_i16 v57, v58, v57 clamp
	v_lshlrev_b16_e32 v58, 8, v49
	v_lshlrev_b16_e32 v55, 8, v55
	v_sub_i16 v55, v58, v55 clamp
	v_perm_b32 v55, v55, v57, s28
	v_and_b32_sdwa v57, v49, s27 dst_sel:DWORD dst_unused:UNUSED_PAD src0_sel:WORD_1 src1_sel:DWORD
	v_lshlrev_b16_sdwa v49, v37, v49 dst_sel:DWORD dst_unused:UNUSED_PAD src0_sel:DWORD src1_sel:WORD_1
	v_lshlrev_b16_e32 v54, 8, v54
	v_sub_i16 v57, v57, v59 clamp
	v_sub_i16 v49, v49, v54 clamp
	v_perm_b32 v49, v49, v57, s28
	v_lshl_or_b32 v49, v49, 16, v55
	v_dot4_i32_i8 v7, v48, v7, 0
	v_dot4_i32_i8 v54, v49, v8, v7
	v_lshrrev_b32_e32 v7, 13, v50
	v_and_b32_e32 v7, 0xff8, v7
	global_load_dwordx2 v[7:8], v7, s[16:17]
	v_lshrrev_b32_e32 v55, 25, v50
	v_bcnt_u32_b32 v55, v55, 0
	v_and_b32_e32 v55, 1, v55
	v_alignbit_b32 v50, v55, v50, 25
	v_mul_lo_u32 v50, v50, s23
	v_and_b32_e32 v55, 0x8040201, v50
	v_cmp_ne_u16_sdwa s[20:21], v55, v33 src0_sel:BYTE_3 src1_sel:DWORD
	v_cmp_ne_u16_sdwa s[30:31], v55, v33 src0_sel:BYTE_1 src1_sel:DWORD
	v_lshrrev_b32_e32 v57, 18, v50
	v_cndmask_b32_e64 v58, 0, -1, s[30:31]
	v_cndmask_b32_e64 v60, 0, -1, s[20:21]
	v_bfe_i32 v55, v50, 0, 1
	v_lshlrev_b16_e32 v58, 8, v58
	v_bfe_i32 v57, v57, 0, 1
	v_lshlrev_b16_e32 v60, 8, v60
	v_or_b32_sdwa v59, v55, v58 dst_sel:DWORD dst_unused:UNUSED_PAD src0_sel:BYTE_0 src1_sel:DWORD
	v_or_b32_sdwa v61, v57, v60 dst_sel:WORD_1 dst_unused:UNUSED_PAD src0_sel:BYTE_0 src1_sel:DWORD
	v_or_b32_sdwa v59, v59, v61 dst_sel:DWORD dst_unused:UNUSED_PAD src0_sel:WORD_0 src1_sel:DWORD
	v_lshlrev_b16_e32 v55, 8, v55
	v_lshlrev_b16_e32 v57, 8, v57
	s_waitcnt vmcnt(0)
	v_xor_b32_e32 v7, v7, v59
	v_and_b32_e32 v59, 0xffffff00, v7
	v_sub_i16 v58, v59, v58 clamp
	v_lshlrev_b16_e32 v59, 8, v7
	v_sub_i16 v55, v59, v55 clamp
	v_perm_b32 v55, v55, v58, s28
	v_and_b32_sdwa v58, v7, s27 dst_sel:DWORD dst_unused:UNUSED_PAD src0_sel:WORD_1 src1_sel:DWORD
	v_lshlrev_b16_sdwa v7, v37, v7 dst_sel:DWORD dst_unused:UNUSED_PAD src0_sel:DWORD src1_sel:WORD_1
	v_sub_i16 v58, v58, v60 clamp
	v_sub_i16 v7, v7, v57 clamp
	v_perm_b32 v7, v7, v58, s28
	v_lshl_or_b32 v7, v7, 16, v55
	v_and_b32_e32 v55, 0x80402010, v50
	v_cmp_ne_u16_sdwa s[20:21], v55, v33 src0_sel:BYTE_3 src1_sel:DWORD
	v_cmp_ne_u16_sdwa s[30:31], v55, v33 src0_sel:BYTE_1 src1_sel:DWORD
	v_lshrrev_b32_e32 v50, 22, v50
	v_lshrrev_b16_e32 v55, 4, v55
	v_cndmask_b32_e64 v57, 0, -1, s[30:31]
	v_cndmask_b32_e64 v59, 0, -1, s[20:21]
	v_bfe_i32 v55, v55, 0, 1
	v_lshlrev_b16_e32 v57, 8, v57
	v_bfe_i32 v50, v50, 0, 1
	v_lshlrev_b16_e32 v59, 8, v59
	v_or_b32_sdwa v58, v55, v57 dst_sel:DWORD dst_unused:UNUSED_PAD src0_sel:BYTE_0 src1_sel:DWORD
	v_or_b32_sdwa v60, v50, v59 dst_sel:WORD_1 dst_unused:UNUSED_PAD src0_sel:BYTE_0 src1_sel:DWORD
	v_or_b32_sdwa v58, v58, v60 dst_sel:DWORD dst_unused:UNUSED_PAD src0_sel:WORD_0 src1_sel:DWORD
	v_xor_b32_e32 v8, v8, v58
	v_and_b32_e32 v58, 0xffffff00, v8
	v_sub_i16 v57, v58, v57 clamp
	v_lshlrev_b16_e32 v58, 8, v8
	v_lshlrev_b16_e32 v55, 8, v55
	v_sub_i16 v55, v58, v55 clamp
	v_perm_b32 v55, v55, v57, s28
	v_and_b32_sdwa v57, v8, s27 dst_sel:DWORD dst_unused:UNUSED_PAD src0_sel:WORD_1 src1_sel:DWORD
	v_lshlrev_b16_sdwa v8, v37, v8 dst_sel:DWORD dst_unused:UNUSED_PAD src0_sel:DWORD src1_sel:WORD_1
	v_lshlrev_b16_e32 v50, 8, v50
	v_sub_i16 v57, v57, v59 clamp
	v_sub_i16 v8, v8, v50 clamp
	v_perm_b32 v8, v8, v57, s28
	v_lshl_or_b32 v8, v8, 16, v55
	v_dot4_i32_i8 v9, v7, v9, v54
	v_dot4_i32_i8 v57, v8, v2, v9
	v_and_b32_e32 v2, 0x1ff, v51
	v_lshlrev_b32_e32 v2, 3, v2
	global_load_dwordx2 v[54:55], v2, s[16:17]
	v_bfe_u32 v2, v51, 9, 7
	v_bcnt_u32_b32 v9, v2, 0
	v_and_b32_e32 v9, 1, v9
	v_lshl_or_b32 v2, v9, 7, v2
	v_mul_lo_u32 v2, v2, s23
	v_and_b32_e32 v9, 0x8040201, v2
	v_cmp_ne_u16_sdwa s[20:21], v9, v33 src0_sel:BYTE_3 src1_sel:DWORD
	v_cmp_ne_u16_sdwa s[30:31], v9, v33 src0_sel:BYTE_1 src1_sel:DWORD
	v_lshrrev_b32_e32 v50, 18, v2
	v_cndmask_b32_e64 v58, 0, -1, s[30:31]
	v_cndmask_b32_e64 v60, 0, -1, s[20:21]
	v_bfe_i32 v9, v2, 0, 1
	v_lshlrev_b16_e32 v58, 8, v58
	v_bfe_i32 v50, v50, 0, 1
	v_lshlrev_b16_e32 v60, 8, v60
	v_or_b32_sdwa v59, v9, v58 dst_sel:DWORD dst_unused:UNUSED_PAD src0_sel:BYTE_0 src1_sel:DWORD
	v_or_b32_sdwa v61, v50, v60 dst_sel:WORD_1 dst_unused:UNUSED_PAD src0_sel:BYTE_0 src1_sel:DWORD
	v_or_b32_sdwa v59, v59, v61 dst_sel:DWORD dst_unused:UNUSED_PAD src0_sel:WORD_0 src1_sel:DWORD
	v_lshlrev_b16_e32 v9, 8, v9
	v_lshlrev_b16_e32 v50, 8, v50
	s_waitcnt vmcnt(0)
	v_xor_b32_e32 v54, v54, v59
	v_and_b32_e32 v59, 0xffffff00, v54
	v_sub_i16 v58, v59, v58 clamp
	v_lshlrev_b16_e32 v59, 8, v54
	v_sub_i16 v9, v59, v9 clamp
	v_perm_b32 v9, v9, v58, s28
	v_and_b32_sdwa v58, v54, s27 dst_sel:DWORD dst_unused:UNUSED_PAD src0_sel:WORD_1 src1_sel:DWORD
	v_lshlrev_b16_sdwa v54, v37, v54 dst_sel:DWORD dst_unused:UNUSED_PAD src0_sel:DWORD src1_sel:WORD_1
	v_sub_i16 v58, v58, v60 clamp
	v_sub_i16 v50, v54, v50 clamp
	v_perm_b32 v50, v50, v58, s28
	v_lshl_or_b32 v9, v50, 16, v9
	v_and_b32_e32 v50, 0x80402010, v2
	v_cmp_ne_u16_sdwa s[20:21], v50, v33 src0_sel:BYTE_3 src1_sel:DWORD
	v_cmp_ne_u16_sdwa s[30:31], v50, v33 src0_sel:BYTE_1 src1_sel:DWORD
	v_lshrrev_b32_e32 v2, 22, v2
	v_lshrrev_b16_e32 v50, 4, v50
	v_cndmask_b32_e64 v54, 0, -1, s[30:31]
	v_cndmask_b32_e64 v59, 0, -1, s[20:21]
	v_bfe_i32 v50, v50, 0, 1
	v_lshlrev_b16_e32 v54, 8, v54
	v_bfe_i32 v2, v2, 0, 1
	v_lshlrev_b16_e32 v59, 8, v59
	v_or_b32_sdwa v58, v50, v54 dst_sel:DWORD dst_unused:UNUSED_PAD src0_sel:BYTE_0 src1_sel:DWORD
	v_or_b32_sdwa v60, v2, v59 dst_sel:WORD_1 dst_unused:UNUSED_PAD src0_sel:BYTE_0 src1_sel:DWORD
	v_or_b32_sdwa v58, v58, v60 dst_sel:DWORD dst_unused:UNUSED_PAD src0_sel:WORD_0 src1_sel:DWORD
	v_xor_b32_e32 v55, v55, v58
	v_and_b32_e32 v58, 0xffffff00, v55
	v_sub_i16 v54, v58, v54 clamp
	v_lshlrev_b16_e32 v58, 8, v55
	v_lshlrev_b16_e32 v50, 8, v50
	v_sub_i16 v50, v58, v50 clamp
	v_perm_b32 v50, v50, v54, s28
	v_and_b32_sdwa v54, v55, s27 dst_sel:DWORD dst_unused:UNUSED_PAD src0_sel:WORD_1 src1_sel:DWORD
	v_lshlrev_b16_sdwa v55, v37, v55 dst_sel:DWORD dst_unused:UNUSED_PAD src0_sel:DWORD src1_sel:WORD_1
	v_lshlrev_b16_e32 v2, 8, v2
	v_sub_i16 v54, v54, v59 clamp
	v_sub_i16 v2, v55, v2 clamp
	v_perm_b32 v2, v2, v54, s28
	v_lshl_or_b32 v50, v2, 16, v50
	v_dot4_i32_i8 v2, v9, v3, 0
	v_dot4_i32_i8 v4, v50, v4, v2
	v_lshrrev_b32_e32 v2, 13, v51
	v_and_b32_e32 v2, 0xff8, v2
	global_load_dwordx2 v[2:3], v2, s[16:17]
	v_lshrrev_b32_e32 v54, 25, v51
	v_bcnt_u32_b32 v54, v54, 0
	v_and_b32_e32 v54, 1, v54
	v_alignbit_b32 v51, v54, v51, 25
	v_mul_lo_u32 v54, v51, s23
	v_and_b32_e32 v51, 0x8040201, v54
	v_cmp_ne_u16_sdwa s[16:17], v51, v33 src0_sel:BYTE_3 src1_sel:DWORD
	v_cmp_ne_u16_sdwa s[20:21], v51, v33 src0_sel:BYTE_1 src1_sel:DWORD
	v_lshrrev_b32_e32 v55, 18, v54
	v_cndmask_b32_e64 v58, 0, -1, s[20:21]
	v_cndmask_b32_e64 v60, 0, -1, s[16:17]
	v_bfe_i32 v51, v54, 0, 1
	v_lshlrev_b16_e32 v58, 8, v58
	v_bfe_i32 v55, v55, 0, 1
	v_lshlrev_b16_e32 v60, 8, v60
	v_or_b32_sdwa v59, v51, v58 dst_sel:DWORD dst_unused:UNUSED_PAD src0_sel:BYTE_0 src1_sel:DWORD
	v_or_b32_sdwa v61, v55, v60 dst_sel:WORD_1 dst_unused:UNUSED_PAD src0_sel:BYTE_0 src1_sel:DWORD
	v_or_b32_sdwa v59, v59, v61 dst_sel:DWORD dst_unused:UNUSED_PAD src0_sel:WORD_0 src1_sel:DWORD
	v_lshlrev_b16_e32 v51, 8, v51
	v_lshlrev_b16_e32 v55, 8, v55
	s_waitcnt vmcnt(0)
	v_xor_b32_e32 v2, v2, v59
	v_and_b32_e32 v59, 0xffffff00, v2
	v_sub_i16 v58, v59, v58 clamp
	v_lshlrev_b16_e32 v59, 8, v2
	v_sub_i16 v51, v59, v51 clamp
	v_perm_b32 v51, v51, v58, s28
	v_and_b32_sdwa v58, v2, s27 dst_sel:DWORD dst_unused:UNUSED_PAD src0_sel:WORD_1 src1_sel:DWORD
	v_lshlrev_b16_sdwa v2, v37, v2 dst_sel:DWORD dst_unused:UNUSED_PAD src0_sel:DWORD src1_sel:WORD_1
	v_sub_i16 v58, v58, v60 clamp
	v_sub_i16 v2, v2, v55 clamp
	v_perm_b32 v2, v2, v58, s28
	v_lshl_or_b32 v51, v2, 16, v51
	v_and_b32_e32 v2, 0x80402010, v54
	v_cmp_ne_u16_sdwa s[16:17], v2, v33 src0_sel:BYTE_3 src1_sel:DWORD
	v_cmp_ne_u16_sdwa s[20:21], v2, v33 src0_sel:BYTE_1 src1_sel:DWORD
	v_lshrrev_b32_e32 v54, 22, v54
	v_lshrrev_b16_e32 v2, 4, v2
	v_cndmask_b32_e64 v55, 0, -1, s[20:21]
	v_cndmask_b32_e64 v59, 0, -1, s[16:17]
	v_bfe_i32 v2, v2, 0, 1
	v_lshlrev_b16_e32 v55, 8, v55
	v_bfe_i32 v54, v54, 0, 1
	v_lshlrev_b16_e32 v59, 8, v59
	v_or_b32_sdwa v58, v2, v55 dst_sel:DWORD dst_unused:UNUSED_PAD src0_sel:BYTE_0 src1_sel:DWORD
	v_or_b32_sdwa v60, v54, v59 dst_sel:WORD_1 dst_unused:UNUSED_PAD src0_sel:BYTE_0 src1_sel:DWORD
	v_or_b32_sdwa v58, v58, v60 dst_sel:DWORD dst_unused:UNUSED_PAD src0_sel:WORD_0 src1_sel:DWORD
	v_xor_b32_e32 v3, v3, v58
	v_and_b32_e32 v58, 0xffffff00, v3
	v_sub_i16 v55, v58, v55 clamp
	v_lshlrev_b16_e32 v58, 8, v3
	v_lshlrev_b16_e32 v2, 8, v2
	v_sub_i16 v2, v58, v2 clamp
	v_perm_b32 v2, v2, v55, s28
	v_and_b32_sdwa v55, v3, s27 dst_sel:DWORD dst_unused:UNUSED_PAD src0_sel:WORD_1 src1_sel:DWORD
	v_lshlrev_b16_sdwa v3, v37, v3 dst_sel:DWORD dst_unused:UNUSED_PAD src0_sel:DWORD src1_sel:WORD_1
	v_lshlrev_b16_e32 v54, 8, v54
	v_sub_i16 v55, v55, v59 clamp
	v_sub_i16 v3, v3, v54 clamp
	v_perm_b32 v3, v3, v55, s28
	v_lshl_or_b32 v2, v3, 16, v2
	v_dot4_i32_i8 v3, v51, v5, v4
	v_dot4_i32_i8 v5, v2, v53, v3
	v_lshrrev_b32_e32 v3, 4, v56
	v_and_b32_e32 v4, 15, v56
	v_mul_lo_u32 v53, v57, v4
	v_mul_lo_u32 v54, v5, v3
	v_add_u32_e32 v5, v5, v57
	v_lshrrev_b32_e32 v55, 31, v5
	v_add_u32_e32 v5, v5, v55
	v_ashrrev_i32_e32 v5, 1, v5
	v_add3_u32 v5, v54, v53, v5
	v_ashrrev_i32_e32 v53, 31, v5
	v_lshrrev_b32_e32 v53, 30, v53
	v_add_u32_e32 v5, v5, v53
	v_ashrrev_i32_e32 v53, 2, v5
	global_load_ushort v5, v[16:17], off
	v_cvt_f32_i32_e32 v17, v53
	s_waitcnt vmcnt(0)
	v_cvt_f32_f16_e32 v5, v5
	v_mul_f32_e32 v16, v5, v52
	v_fmac_f32_e32 v30, v16, v17
	v_add_u32_e32 v16, s1, v35
	v_mad_u64_u32 v[16:17], s[16:17], v16, 36, v[12:13]
	global_load_dword v60, v[16:17], off offset:32
	global_load_dwordx4 v[52:55], v[16:17], off offset:16
	global_load_dwordx4 v[56:59], v[16:17], off
	s_waitcnt vmcnt(0)
	v_cvt_f32_f16_e32 v16, v56
	v_dot4_i32_i8 v17, v6, v57, 0
	v_dot4_i32_i8 v56, v41, v53, 0
	v_dot4_i32_i8 v17, v38, v58, v17
	v_dot4_i32_i8 v56, v42, v54, v56
	v_dot4_i32_i8 v17, v39, v59, v17
	v_dot4_i32_i8 v56, v43, v55, v56
	v_dot4_i32_i8 v17, v40, v52, v17
	v_dot4_i32_i8 v56, v44, v60, v56
	v_mul_lo_u32 v61, v17, v46
	v_mul_lo_u32 v62, v56, v45
	v_add_u32_e32 v17, v56, v17
	v_lshrrev_b32_e32 v56, 31, v17
	v_add_u32_e32 v17, v17, v56
	v_ashrrev_i32_e32 v17, 1, v17
	v_add3_u32 v17, v62, v61, v17
	v_ashrrev_i32_e32 v56, 31, v17
	v_lshrrev_b32_e32 v56, 30, v56
	v_add_u32_e32 v17, v17, v56
	v_ashrrev_i32_e32 v17, 2, v17
	v_cvt_f32_i32_e32 v17, v17
	v_mul_f32_e32 v56, v47, v16
	v_mul_f32_e32 v16, v5, v16
	v_fmac_f32_e32 v29, v56, v17
	v_dot4_i32_i8 v17, v48, v57, 0
	v_dot4_i32_i8 v17, v49, v58, v17
	v_dot4_i32_i8 v17, v7, v59, v17
	v_dot4_i32_i8 v17, v8, v52, v17
	v_dot4_i32_i8 v52, v9, v53, 0
	v_dot4_i32_i8 v52, v50, v54, v52
	v_dot4_i32_i8 v52, v51, v55, v52
	v_dot4_i32_i8 v52, v2, v60, v52
	v_mul_lo_u32 v53, v17, v4
	v_mul_lo_u32 v54, v52, v3
	v_add_u32_e32 v17, v52, v17
	v_lshrrev_b32_e32 v52, 31, v17
	v_add_u32_e32 v17, v17, v52
	v_ashrrev_i32_e32 v17, 1, v17
	v_add3_u32 v17, v54, v53, v17
	v_ashrrev_i32_e32 v52, 31, v17
	v_lshrrev_b32_e32 v52, 30, v52
	v_add_u32_e32 v17, v17, v52
	v_ashrrev_i32_e32 v17, 2, v17
	v_cvt_f32_i32_e32 v17, v17
	v_fmac_f32_e32 v28, v16, v17
	v_add_u32_e32 v16, s3, v35
	v_mad_u64_u32 v[16:17], s[16:17], v16, 36, v[12:13]
	global_load_dword v60, v[16:17], off offset:32
	global_load_dwordx4 v[52:55], v[16:17], off offset:16
	global_load_dwordx4 v[56:59], v[16:17], off
	s_waitcnt vmcnt(0)
	v_cvt_f32_f16_e32 v16, v56
	v_dot4_i32_i8 v17, v6, v57, 0
	v_dot4_i32_i8 v56, v41, v53, 0
	v_dot4_i32_i8 v17, v38, v58, v17
	v_dot4_i32_i8 v56, v42, v54, v56
	v_dot4_i32_i8 v17, v39, v59, v17
	v_dot4_i32_i8 v56, v43, v55, v56
	v_dot4_i32_i8 v17, v40, v52, v17
	v_dot4_i32_i8 v56, v44, v60, v56
	v_mul_lo_u32 v61, v17, v46
	v_mul_lo_u32 v62, v56, v45
	v_add_u32_e32 v17, v56, v17
	v_lshrrev_b32_e32 v56, 31, v17
	v_add_u32_e32 v17, v17, v56
	v_ashrrev_i32_e32 v17, 1, v17
	v_add3_u32 v17, v62, v61, v17
	v_ashrrev_i32_e32 v56, 31, v17
	v_lshrrev_b32_e32 v56, 30, v56
	v_add_u32_e32 v17, v17, v56
	v_ashrrev_i32_e32 v17, 2, v17
	v_cvt_f32_i32_e32 v17, v17
	v_mul_f32_e32 v56, v47, v16
	v_mul_f32_e32 v16, v5, v16
	v_fmac_f32_e32 v27, v56, v17
	v_dot4_i32_i8 v17, v48, v57, 0
	v_dot4_i32_i8 v17, v49, v58, v17
	v_dot4_i32_i8 v17, v7, v59, v17
	v_dot4_i32_i8 v17, v8, v52, v17
	v_dot4_i32_i8 v52, v9, v53, 0
	v_dot4_i32_i8 v52, v50, v54, v52
	v_dot4_i32_i8 v52, v51, v55, v52
	v_dot4_i32_i8 v52, v2, v60, v52
	v_mul_lo_u32 v53, v17, v4
	v_mul_lo_u32 v54, v52, v3
	v_add_u32_e32 v17, v52, v17
	v_lshrrev_b32_e32 v52, 31, v17
	v_add_u32_e32 v17, v17, v52
	v_ashrrev_i32_e32 v17, 1, v17
	v_add3_u32 v17, v54, v53, v17
	v_ashrrev_i32_e32 v52, 31, v17
	v_lshrrev_b32_e32 v52, 30, v52
	v_add_u32_e32 v17, v17, v52
	v_ashrrev_i32_e32 v17, 2, v17
	v_cvt_f32_i32_e32 v17, v17
	;; [unrolled: 51-line block ×5, first 2 shown]
	v_fmac_f32_e32 v20, v16, v17
	v_add_u32_e32 v16, s25, v35
	v_mad_u64_u32 v[16:17], s[16:17], v16, 36, v[12:13]
	global_load_dword v60, v[16:17], off offset:32
	global_load_dwordx4 v[52:55], v[16:17], off offset:16
	global_load_dwordx4 v[56:59], v[16:17], off
	v_add_u32_e32 v35, 64, v35
	s_waitcnt vmcnt(1)
	v_dot4_i32_i8 v17, v41, v53, 0
	s_waitcnt vmcnt(0)
	v_dot4_i32_i8 v6, v6, v57, 0
	v_dot4_i32_i8 v6, v38, v58, v6
	;; [unrolled: 1-line block ×7, first 2 shown]
	v_mul_lo_u32 v38, v6, v46
	v_mul_lo_u32 v39, v17, v45
	v_add_u32_e32 v6, v17, v6
	v_lshrrev_b32_e32 v17, 31, v6
	v_add_u32_e32 v6, v6, v17
	v_ashrrev_i32_e32 v6, 1, v6
	v_add3_u32 v6, v39, v38, v6
	v_ashrrev_i32_e32 v17, 31, v6
	v_lshrrev_b32_e32 v17, 30, v17
	v_add_u32_e32 v6, v6, v17
	v_cvt_f32_f16_e32 v16, v56
	v_ashrrev_i32_e32 v6, 2, v6
	v_cvt_f32_i32_e32 v6, v6
	v_mul_f32_e32 v17, v47, v16
	v_fmac_f32_e32 v19, v17, v6
	v_dot4_i32_i8 v6, v48, v57, 0
	v_dot4_i32_i8 v6, v49, v58, v6
	;; [unrolled: 1-line block ×8, first 2 shown]
	v_mul_lo_u32 v4, v6, v4
	v_mul_lo_u32 v3, v2, v3
	v_add_u32_e32 v2, v2, v6
	v_lshrrev_b32_e32 v6, 31, v2
	v_add_u32_e32 v2, v2, v6
	v_ashrrev_i32_e32 v2, 1, v2
	v_add3_u32 v2, v3, v4, v2
	v_ashrrev_i32_e32 v3, 31, v2
	v_lshrrev_b32_e32 v3, 30, v3
	v_add_u32_e32 v2, v2, v3
	v_ashrrev_i32_e32 v2, 2, v2
	v_cvt_f32_i32_e32 v2, v2
	v_mul_f32_e32 v3, v5, v16
	v_fmac_f32_e32 v18, v3, v2
	s_andn2_b64 exec, exec, s[12:13]
	s_cbranch_execnz .LBB178_2
; %bb.3:
	s_or_b64 exec, exec, s[12:13]
.LBB178_4:
	s_or_b64 exec, exec, s[10:11]
	s_mov_b32 s1, 0
	v_cmp_eq_u32_e32 vcc, 0, v1
	; wave barrier
	s_and_saveexec_b64 s[10:11], vcc
	s_cbranch_execz .LBB178_19
; %bb.5:
	v_mbcnt_lo_u32_b32 v1, -1, 0
	v_mbcnt_hi_u32_b32 v6, -1, v1
	v_and_b32_e32 v1, 64, v6
	v_add_u32_e32 v7, 64, v1
	v_xor_b32_e32 v1, 32, v6
	v_cmp_lt_i32_e32 vcc, v1, v7
	v_cndmask_b32_e32 v1, v6, v1, vcc
	v_lshlrev_b32_e32 v1, 2, v1
	ds_bpermute_b32 v5, v1, v31
	ds_bpermute_b32 v8, v1, v30
	v_xor_b32_e32 v2, 16, v6
	v_cmp_lt_i32_e32 vcc, v2, v7
	v_cndmask_b32_e32 v2, v6, v2, vcc
	v_lshlrev_b32_e32 v2, 2, v2
	s_waitcnt lgkmcnt(1)
	v_add_f32_e32 v5, v31, v5
	s_waitcnt lgkmcnt(0)
	v_add_f32_e32 v8, v30, v8
	ds_bpermute_b32 v10, v2, v5
	ds_bpermute_b32 v11, v2, v8
	v_xor_b32_e32 v3, 8, v6
	v_cmp_lt_i32_e32 vcc, v3, v7
	v_cndmask_b32_e32 v3, v6, v3, vcc
	v_lshlrev_b32_e32 v3, 2, v3
	s_waitcnt lgkmcnt(1)
	v_add_f32_e32 v10, v5, v10
	s_waitcnt lgkmcnt(0)
	v_add_f32_e32 v8, v8, v11
	;; [unrolled: 10-line block ×3, first 2 shown]
	ds_bpermute_b32 v12, v4, v10
	ds_bpermute_b32 v11, v4, v8
	v_xor_b32_e32 v9, 2, v6
	v_cmp_lt_i32_e32 vcc, v9, v7
	v_cndmask_b32_e32 v9, v6, v9, vcc
	v_lshlrev_b32_e32 v5, 2, v9
	v_xor_b32_e32 v9, 1, v6
	v_cmp_lt_i32_e32 vcc, v9, v7
	s_waitcnt lgkmcnt(1)
	v_add_f32_e32 v7, v10, v12
	s_waitcnt lgkmcnt(0)
	v_add_f32_e32 v10, v8, v11
	v_cndmask_b32_e32 v6, v6, v9, vcc
	ds_bpermute_b32 v9, v5, v7
	ds_bpermute_b32 v11, v5, v10
	s_load_dwordx2 s[4:5], s[4:5], 0x38
	s_mul_i32 s3, s14, s7
	v_lshlrev_b32_e32 v8, 2, v6
	s_waitcnt lgkmcnt(0)
	v_add_f32_e32 v6, v7, v9
	v_add_f32_e32 v9, v10, v11
	s_mul_i32 s0, s18, s8
	s_add_i32 s3, s3, s6
	ds_bpermute_b32 v7, v8, v6
	ds_bpermute_b32 v10, v8, v9
	s_add_i32 s0, s3, s0
	s_lshl_b64 s[0:1], s[0:1], 2
	s_add_u32 s4, s4, s0
	v_add_u32_e32 v11, s6, v0
	s_addc_u32 s5, s5, s1
	v_cmp_gt_u32_e32 vcc, 2, v0
	v_cmp_gt_u32_e64 s[0:1], s2, v11
	s_and_b64 s[0:1], vcc, s[0:1]
	s_waitcnt lgkmcnt(1)
	v_add_f32_e32 v6, v6, v7
	s_waitcnt lgkmcnt(0)
	v_add_f32_e32 v7, v9, v10
	s_and_saveexec_b64 s[6:7], s[0:1]
	s_cbranch_execz .LBB178_7
; %bb.6:
	v_cmp_eq_u32_e32 vcc, 1, v0
	v_cndmask_b32_e32 v9, v6, v7, vcc
	v_cmp_eq_u32_e32 vcc, 2, v0
	v_cndmask_b32_e32 v9, v9, v29, vcc
	;; [unrolled: 2-line block ×13, first 2 shown]
	v_lshlrev_b32_e32 v10, 2, v0
	global_store_dword v10, v9, s[4:5]
.LBB178_7:
	s_or_b64 exec, exec, s[6:7]
	ds_bpermute_b32 v9, v1, v29
	ds_bpermute_b32 v10, v1, v28
	s_waitcnt lgkmcnt(1)
	v_add_f32_e32 v9, v29, v9
	s_waitcnt lgkmcnt(0)
	v_add_f32_e32 v10, v28, v10
	ds_bpermute_b32 v11, v2, v9
	ds_bpermute_b32 v12, v2, v10
	s_waitcnt lgkmcnt(1)
	v_add_f32_e32 v9, v9, v11
	s_waitcnt lgkmcnt(0)
	v_add_f32_e32 v10, v10, v12
	;; [unrolled: 6-line block ×6, first 2 shown]
	s_and_saveexec_b64 s[6:7], s[0:1]
	s_cbranch_execz .LBB178_9
; %bb.8:
	v_add_u32_e32 v11, 2, v0
	v_cmp_eq_u32_e32 vcc, 1, v11
	v_cndmask_b32_e32 v12, v6, v7, vcc
	v_cmp_eq_u32_e32 vcc, 2, v11
	v_cndmask_b32_e32 v12, v12, v10, vcc
	v_cmp_eq_u32_e32 vcc, 3, v11
	v_cndmask_b32_e32 v12, v12, v9, vcc
	v_cmp_eq_u32_e32 vcc, 4, v11
	v_cndmask_b32_e32 v12, v12, v27, vcc
	v_cmp_eq_u32_e32 vcc, 5, v11
	v_cndmask_b32_e32 v12, v12, v26, vcc
	v_cmp_eq_u32_e32 vcc, 6, v11
	v_cndmask_b32_e32 v12, v12, v25, vcc
	v_cmp_eq_u32_e32 vcc, 7, v11
	v_cndmask_b32_e32 v12, v12, v24, vcc
	v_cmp_eq_u32_e32 vcc, 8, v11
	v_cndmask_b32_e32 v12, v12, v23, vcc
	v_cmp_eq_u32_e32 vcc, 9, v11
	v_cndmask_b32_e32 v12, v12, v22, vcc
	v_cmp_eq_u32_e32 vcc, 10, v11
	v_cndmask_b32_e32 v12, v12, v21, vcc
	v_cmp_eq_u32_e32 vcc, 11, v11
	v_cndmask_b32_e32 v12, v12, v20, vcc
	v_cmp_eq_u32_e32 vcc, 12, v11
	v_cndmask_b32_e32 v12, v12, v19, vcc
	v_cmp_eq_u32_e32 vcc, 13, v11
	v_cndmask_b32_e32 v13, v12, v18, vcc
	v_add_u32_e32 v11, s2, v0
	v_mov_b32_e32 v12, 0
	v_lshlrev_b64 v[11:12], 2, v[11:12]
	v_mov_b32_e32 v14, s5
	v_add_co_u32_e32 v11, vcc, s4, v11
	v_addc_co_u32_e32 v12, vcc, v14, v12, vcc
	global_store_dword v[11:12], v13, off
.LBB178_9:
	s_or_b64 exec, exec, s[6:7]
	ds_bpermute_b32 v11, v1, v27
	ds_bpermute_b32 v12, v1, v26
	s_waitcnt lgkmcnt(1)
	v_add_f32_e32 v11, v27, v11
	s_waitcnt lgkmcnt(0)
	v_add_f32_e32 v12, v26, v12
	ds_bpermute_b32 v13, v2, v11
	ds_bpermute_b32 v14, v2, v12
	s_waitcnt lgkmcnt(1)
	v_add_f32_e32 v11, v11, v13
	s_waitcnt lgkmcnt(0)
	v_add_f32_e32 v12, v12, v14
	;; [unrolled: 6-line block ×6, first 2 shown]
	s_and_saveexec_b64 s[6:7], s[0:1]
	s_cbranch_execz .LBB178_11
; %bb.10:
	v_add_u32_e32 v13, 4, v0
	v_cmp_eq_u32_e32 vcc, 1, v13
	v_cndmask_b32_e32 v14, v6, v7, vcc
	v_cmp_eq_u32_e32 vcc, 2, v13
	v_cndmask_b32_e32 v14, v14, v10, vcc
	;; [unrolled: 2-line block ×13, first 2 shown]
	v_lshl_or_b32 v13, s2, 1, v0
	v_mov_b32_e32 v14, 0
	v_lshlrev_b64 v[13:14], 2, v[13:14]
	v_mov_b32_e32 v16, s5
	v_add_co_u32_e32 v13, vcc, s4, v13
	v_addc_co_u32_e32 v14, vcc, v16, v14, vcc
	global_store_dword v[13:14], v15, off
.LBB178_11:
	s_or_b64 exec, exec, s[6:7]
	ds_bpermute_b32 v13, v1, v25
	ds_bpermute_b32 v14, v1, v24
	s_waitcnt lgkmcnt(1)
	v_add_f32_e32 v13, v25, v13
	s_waitcnt lgkmcnt(0)
	v_add_f32_e32 v14, v24, v14
	ds_bpermute_b32 v15, v2, v13
	ds_bpermute_b32 v16, v2, v14
	s_waitcnt lgkmcnt(1)
	v_add_f32_e32 v13, v13, v15
	s_waitcnt lgkmcnt(0)
	v_add_f32_e32 v14, v14, v16
	ds_bpermute_b32 v15, v3, v13
	ds_bpermute_b32 v16, v3, v14
	s_waitcnt lgkmcnt(1)
	v_add_f32_e32 v13, v13, v15
	s_waitcnt lgkmcnt(0)
	v_add_f32_e32 v14, v14, v16
	ds_bpermute_b32 v15, v4, v13
	ds_bpermute_b32 v16, v4, v14
	s_waitcnt lgkmcnt(1)
	v_add_f32_e32 v13, v13, v15
	s_waitcnt lgkmcnt(0)
	v_add_f32_e32 v14, v14, v16
	ds_bpermute_b32 v15, v5, v13
	ds_bpermute_b32 v16, v5, v14
	s_waitcnt lgkmcnt(1)
	v_add_f32_e32 v13, v13, v15
	s_waitcnt lgkmcnt(0)
	v_add_f32_e32 v15, v14, v16
	ds_bpermute_b32 v14, v8, v13
	ds_bpermute_b32 v16, v8, v15
	s_waitcnt lgkmcnt(1)
	v_add_f32_e32 v14, v13, v14
	s_waitcnt lgkmcnt(0)
	v_add_f32_e32 v13, v15, v16
	s_and_saveexec_b64 s[6:7], s[0:1]
	s_cbranch_execz .LBB178_13
; %bb.12:
	v_add_u32_e32 v17, 6, v0
	v_cmp_eq_u32_e32 vcc, 1, v17
	v_cndmask_b32_e32 v15, v6, v7, vcc
	v_cmp_eq_u32_e32 vcc, 2, v17
	v_cndmask_b32_e32 v15, v15, v10, vcc
	;; [unrolled: 2-line block ×12, first 2 shown]
	v_mad_u64_u32 v[15:16], s[8:9], s2, 3, v[0:1]
	v_mov_b32_e32 v16, 0
	v_cmp_eq_u32_e32 vcc, 13, v17
	v_lshlrev_b64 v[15:16], 2, v[15:16]
	v_cndmask_b32_e32 v17, v24, v18, vcc
	v_mov_b32_e32 v24, s5
	v_add_co_u32_e32 v15, vcc, s4, v15
	v_addc_co_u32_e32 v16, vcc, v24, v16, vcc
	global_store_dword v[15:16], v17, off
.LBB178_13:
	s_or_b64 exec, exec, s[6:7]
	ds_bpermute_b32 v15, v1, v23
	ds_bpermute_b32 v16, v1, v22
	s_waitcnt lgkmcnt(1)
	v_add_f32_e32 v15, v23, v15
	s_waitcnt lgkmcnt(0)
	v_add_f32_e32 v16, v22, v16
	ds_bpermute_b32 v17, v2, v15
	ds_bpermute_b32 v22, v2, v16
	s_waitcnt lgkmcnt(1)
	v_add_f32_e32 v15, v15, v17
	s_waitcnt lgkmcnt(0)
	v_add_f32_e32 v16, v16, v22
	ds_bpermute_b32 v17, v3, v15
	ds_bpermute_b32 v22, v3, v16
	s_waitcnt lgkmcnt(1)
	v_add_f32_e32 v15, v15, v17
	s_waitcnt lgkmcnt(0)
	v_add_f32_e32 v16, v16, v22
	ds_bpermute_b32 v17, v4, v15
	ds_bpermute_b32 v22, v4, v16
	s_waitcnt lgkmcnt(1)
	v_add_f32_e32 v15, v15, v17
	s_waitcnt lgkmcnt(0)
	v_add_f32_e32 v16, v16, v22
	ds_bpermute_b32 v17, v5, v15
	ds_bpermute_b32 v22, v5, v16
	s_waitcnt lgkmcnt(1)
	v_add_f32_e32 v15, v15, v17
	s_waitcnt lgkmcnt(0)
	v_add_f32_e32 v17, v16, v22
	ds_bpermute_b32 v16, v8, v15
	ds_bpermute_b32 v22, v8, v17
	s_waitcnt lgkmcnt(1)
	v_add_f32_e32 v16, v15, v16
	s_waitcnt lgkmcnt(0)
	v_add_f32_e32 v15, v17, v22
	s_and_saveexec_b64 s[6:7], s[0:1]
	s_cbranch_execz .LBB178_15
; %bb.14:
	v_add_u32_e32 v17, 8, v0
	v_cmp_eq_u32_e32 vcc, 1, v17
	v_cndmask_b32_e32 v22, v6, v7, vcc
	v_cmp_eq_u32_e32 vcc, 2, v17
	v_cndmask_b32_e32 v22, v22, v10, vcc
	;; [unrolled: 2-line block ×13, first 2 shown]
	v_lshl_or_b32 v22, s2, 2, v0
	v_mov_b32_e32 v23, 0
	v_lshlrev_b64 v[22:23], 2, v[22:23]
	v_mov_b32_e32 v24, s5
	v_add_co_u32_e32 v22, vcc, s4, v22
	v_addc_co_u32_e32 v23, vcc, v24, v23, vcc
	global_store_dword v[22:23], v17, off
.LBB178_15:
	s_or_b64 exec, exec, s[6:7]
	ds_bpermute_b32 v17, v1, v21
	ds_bpermute_b32 v22, v1, v20
	s_waitcnt lgkmcnt(1)
	v_add_f32_e32 v17, v21, v17
	s_waitcnt lgkmcnt(0)
	v_add_f32_e32 v20, v20, v22
	ds_bpermute_b32 v21, v2, v17
	ds_bpermute_b32 v22, v2, v20
	s_waitcnt lgkmcnt(1)
	v_add_f32_e32 v17, v17, v21
	s_waitcnt lgkmcnt(0)
	v_add_f32_e32 v20, v20, v22
	ds_bpermute_b32 v21, v3, v17
	ds_bpermute_b32 v22, v3, v20
	s_waitcnt lgkmcnt(1)
	v_add_f32_e32 v17, v17, v21
	s_waitcnt lgkmcnt(0)
	v_add_f32_e32 v20, v20, v22
	ds_bpermute_b32 v21, v4, v17
	ds_bpermute_b32 v22, v4, v20
	s_waitcnt lgkmcnt(1)
	v_add_f32_e32 v17, v17, v21
	s_waitcnt lgkmcnt(0)
	v_add_f32_e32 v20, v20, v22
	ds_bpermute_b32 v21, v5, v17
	ds_bpermute_b32 v22, v5, v20
	s_waitcnt lgkmcnt(1)
	v_add_f32_e32 v17, v17, v21
	s_waitcnt lgkmcnt(0)
	v_add_f32_e32 v21, v20, v22
	ds_bpermute_b32 v20, v8, v17
	ds_bpermute_b32 v22, v8, v21
	s_waitcnt lgkmcnt(1)
	v_add_f32_e32 v20, v17, v20
	s_waitcnt lgkmcnt(0)
	v_add_f32_e32 v17, v21, v22
	s_and_saveexec_b64 s[6:7], s[0:1]
	s_cbranch_execz .LBB178_17
; %bb.16:
	v_add_u32_e32 v23, 10, v0
	v_cmp_eq_u32_e32 vcc, 1, v23
	v_cndmask_b32_e32 v21, v6, v7, vcc
	v_cmp_eq_u32_e32 vcc, 2, v23
	v_cndmask_b32_e32 v21, v21, v10, vcc
	;; [unrolled: 2-line block ×12, first 2 shown]
	v_mad_u64_u32 v[21:22], s[8:9], s2, 5, v[0:1]
	v_mov_b32_e32 v22, 0
	v_cmp_eq_u32_e32 vcc, 13, v23
	v_lshlrev_b64 v[21:22], 2, v[21:22]
	v_cndmask_b32_e32 v23, v24, v18, vcc
	v_mov_b32_e32 v24, s5
	v_add_co_u32_e32 v21, vcc, s4, v21
	v_addc_co_u32_e32 v22, vcc, v24, v22, vcc
	global_store_dword v[21:22], v23, off
.LBB178_17:
	s_or_b64 exec, exec, s[6:7]
	ds_bpermute_b32 v21, v1, v19
	ds_bpermute_b32 v1, v1, v18
	s_waitcnt lgkmcnt(1)
	v_add_f32_e32 v19, v19, v21
	s_waitcnt lgkmcnt(0)
	v_add_f32_e32 v1, v18, v1
	ds_bpermute_b32 v18, v2, v19
	ds_bpermute_b32 v2, v2, v1
	s_waitcnt lgkmcnt(1)
	v_add_f32_e32 v18, v19, v18
	s_waitcnt lgkmcnt(0)
	v_add_f32_e32 v1, v1, v2
	;; [unrolled: 6-line block ×5, first 2 shown]
	ds_bpermute_b32 v3, v8, v1
	ds_bpermute_b32 v4, v8, v2
	s_and_b64 exec, exec, s[0:1]
	s_cbranch_execz .LBB178_19
; %bb.18:
	s_waitcnt lgkmcnt(1)
	v_add_f32_e32 v1, v1, v3
	v_add_u32_e32 v3, 12, v0
	v_cmp_eq_u32_e32 vcc, 1, v3
	s_waitcnt lgkmcnt(0)
	v_add_f32_e32 v2, v2, v4
	v_cndmask_b32_e32 v4, v6, v7, vcc
	v_cmp_eq_u32_e32 vcc, 2, v3
	v_cndmask_b32_e32 v4, v4, v10, vcc
	v_cmp_eq_u32_e32 vcc, 3, v3
	;; [unrolled: 2-line block ×12, first 2 shown]
	s_mul_i32 s0, s2, 6
	v_cndmask_b32_e32 v2, v1, v2, vcc
	v_or_b32_e32 v0, s0, v0
	v_mov_b32_e32 v1, 0
	v_lshlrev_b64 v[0:1], 2, v[0:1]
	v_mov_b32_e32 v3, s5
	v_add_co_u32_e32 v0, vcc, s4, v0
	v_addc_co_u32_e32 v1, vcc, v3, v1, vcc
	global_store_dword v[0:1], v2, off
.LBB178_19:
	s_endpgm
	.section	.rodata,"a",@progbits
	.p2align	6, 0x0
	.amdhsa_kernel _ZL13mul_mat_vec_qIL9ggml_type17ELi7ELb0ELb0EEvPKvS2_PKi31ggml_cuda_mm_fusion_args_devicePfj15HIP_vector_typeIjLj3EEjjjS8_jjjS8_jjjj
		.amdhsa_group_segment_fixed_size 0
		.amdhsa_private_segment_fixed_size 0
		.amdhsa_kernarg_size 144
		.amdhsa_user_sgpr_count 6
		.amdhsa_user_sgpr_private_segment_buffer 1
		.amdhsa_user_sgpr_dispatch_ptr 0
		.amdhsa_user_sgpr_queue_ptr 0
		.amdhsa_user_sgpr_kernarg_segment_ptr 1
		.amdhsa_user_sgpr_dispatch_id 0
		.amdhsa_user_sgpr_flat_scratch_init 0
		.amdhsa_user_sgpr_private_segment_size 0
		.amdhsa_uses_dynamic_stack 0
		.amdhsa_system_sgpr_private_segment_wavefront_offset 0
		.amdhsa_system_sgpr_workgroup_id_x 1
		.amdhsa_system_sgpr_workgroup_id_y 1
		.amdhsa_system_sgpr_workgroup_id_z 1
		.amdhsa_system_sgpr_workgroup_info 0
		.amdhsa_system_vgpr_workitem_id 1
		.amdhsa_next_free_vgpr 63
		.amdhsa_next_free_sgpr 32
		.amdhsa_reserve_vcc 1
		.amdhsa_reserve_flat_scratch 0
		.amdhsa_float_round_mode_32 0
		.amdhsa_float_round_mode_16_64 0
		.amdhsa_float_denorm_mode_32 3
		.amdhsa_float_denorm_mode_16_64 3
		.amdhsa_dx10_clamp 1
		.amdhsa_ieee_mode 1
		.amdhsa_fp16_overflow 0
		.amdhsa_exception_fp_ieee_invalid_op 0
		.amdhsa_exception_fp_denorm_src 0
		.amdhsa_exception_fp_ieee_div_zero 0
		.amdhsa_exception_fp_ieee_overflow 0
		.amdhsa_exception_fp_ieee_underflow 0
		.amdhsa_exception_fp_ieee_inexact 0
		.amdhsa_exception_int_div_zero 0
	.end_amdhsa_kernel
	.section	.text._ZL13mul_mat_vec_qIL9ggml_type17ELi7ELb0ELb0EEvPKvS2_PKi31ggml_cuda_mm_fusion_args_devicePfj15HIP_vector_typeIjLj3EEjjjS8_jjjS8_jjjj,"axG",@progbits,_ZL13mul_mat_vec_qIL9ggml_type17ELi7ELb0ELb0EEvPKvS2_PKi31ggml_cuda_mm_fusion_args_devicePfj15HIP_vector_typeIjLj3EEjjjS8_jjjS8_jjjj,comdat
.Lfunc_end178:
	.size	_ZL13mul_mat_vec_qIL9ggml_type17ELi7ELb0ELb0EEvPKvS2_PKi31ggml_cuda_mm_fusion_args_devicePfj15HIP_vector_typeIjLj3EEjjjS8_jjjS8_jjjj, .Lfunc_end178-_ZL13mul_mat_vec_qIL9ggml_type17ELi7ELb0ELb0EEvPKvS2_PKi31ggml_cuda_mm_fusion_args_devicePfj15HIP_vector_typeIjLj3EEjjjS8_jjjS8_jjjj
                                        ; -- End function
	.set _ZL13mul_mat_vec_qIL9ggml_type17ELi7ELb0ELb0EEvPKvS2_PKi31ggml_cuda_mm_fusion_args_devicePfj15HIP_vector_typeIjLj3EEjjjS8_jjjS8_jjjj.num_vgpr, 63
	.set _ZL13mul_mat_vec_qIL9ggml_type17ELi7ELb0ELb0EEvPKvS2_PKi31ggml_cuda_mm_fusion_args_devicePfj15HIP_vector_typeIjLj3EEjjjS8_jjjS8_jjjj.num_agpr, 0
	.set _ZL13mul_mat_vec_qIL9ggml_type17ELi7ELb0ELb0EEvPKvS2_PKi31ggml_cuda_mm_fusion_args_devicePfj15HIP_vector_typeIjLj3EEjjjS8_jjjS8_jjjj.numbered_sgpr, 32
	.set _ZL13mul_mat_vec_qIL9ggml_type17ELi7ELb0ELb0EEvPKvS2_PKi31ggml_cuda_mm_fusion_args_devicePfj15HIP_vector_typeIjLj3EEjjjS8_jjjS8_jjjj.num_named_barrier, 0
	.set _ZL13mul_mat_vec_qIL9ggml_type17ELi7ELb0ELb0EEvPKvS2_PKi31ggml_cuda_mm_fusion_args_devicePfj15HIP_vector_typeIjLj3EEjjjS8_jjjS8_jjjj.private_seg_size, 0
	.set _ZL13mul_mat_vec_qIL9ggml_type17ELi7ELb0ELb0EEvPKvS2_PKi31ggml_cuda_mm_fusion_args_devicePfj15HIP_vector_typeIjLj3EEjjjS8_jjjS8_jjjj.uses_vcc, 1
	.set _ZL13mul_mat_vec_qIL9ggml_type17ELi7ELb0ELb0EEvPKvS2_PKi31ggml_cuda_mm_fusion_args_devicePfj15HIP_vector_typeIjLj3EEjjjS8_jjjS8_jjjj.uses_flat_scratch, 0
	.set _ZL13mul_mat_vec_qIL9ggml_type17ELi7ELb0ELb0EEvPKvS2_PKi31ggml_cuda_mm_fusion_args_devicePfj15HIP_vector_typeIjLj3EEjjjS8_jjjS8_jjjj.has_dyn_sized_stack, 0
	.set _ZL13mul_mat_vec_qIL9ggml_type17ELi7ELb0ELb0EEvPKvS2_PKi31ggml_cuda_mm_fusion_args_devicePfj15HIP_vector_typeIjLj3EEjjjS8_jjjS8_jjjj.has_recursion, 0
	.set _ZL13mul_mat_vec_qIL9ggml_type17ELi7ELb0ELb0EEvPKvS2_PKi31ggml_cuda_mm_fusion_args_devicePfj15HIP_vector_typeIjLj3EEjjjS8_jjjS8_jjjj.has_indirect_call, 0
	.section	.AMDGPU.csdata,"",@progbits
; Kernel info:
; codeLenInByte = 8928
; TotalNumSgprs: 36
; NumVgprs: 63
; ScratchSize: 0
; MemoryBound: 0
; FloatMode: 240
; IeeeMode: 1
; LDSByteSize: 0 bytes/workgroup (compile time only)
; SGPRBlocks: 4
; VGPRBlocks: 15
; NumSGPRsForWavesPerEU: 36
; NumVGPRsForWavesPerEU: 63
; Occupancy: 4
; WaveLimiterHint : 0
; COMPUTE_PGM_RSRC2:SCRATCH_EN: 0
; COMPUTE_PGM_RSRC2:USER_SGPR: 6
; COMPUTE_PGM_RSRC2:TRAP_HANDLER: 0
; COMPUTE_PGM_RSRC2:TGID_X_EN: 1
; COMPUTE_PGM_RSRC2:TGID_Y_EN: 1
; COMPUTE_PGM_RSRC2:TGID_Z_EN: 1
; COMPUTE_PGM_RSRC2:TIDIG_COMP_CNT: 1
	.section	.text._ZL13mul_mat_vec_qIL9ggml_type17ELi8ELb0ELb0EEvPKvS2_PKi31ggml_cuda_mm_fusion_args_devicePfj15HIP_vector_typeIjLj3EEjjjS8_jjjS8_jjjj,"axG",@progbits,_ZL13mul_mat_vec_qIL9ggml_type17ELi8ELb0ELb0EEvPKvS2_PKi31ggml_cuda_mm_fusion_args_devicePfj15HIP_vector_typeIjLj3EEjjjS8_jjjS8_jjjj,comdat
	.globl	_ZL13mul_mat_vec_qIL9ggml_type17ELi8ELb0ELb0EEvPKvS2_PKi31ggml_cuda_mm_fusion_args_devicePfj15HIP_vector_typeIjLj3EEjjjS8_jjjS8_jjjj ; -- Begin function _ZL13mul_mat_vec_qIL9ggml_type17ELi8ELb0ELb0EEvPKvS2_PKi31ggml_cuda_mm_fusion_args_devicePfj15HIP_vector_typeIjLj3EEjjjS8_jjjS8_jjjj
	.p2align	8
	.type	_ZL13mul_mat_vec_qIL9ggml_type17ELi8ELb0ELb0EEvPKvS2_PKi31ggml_cuda_mm_fusion_args_devicePfj15HIP_vector_typeIjLj3EEjjjS8_jjjS8_jjjj,@function
_ZL13mul_mat_vec_qIL9ggml_type17ELi8ELb0ELb0EEvPKvS2_PKi31ggml_cuda_mm_fusion_args_devicePfj15HIP_vector_typeIjLj3EEjjjS8_jjjS8_jjjj: ; @_ZL13mul_mat_vec_qIL9ggml_type17ELi8ELb0ELb0EEvPKvS2_PKi31ggml_cuda_mm_fusion_args_devicePfj15HIP_vector_typeIjLj3EEjjjS8_jjjS8_jjjj
; %bb.0:
	s_load_dword s9, s[4:5], 0x40
	s_load_dwordx4 s[0:3], s[4:5], 0x50
	s_load_dword s25, s[4:5], 0x60
	s_load_dwordx4 s[12:15], s[4:5], 0x68
	s_load_dword s24, s[4:5], 0x78
	s_load_dwordx4 s[16:19], s[4:5], 0x80
	v_lshl_or_b32 v2, v1, 6, v0
	s_waitcnt lgkmcnt(0)
	s_lshr_b32 s9, s9, 8
	v_lshrrev_b32_e32 v34, 3, v2
	v_mov_b32_e32 v18, 0
	s_lshl_b32 s6, s6, 1
	v_cmp_gt_u32_e32 vcc, s9, v34
	v_mov_b32_e32 v19, v18
	v_mov_b32_e32 v20, v18
	;; [unrolled: 1-line block ×15, first 2 shown]
	s_and_saveexec_b64 s[10:11], vcc
	s_cbranch_execz .LBB179_4
; %bb.1:
	s_mul_hi_u32 s3, s3, s7
	s_add_i32 s3, s7, s3
	s_load_dwordx4 s[20:23], s[4:5], 0x0
	s_lshr_b32 s3, s3, s25
	s_mul_i32 s3, s3, s12
	s_mul_hi_u32 s12, s15, s8
	s_add_i32 s12, s8, s12
	s_lshr_b32 s12, s12, s24
	s_mul_i32 s28, s17, s8
	s_mul_i32 s15, s12, s16
	s_mul_i32 s16, s28, 36
	s_mul_hi_u32 s12, s28, 36
	s_waitcnt lgkmcnt(0)
	s_add_u32 s16, s22, s16
	s_addc_u32 s17, s23, s12
	s_mul_i32 s12, s13, s7
	v_lshlrev_b32_e32 v2, 1, v0
	s_mul_hi_u32 s13, s12, 36
	s_mul_i32 s12, s12, 36
	v_and_b32_e32 v2, 14, v2
	v_lshlrev_b32_e32 v4, 1, v2
	v_mov_b32_e32 v2, s12
	s_add_u32 s16, s16, s12
	s_movk_i32 s30, 0x120
	v_mov_b32_e32 v3, s13
	s_addc_u32 s17, s17, s13
	v_mad_u64_u32 v[2:3], s[12:13], v34, s30, v[2:3]
	v_and_b32_e32 v36, 7, v0
	v_mov_b32_e32 v5, s23
	v_mad_u64_u32 v[2:3], s[12:13], s28, 36, v[2:3]
	v_mad_u64_u32 v[12:13], s[16:17], v36, 36, s[16:17]
	;; [unrolled: 1-line block ×3, first 2 shown]
	s_add_i32 s30, s6, 1
	s_add_i32 s29, s15, s3
	v_add_co_u32_e32 v2, vcc, s22, v2
	v_addc_co_u32_e32 v3, vcc, v5, v3, vcc
	s_mul_i32 s27, s6, s0
	s_mul_i32 s0, s0, s30
	v_add_co_u32_e32 v10, vcc, 16, v2
	v_mov_b32_e32 v14, s20
	v_mov_b32_e32 v35, 0
	s_lshl_b32 s3, s1, 1
	s_mul_i32 s15, s1, 3
	s_lshl_b32 s19, s1, 2
	s_mul_i32 s24, s1, 5
	s_mul_i32 s25, s1, 6
	;; [unrolled: 1-line block ×3, first 2 shown]
	s_add_i32 s27, s29, s27
	s_add_i32 s0, s29, s0
	v_lshlrev_b32_e32 v37, 3, v34
	v_addc_co_u32_e32 v11, vcc, 0, v3, vcc
	s_mov_b64 s[12:13], 0
	s_movk_i32 s22, 0x4a
	v_lshlrev_b32_e32 v38, 1, v4
	s_mov_b32 s23, 0x1010101
	s_movk_i32 s28, 0xff00
	s_mov_b32 s29, 0xc0c0105
	v_mov_b32_e32 v39, 8
	v_mov_b32_e32 v33, 0
	;; [unrolled: 1-line block ×18, first 2 shown]
.LBB179_2:                              ; =>This Inner Loop Header: Depth=1
	v_add_u32_e32 v16, s27, v34
	v_mad_i64_i32 v[16:17], s[16:17], v16, s22, v[14:15]
	global_load_dword v52, v[10:11], off offset:16
	global_load_dwordx4 v[2:5], v[10:11], off
	global_load_dwordx4 v[6:9], v[10:11], off offset:-16
	s_getpc_b64 s[16:17]
	s_add_u32 s16, s16, _ZL10iq2xs_grid@rel32@lo+4
	s_addc_u32 s17, s17, _ZL10iq2xs_grid@rel32@hi+12
	v_add_co_u32_e32 v40, vcc, v16, v38
	v_addc_co_u32_e32 v41, vcc, 0, v17, vcc
	global_load_dwordx2 v[44:45], v[40:41], off offset:2
	v_add_co_u32_e32 v40, vcc, v16, v36
	v_addc_co_u32_e32 v41, vcc, 0, v17, vcc
	global_load_ubyte v48, v[40:41], off offset:66
	s_waitcnt vmcnt(2)
	v_cvt_f32_f16_e32 v53, v6
	global_load_ushort v16, v[16:17], off
	s_waitcnt vmcnt(2)
	v_and_b32_e32 v6, 0x1ff, v44
	v_lshlrev_b32_e32 v6, 3, v6
	global_load_dwordx2 v[40:41], v6, s[16:17]
	v_bfe_u32 v6, v44, 9, 7
	v_bcnt_u32_b32 v42, v6, 0
	v_and_b32_e32 v42, 1, v42
	v_lshl_or_b32 v6, v42, 7, v6
	v_mul_lo_u32 v42, v6, s23
	v_and_b32_e32 v6, 0x8040201, v42
	v_cmp_ne_u16_sdwa s[20:21], v6, v35 src0_sel:BYTE_3 src1_sel:DWORD
	v_cmp_ne_u16_sdwa s[30:31], v6, v35 src0_sel:BYTE_1 src1_sel:DWORD
	v_lshrrev_b32_e32 v43, 18, v42
	v_cndmask_b32_e64 v46, 0, -1, s[30:31]
	v_cndmask_b32_e64 v49, 0, -1, s[20:21]
	v_bfe_i32 v6, v42, 0, 1
	v_lshlrev_b16_e32 v46, 8, v46
	v_bfe_i32 v43, v43, 0, 1
	v_lshlrev_b16_e32 v49, 8, v49
	v_or_b32_sdwa v47, v6, v46 dst_sel:DWORD dst_unused:UNUSED_PAD src0_sel:BYTE_0 src1_sel:DWORD
	v_or_b32_sdwa v50, v43, v49 dst_sel:WORD_1 dst_unused:UNUSED_PAD src0_sel:BYTE_0 src1_sel:DWORD
	v_or_b32_sdwa v47, v47, v50 dst_sel:DWORD dst_unused:UNUSED_PAD src0_sel:WORD_0 src1_sel:DWORD
	v_lshlrev_b16_e32 v6, 8, v6
	v_lshlrev_b16_e32 v43, 8, v43
	s_waitcnt vmcnt(0)
	v_xor_b32_e32 v40, v40, v47
	v_and_b32_e32 v47, 0xffffff00, v40
	v_sub_i16 v46, v47, v46 clamp
	v_lshlrev_b16_e32 v47, 8, v40
	v_sub_i16 v6, v47, v6 clamp
	v_perm_b32 v6, v6, v46, s29
	v_and_b32_sdwa v46, v40, s28 dst_sel:DWORD dst_unused:UNUSED_PAD src0_sel:WORD_1 src1_sel:DWORD
	v_lshlrev_b16_sdwa v40, v39, v40 dst_sel:DWORD dst_unused:UNUSED_PAD src0_sel:DWORD src1_sel:WORD_1
	v_sub_i16 v46, v46, v49 clamp
	v_sub_i16 v40, v40, v43 clamp
	v_perm_b32 v40, v40, v46, s29
	v_lshl_or_b32 v6, v40, 16, v6
	v_and_b32_e32 v40, 0x80402010, v42
	v_cmp_ne_u16_sdwa s[20:21], v40, v35 src0_sel:BYTE_3 src1_sel:DWORD
	v_cmp_ne_u16_sdwa s[30:31], v40, v35 src0_sel:BYTE_1 src1_sel:DWORD
	v_lshrrev_b32_e32 v42, 22, v42
	v_lshrrev_b16_e32 v40, 4, v40
	v_cndmask_b32_e64 v43, 0, -1, s[30:31]
	v_cndmask_b32_e64 v47, 0, -1, s[20:21]
	v_bfe_i32 v40, v40, 0, 1
	v_lshlrev_b16_e32 v43, 8, v43
	v_bfe_i32 v42, v42, 0, 1
	v_lshlrev_b16_e32 v47, 8, v47
	v_or_b32_sdwa v46, v40, v43 dst_sel:DWORD dst_unused:UNUSED_PAD src0_sel:BYTE_0 src1_sel:DWORD
	v_or_b32_sdwa v49, v42, v47 dst_sel:WORD_1 dst_unused:UNUSED_PAD src0_sel:BYTE_0 src1_sel:DWORD
	v_or_b32_sdwa v46, v46, v49 dst_sel:DWORD dst_unused:UNUSED_PAD src0_sel:WORD_0 src1_sel:DWORD
	v_xor_b32_e32 v41, v41, v46
	v_and_b32_e32 v46, 0xffffff00, v41
	v_sub_i16 v43, v46, v43 clamp
	v_lshlrev_b16_e32 v46, 8, v41
	v_lshlrev_b16_e32 v40, 8, v40
	v_sub_i16 v40, v46, v40 clamp
	v_perm_b32 v40, v40, v43, s29
	v_and_b32_sdwa v43, v41, s28 dst_sel:DWORD dst_unused:UNUSED_PAD src0_sel:WORD_1 src1_sel:DWORD
	v_lshlrev_b16_sdwa v41, v39, v41 dst_sel:DWORD dst_unused:UNUSED_PAD src0_sel:DWORD src1_sel:WORD_1
	v_lshlrev_b16_e32 v42, 8, v42
	v_sub_i16 v43, v43, v47 clamp
	v_sub_i16 v41, v41, v42 clamp
	v_perm_b32 v41, v41, v43, s29
	v_lshl_or_b32 v40, v41, 16, v40
	v_dot4_i32_i8 v41, v6, v7, 0
	v_dot4_i32_i8 v43, v40, v8, v41
	v_lshrrev_b32_e32 v41, 13, v44
	v_and_b32_e32 v41, 0xff8, v41
	global_load_dwordx2 v[41:42], v41, s[16:17]
	v_lshrrev_b32_e32 v46, 25, v44
	v_bcnt_u32_b32 v46, v46, 0
	v_and_b32_e32 v46, 1, v46
	v_alignbit_b32 v44, v46, v44, 25
	v_mul_lo_u32 v44, v44, s23
	v_and_b32_e32 v46, 0x8040201, v44
	v_cmp_ne_u16_sdwa s[20:21], v46, v35 src0_sel:BYTE_3 src1_sel:DWORD
	v_cmp_ne_u16_sdwa s[30:31], v46, v35 src0_sel:BYTE_1 src1_sel:DWORD
	v_lshrrev_b32_e32 v47, 18, v44
	v_cndmask_b32_e64 v49, 0, -1, s[30:31]
	v_cndmask_b32_e64 v51, 0, -1, s[20:21]
	v_bfe_i32 v46, v44, 0, 1
	v_lshlrev_b16_e32 v49, 8, v49
	v_bfe_i32 v47, v47, 0, 1
	v_lshlrev_b16_e32 v51, 8, v51
	v_or_b32_sdwa v50, v46, v49 dst_sel:DWORD dst_unused:UNUSED_PAD src0_sel:BYTE_0 src1_sel:DWORD
	v_or_b32_sdwa v54, v47, v51 dst_sel:WORD_1 dst_unused:UNUSED_PAD src0_sel:BYTE_0 src1_sel:DWORD
	v_or_b32_sdwa v50, v50, v54 dst_sel:DWORD dst_unused:UNUSED_PAD src0_sel:WORD_0 src1_sel:DWORD
	v_lshlrev_b16_e32 v46, 8, v46
	v_lshlrev_b16_e32 v47, 8, v47
	s_waitcnt vmcnt(0)
	v_xor_b32_e32 v41, v41, v50
	v_and_b32_e32 v50, 0xffffff00, v41
	v_sub_i16 v49, v50, v49 clamp
	v_lshlrev_b16_e32 v50, 8, v41
	v_sub_i16 v46, v50, v46 clamp
	v_perm_b32 v46, v46, v49, s29
	v_and_b32_sdwa v49, v41, s28 dst_sel:DWORD dst_unused:UNUSED_PAD src0_sel:WORD_1 src1_sel:DWORD
	v_lshlrev_b16_sdwa v41, v39, v41 dst_sel:DWORD dst_unused:UNUSED_PAD src0_sel:DWORD src1_sel:WORD_1
	v_sub_i16 v49, v49, v51 clamp
	v_sub_i16 v41, v41, v47 clamp
	v_perm_b32 v41, v41, v49, s29
	v_lshl_or_b32 v41, v41, 16, v46
	v_and_b32_e32 v46, 0x80402010, v44
	v_cmp_ne_u16_sdwa s[20:21], v46, v35 src0_sel:BYTE_3 src1_sel:DWORD
	v_cmp_ne_u16_sdwa s[30:31], v46, v35 src0_sel:BYTE_1 src1_sel:DWORD
	v_lshrrev_b32_e32 v44, 22, v44
	v_lshrrev_b16_e32 v46, 4, v46
	v_cndmask_b32_e64 v47, 0, -1, s[30:31]
	v_cndmask_b32_e64 v50, 0, -1, s[20:21]
	v_bfe_i32 v46, v46, 0, 1
	v_lshlrev_b16_e32 v47, 8, v47
	v_bfe_i32 v44, v44, 0, 1
	v_lshlrev_b16_e32 v50, 8, v50
	v_or_b32_sdwa v49, v46, v47 dst_sel:DWORD dst_unused:UNUSED_PAD src0_sel:BYTE_0 src1_sel:DWORD
	v_or_b32_sdwa v51, v44, v50 dst_sel:WORD_1 dst_unused:UNUSED_PAD src0_sel:BYTE_0 src1_sel:DWORD
	v_or_b32_sdwa v49, v49, v51 dst_sel:DWORD dst_unused:UNUSED_PAD src0_sel:WORD_0 src1_sel:DWORD
	v_xor_b32_e32 v42, v42, v49
	v_and_b32_e32 v49, 0xffffff00, v42
	v_sub_i16 v47, v49, v47 clamp
	v_lshlrev_b16_e32 v49, 8, v42
	v_lshlrev_b16_e32 v46, 8, v46
	v_sub_i16 v46, v49, v46 clamp
	v_perm_b32 v46, v46, v47, s29
	v_and_b32_sdwa v47, v42, s28 dst_sel:DWORD dst_unused:UNUSED_PAD src0_sel:WORD_1 src1_sel:DWORD
	v_lshlrev_b16_sdwa v42, v39, v42 dst_sel:DWORD dst_unused:UNUSED_PAD src0_sel:DWORD src1_sel:WORD_1
	v_lshlrev_b16_e32 v44, 8, v44
	v_sub_i16 v47, v47, v50 clamp
	v_sub_i16 v42, v42, v44 clamp
	v_perm_b32 v42, v42, v47, s29
	v_lshl_or_b32 v42, v42, 16, v46
	v_dot4_i32_i8 v43, v41, v9, v43
	v_dot4_i32_i8 v49, v42, v2, v43
	v_and_b32_e32 v43, 0x1ff, v45
	v_lshlrev_b32_e32 v43, 3, v43
	global_load_dwordx2 v[43:44], v43, s[16:17]
	v_bfe_u32 v46, v45, 9, 7
	v_bcnt_u32_b32 v47, v46, 0
	v_and_b32_e32 v47, 1, v47
	v_lshl_or_b32 v46, v47, 7, v46
	v_mul_lo_u32 v46, v46, s23
	v_and_b32_e32 v47, 0x8040201, v46
	v_cmp_ne_u16_sdwa s[20:21], v47, v35 src0_sel:BYTE_3 src1_sel:DWORD
	v_cmp_ne_u16_sdwa s[30:31], v47, v35 src0_sel:BYTE_1 src1_sel:DWORD
	v_lshrrev_b32_e32 v50, 18, v46
	v_cndmask_b32_e64 v51, 0, -1, s[30:31]
	v_cndmask_b32_e64 v55, 0, -1, s[20:21]
	v_bfe_i32 v47, v46, 0, 1
	v_lshlrev_b16_e32 v51, 8, v51
	v_bfe_i32 v50, v50, 0, 1
	v_lshlrev_b16_e32 v55, 8, v55
	v_or_b32_sdwa v54, v47, v51 dst_sel:DWORD dst_unused:UNUSED_PAD src0_sel:BYTE_0 src1_sel:DWORD
	v_or_b32_sdwa v56, v50, v55 dst_sel:WORD_1 dst_unused:UNUSED_PAD src0_sel:BYTE_0 src1_sel:DWORD
	v_or_b32_sdwa v54, v54, v56 dst_sel:DWORD dst_unused:UNUSED_PAD src0_sel:WORD_0 src1_sel:DWORD
	v_lshlrev_b16_e32 v47, 8, v47
	v_lshlrev_b16_e32 v50, 8, v50
	s_waitcnt vmcnt(0)
	v_xor_b32_e32 v43, v43, v54
	v_and_b32_e32 v54, 0xffffff00, v43
	v_sub_i16 v51, v54, v51 clamp
	v_lshlrev_b16_e32 v54, 8, v43
	v_sub_i16 v47, v54, v47 clamp
	v_perm_b32 v47, v47, v51, s29
	v_and_b32_sdwa v51, v43, s28 dst_sel:DWORD dst_unused:UNUSED_PAD src0_sel:WORD_1 src1_sel:DWORD
	v_lshlrev_b16_sdwa v43, v39, v43 dst_sel:DWORD dst_unused:UNUSED_PAD src0_sel:DWORD src1_sel:WORD_1
	v_sub_i16 v51, v51, v55 clamp
	v_sub_i16 v43, v43, v50 clamp
	v_perm_b32 v43, v43, v51, s29
	v_lshl_or_b32 v43, v43, 16, v47
	v_and_b32_e32 v47, 0x80402010, v46
	v_cmp_ne_u16_sdwa s[20:21], v47, v35 src0_sel:BYTE_3 src1_sel:DWORD
	v_cmp_ne_u16_sdwa s[30:31], v47, v35 src0_sel:BYTE_1 src1_sel:DWORD
	v_lshrrev_b32_e32 v46, 22, v46
	v_lshrrev_b16_e32 v47, 4, v47
	v_cndmask_b32_e64 v50, 0, -1, s[30:31]
	v_cndmask_b32_e64 v54, 0, -1, s[20:21]
	v_bfe_i32 v47, v47, 0, 1
	v_lshlrev_b16_e32 v50, 8, v50
	v_bfe_i32 v46, v46, 0, 1
	v_lshlrev_b16_e32 v54, 8, v54
	v_or_b32_sdwa v51, v47, v50 dst_sel:DWORD dst_unused:UNUSED_PAD src0_sel:BYTE_0 src1_sel:DWORD
	v_or_b32_sdwa v55, v46, v54 dst_sel:WORD_1 dst_unused:UNUSED_PAD src0_sel:BYTE_0 src1_sel:DWORD
	v_or_b32_sdwa v51, v51, v55 dst_sel:DWORD dst_unused:UNUSED_PAD src0_sel:WORD_0 src1_sel:DWORD
	v_xor_b32_e32 v44, v44, v51
	v_and_b32_e32 v51, 0xffffff00, v44
	v_sub_i16 v50, v51, v50 clamp
	v_lshlrev_b16_e32 v51, 8, v44
	v_lshlrev_b16_e32 v47, 8, v47
	v_sub_i16 v47, v51, v47 clamp
	v_perm_b32 v47, v47, v50, s29
	v_and_b32_sdwa v50, v44, s28 dst_sel:DWORD dst_unused:UNUSED_PAD src0_sel:WORD_1 src1_sel:DWORD
	v_lshlrev_b16_sdwa v44, v39, v44 dst_sel:DWORD dst_unused:UNUSED_PAD src0_sel:DWORD src1_sel:WORD_1
	v_lshlrev_b16_e32 v46, 8, v46
	v_sub_i16 v50, v50, v54 clamp
	v_sub_i16 v44, v44, v46 clamp
	v_perm_b32 v44, v44, v50, s29
	v_lshl_or_b32 v44, v44, 16, v47
	v_dot4_i32_i8 v46, v43, v3, 0
	v_dot4_i32_i8 v50, v44, v4, v46
	v_lshrrev_b32_e32 v46, 13, v45
	v_and_b32_e32 v46, 0xff8, v46
	global_load_dwordx2 v[46:47], v46, s[16:17]
	v_lshrrev_b32_e32 v51, 25, v45
	v_bcnt_u32_b32 v51, v51, 0
	v_and_b32_e32 v51, 1, v51
	v_alignbit_b32 v45, v51, v45, 25
	v_mul_lo_u32 v51, v45, s23
	v_and_b32_e32 v45, 0x8040201, v51
	v_cmp_ne_u16_sdwa s[20:21], v45, v35 src0_sel:BYTE_3 src1_sel:DWORD
	v_cmp_ne_u16_sdwa s[30:31], v45, v35 src0_sel:BYTE_1 src1_sel:DWORD
	v_lshrrev_b32_e32 v54, 18, v51
	v_cndmask_b32_e64 v55, 0, -1, s[30:31]
	v_cndmask_b32_e64 v57, 0, -1, s[20:21]
	v_bfe_i32 v45, v51, 0, 1
	v_lshlrev_b16_e32 v55, 8, v55
	v_bfe_i32 v54, v54, 0, 1
	v_lshlrev_b16_e32 v57, 8, v57
	v_or_b32_sdwa v56, v45, v55 dst_sel:DWORD dst_unused:UNUSED_PAD src0_sel:BYTE_0 src1_sel:DWORD
	v_or_b32_sdwa v58, v54, v57 dst_sel:WORD_1 dst_unused:UNUSED_PAD src0_sel:BYTE_0 src1_sel:DWORD
	v_or_b32_sdwa v56, v56, v58 dst_sel:DWORD dst_unused:UNUSED_PAD src0_sel:WORD_0 src1_sel:DWORD
	v_lshlrev_b16_e32 v45, 8, v45
	v_lshlrev_b16_e32 v54, 8, v54
	s_waitcnt vmcnt(0)
	v_xor_b32_e32 v46, v46, v56
	v_and_b32_e32 v56, 0xffffff00, v46
	v_sub_i16 v55, v56, v55 clamp
	v_lshlrev_b16_e32 v56, 8, v46
	v_sub_i16 v45, v56, v45 clamp
	v_perm_b32 v45, v45, v55, s29
	v_and_b32_sdwa v55, v46, s28 dst_sel:DWORD dst_unused:UNUSED_PAD src0_sel:WORD_1 src1_sel:DWORD
	v_lshlrev_b16_sdwa v46, v39, v46 dst_sel:DWORD dst_unused:UNUSED_PAD src0_sel:DWORD src1_sel:WORD_1
	v_sub_i16 v55, v55, v57 clamp
	v_sub_i16 v46, v46, v54 clamp
	v_perm_b32 v46, v46, v55, s29
	v_lshl_or_b32 v45, v46, 16, v45
	v_and_b32_e32 v46, 0x80402010, v51
	v_cmp_ne_u16_sdwa s[20:21], v46, v35 src0_sel:BYTE_3 src1_sel:DWORD
	v_cmp_ne_u16_sdwa s[30:31], v46, v35 src0_sel:BYTE_1 src1_sel:DWORD
	v_lshrrev_b32_e32 v51, 22, v51
	v_lshrrev_b16_e32 v46, 4, v46
	v_cndmask_b32_e64 v54, 0, -1, s[30:31]
	v_cndmask_b32_e64 v56, 0, -1, s[20:21]
	v_bfe_i32 v46, v46, 0, 1
	v_lshlrev_b16_e32 v54, 8, v54
	v_bfe_i32 v51, v51, 0, 1
	v_lshlrev_b16_e32 v56, 8, v56
	v_or_b32_sdwa v55, v46, v54 dst_sel:DWORD dst_unused:UNUSED_PAD src0_sel:BYTE_0 src1_sel:DWORD
	v_or_b32_sdwa v57, v51, v56 dst_sel:WORD_1 dst_unused:UNUSED_PAD src0_sel:BYTE_0 src1_sel:DWORD
	v_or_b32_sdwa v55, v55, v57 dst_sel:DWORD dst_unused:UNUSED_PAD src0_sel:WORD_0 src1_sel:DWORD
	v_xor_b32_e32 v47, v47, v55
	v_and_b32_e32 v55, 0xffffff00, v47
	v_sub_i16 v54, v55, v54 clamp
	v_lshlrev_b16_e32 v55, 8, v47
	v_lshlrev_b16_e32 v46, 8, v46
	v_sub_i16 v46, v55, v46 clamp
	v_perm_b32 v46, v46, v54, s29
	v_and_b32_sdwa v54, v47, s28 dst_sel:DWORD dst_unused:UNUSED_PAD src0_sel:WORD_1 src1_sel:DWORD
	v_lshlrev_b16_sdwa v47, v39, v47 dst_sel:DWORD dst_unused:UNUSED_PAD src0_sel:DWORD src1_sel:WORD_1
	v_lshlrev_b16_e32 v51, 8, v51
	v_sub_i16 v54, v54, v56 clamp
	v_sub_i16 v47, v47, v51 clamp
	v_perm_b32 v47, v47, v54, s29
	v_lshl_or_b32 v46, v47, 16, v46
	v_dot4_i32_i8 v47, v45, v5, v50
	v_dot4_i32_i8 v50, v46, v52, v47
	v_lshrrev_b32_e32 v47, 4, v48
	v_and_b32_e32 v48, 15, v48
	v_mul_lo_u32 v51, v49, v48
	v_mul_lo_u32 v54, v50, v47
	v_add_u32_e32 v49, v50, v49
	v_lshrrev_b32_e32 v50, 31, v49
	v_add_u32_e32 v49, v49, v50
	v_ashrrev_i32_e32 v49, 1, v49
	v_add3_u32 v49, v54, v51, v49
	v_ashrrev_i32_e32 v50, 31, v49
	v_lshrrev_b32_e32 v50, 30, v50
	v_add_u32_e32 v49, v49, v50
	v_ashrrev_i32_e32 v50, 2, v49
	v_cvt_f32_f16_e32 v49, v16
	v_cvt_f32_i32_e32 v17, v50
	v_mul_f32_e32 v16, v49, v53
	v_fmac_f32_e32 v33, v16, v17
	v_add_u32_e32 v16, s0, v34
	v_mad_i64_i32 v[16:17], s[20:21], v16, s22, v[14:15]
	v_add_u32_e32 v34, 8, v34
	v_add_co_u32_e32 v50, vcc, v16, v38
	v_addc_co_u32_e32 v51, vcc, 0, v17, vcc
	global_load_dwordx2 v[54:55], v[50:51], off offset:2
	v_add_co_u32_e32 v50, vcc, v16, v36
	v_addc_co_u32_e32 v51, vcc, 0, v17, vcc
	global_load_ubyte v58, v[50:51], off offset:66
	v_add_co_u32_e32 v10, vcc, 0x900, v10
	global_load_ushort v16, v[16:17], off
	v_addc_co_u32_e32 v11, vcc, 0, v11, vcc
	v_cmp_le_u32_e32 vcc, s9, v34
	s_or_b64 s[12:13], vcc, s[12:13]
	s_waitcnt vmcnt(2)
	v_and_b32_e32 v50, 0x1ff, v54
	v_lshlrev_b32_e32 v50, 3, v50
	global_load_dwordx2 v[50:51], v50, s[16:17]
	v_bfe_u32 v56, v54, 9, 7
	v_bcnt_u32_b32 v57, v56, 0
	v_and_b32_e32 v57, 1, v57
	v_lshl_or_b32 v56, v57, 7, v56
	v_mul_lo_u32 v56, v56, s23
	s_waitcnt vmcnt(1)
	v_cvt_f32_f16_e32 v16, v16
	v_and_b32_e32 v57, 0x8040201, v56
	v_cmp_ne_u16_sdwa s[20:21], v57, v35 src0_sel:BYTE_3 src1_sel:DWORD
	v_cmp_ne_u16_sdwa s[30:31], v57, v35 src0_sel:BYTE_1 src1_sel:DWORD
	v_lshrrev_b32_e32 v59, 18, v56
	v_cndmask_b32_e64 v60, 0, -1, s[30:31]
	v_cndmask_b32_e64 v62, 0, -1, s[20:21]
	v_bfe_i32 v57, v56, 0, 1
	v_lshlrev_b16_e32 v60, 8, v60
	v_bfe_i32 v59, v59, 0, 1
	v_lshlrev_b16_e32 v62, 8, v62
	v_or_b32_sdwa v61, v57, v60 dst_sel:DWORD dst_unused:UNUSED_PAD src0_sel:BYTE_0 src1_sel:DWORD
	v_or_b32_sdwa v63, v59, v62 dst_sel:WORD_1 dst_unused:UNUSED_PAD src0_sel:BYTE_0 src1_sel:DWORD
	v_or_b32_sdwa v61, v61, v63 dst_sel:DWORD dst_unused:UNUSED_PAD src0_sel:WORD_0 src1_sel:DWORD
	v_lshlrev_b16_e32 v57, 8, v57
	v_lshlrev_b16_e32 v59, 8, v59
	v_mul_f32_e32 v17, v16, v53
	s_waitcnt vmcnt(0)
	v_xor_b32_e32 v50, v50, v61
	v_and_b32_e32 v61, 0xffffff00, v50
	v_sub_i16 v60, v61, v60 clamp
	v_lshlrev_b16_e32 v61, 8, v50
	v_sub_i16 v57, v61, v57 clamp
	v_perm_b32 v57, v57, v60, s29
	v_and_b32_sdwa v60, v50, s28 dst_sel:DWORD dst_unused:UNUSED_PAD src0_sel:WORD_1 src1_sel:DWORD
	v_lshlrev_b16_sdwa v50, v39, v50 dst_sel:DWORD dst_unused:UNUSED_PAD src0_sel:DWORD src1_sel:WORD_1
	v_sub_i16 v60, v60, v62 clamp
	v_sub_i16 v50, v50, v59 clamp
	v_perm_b32 v50, v50, v60, s29
	v_lshl_or_b32 v50, v50, 16, v57
	v_and_b32_e32 v57, 0x80402010, v56
	v_cmp_ne_u16_sdwa s[20:21], v57, v35 src0_sel:BYTE_3 src1_sel:DWORD
	v_cmp_ne_u16_sdwa s[30:31], v57, v35 src0_sel:BYTE_1 src1_sel:DWORD
	v_lshrrev_b32_e32 v56, 22, v56
	v_lshrrev_b16_e32 v57, 4, v57
	v_cndmask_b32_e64 v59, 0, -1, s[30:31]
	v_cndmask_b32_e64 v61, 0, -1, s[20:21]
	v_bfe_i32 v57, v57, 0, 1
	v_lshlrev_b16_e32 v59, 8, v59
	v_bfe_i32 v56, v56, 0, 1
	v_lshlrev_b16_e32 v61, 8, v61
	v_or_b32_sdwa v60, v57, v59 dst_sel:DWORD dst_unused:UNUSED_PAD src0_sel:BYTE_0 src1_sel:DWORD
	v_or_b32_sdwa v62, v56, v61 dst_sel:WORD_1 dst_unused:UNUSED_PAD src0_sel:BYTE_0 src1_sel:DWORD
	v_or_b32_sdwa v60, v60, v62 dst_sel:DWORD dst_unused:UNUSED_PAD src0_sel:WORD_0 src1_sel:DWORD
	v_xor_b32_e32 v51, v51, v60
	v_and_b32_e32 v60, 0xffffff00, v51
	v_sub_i16 v59, v60, v59 clamp
	v_lshlrev_b16_e32 v60, 8, v51
	v_lshlrev_b16_e32 v57, 8, v57
	v_sub_i16 v57, v60, v57 clamp
	v_perm_b32 v57, v57, v59, s29
	v_and_b32_sdwa v59, v51, s28 dst_sel:DWORD dst_unused:UNUSED_PAD src0_sel:WORD_1 src1_sel:DWORD
	v_lshlrev_b16_sdwa v51, v39, v51 dst_sel:DWORD dst_unused:UNUSED_PAD src0_sel:DWORD src1_sel:WORD_1
	v_lshlrev_b16_e32 v56, 8, v56
	v_sub_i16 v59, v59, v61 clamp
	v_sub_i16 v51, v51, v56 clamp
	v_perm_b32 v51, v51, v59, s29
	v_lshl_or_b32 v51, v51, 16, v57
	v_dot4_i32_i8 v7, v50, v7, 0
	v_dot4_i32_i8 v56, v51, v8, v7
	v_lshrrev_b32_e32 v7, 13, v54
	v_and_b32_e32 v7, 0xff8, v7
	global_load_dwordx2 v[7:8], v7, s[16:17]
	v_lshrrev_b32_e32 v57, 25, v54
	v_bcnt_u32_b32 v57, v57, 0
	v_and_b32_e32 v57, 1, v57
	v_alignbit_b32 v54, v57, v54, 25
	v_mul_lo_u32 v54, v54, s23
	v_and_b32_e32 v57, 0x8040201, v54
	v_cmp_ne_u16_sdwa s[20:21], v57, v35 src0_sel:BYTE_3 src1_sel:DWORD
	v_cmp_ne_u16_sdwa s[30:31], v57, v35 src0_sel:BYTE_1 src1_sel:DWORD
	v_lshrrev_b32_e32 v59, 18, v54
	v_cndmask_b32_e64 v60, 0, -1, s[30:31]
	v_cndmask_b32_e64 v62, 0, -1, s[20:21]
	v_bfe_i32 v57, v54, 0, 1
	v_lshlrev_b16_e32 v60, 8, v60
	v_bfe_i32 v59, v59, 0, 1
	v_lshlrev_b16_e32 v62, 8, v62
	v_or_b32_sdwa v61, v57, v60 dst_sel:DWORD dst_unused:UNUSED_PAD src0_sel:BYTE_0 src1_sel:DWORD
	v_or_b32_sdwa v63, v59, v62 dst_sel:WORD_1 dst_unused:UNUSED_PAD src0_sel:BYTE_0 src1_sel:DWORD
	v_or_b32_sdwa v61, v61, v63 dst_sel:DWORD dst_unused:UNUSED_PAD src0_sel:WORD_0 src1_sel:DWORD
	v_lshlrev_b16_e32 v57, 8, v57
	v_lshlrev_b16_e32 v59, 8, v59
	s_waitcnt vmcnt(0)
	v_xor_b32_e32 v7, v7, v61
	v_and_b32_e32 v61, 0xffffff00, v7
	v_sub_i16 v60, v61, v60 clamp
	v_lshlrev_b16_e32 v61, 8, v7
	v_sub_i16 v57, v61, v57 clamp
	v_perm_b32 v57, v57, v60, s29
	v_and_b32_sdwa v60, v7, s28 dst_sel:DWORD dst_unused:UNUSED_PAD src0_sel:WORD_1 src1_sel:DWORD
	v_lshlrev_b16_sdwa v7, v39, v7 dst_sel:DWORD dst_unused:UNUSED_PAD src0_sel:DWORD src1_sel:WORD_1
	v_sub_i16 v60, v60, v62 clamp
	v_sub_i16 v7, v7, v59 clamp
	v_perm_b32 v7, v7, v60, s29
	v_lshl_or_b32 v7, v7, 16, v57
	v_and_b32_e32 v57, 0x80402010, v54
	v_cmp_ne_u16_sdwa s[20:21], v57, v35 src0_sel:BYTE_3 src1_sel:DWORD
	v_cmp_ne_u16_sdwa s[30:31], v57, v35 src0_sel:BYTE_1 src1_sel:DWORD
	v_lshrrev_b32_e32 v54, 22, v54
	v_lshrrev_b16_e32 v57, 4, v57
	v_cndmask_b32_e64 v59, 0, -1, s[30:31]
	v_cndmask_b32_e64 v61, 0, -1, s[20:21]
	v_bfe_i32 v57, v57, 0, 1
	v_lshlrev_b16_e32 v59, 8, v59
	v_bfe_i32 v54, v54, 0, 1
	v_lshlrev_b16_e32 v61, 8, v61
	v_or_b32_sdwa v60, v57, v59 dst_sel:DWORD dst_unused:UNUSED_PAD src0_sel:BYTE_0 src1_sel:DWORD
	v_or_b32_sdwa v62, v54, v61 dst_sel:WORD_1 dst_unused:UNUSED_PAD src0_sel:BYTE_0 src1_sel:DWORD
	v_or_b32_sdwa v60, v60, v62 dst_sel:DWORD dst_unused:UNUSED_PAD src0_sel:WORD_0 src1_sel:DWORD
	v_xor_b32_e32 v8, v8, v60
	v_and_b32_e32 v60, 0xffffff00, v8
	v_sub_i16 v59, v60, v59 clamp
	v_lshlrev_b16_e32 v60, 8, v8
	v_lshlrev_b16_e32 v57, 8, v57
	v_sub_i16 v57, v60, v57 clamp
	v_perm_b32 v57, v57, v59, s29
	v_and_b32_sdwa v59, v8, s28 dst_sel:DWORD dst_unused:UNUSED_PAD src0_sel:WORD_1 src1_sel:DWORD
	v_lshlrev_b16_sdwa v8, v39, v8 dst_sel:DWORD dst_unused:UNUSED_PAD src0_sel:DWORD src1_sel:WORD_1
	v_lshlrev_b16_e32 v54, 8, v54
	v_sub_i16 v59, v59, v61 clamp
	v_sub_i16 v8, v8, v54 clamp
	v_perm_b32 v8, v8, v59, s29
	v_lshl_or_b32 v8, v8, 16, v57
	v_dot4_i32_i8 v9, v7, v9, v56
	v_dot4_i32_i8 v54, v8, v2, v9
	v_and_b32_e32 v2, 0x1ff, v55
	v_lshlrev_b32_e32 v2, 3, v2
	global_load_dwordx2 v[56:57], v2, s[16:17]
	v_bfe_u32 v2, v55, 9, 7
	v_bcnt_u32_b32 v9, v2, 0
	v_and_b32_e32 v9, 1, v9
	v_lshl_or_b32 v2, v9, 7, v2
	v_mul_lo_u32 v9, v2, s23
	v_and_b32_e32 v2, 0x8040201, v9
	v_cmp_ne_u16_sdwa s[20:21], v2, v35 src0_sel:BYTE_3 src1_sel:DWORD
	v_cmp_ne_u16_sdwa s[30:31], v2, v35 src0_sel:BYTE_1 src1_sel:DWORD
	v_lshrrev_b32_e32 v59, 18, v9
	v_cndmask_b32_e64 v60, 0, -1, s[30:31]
	v_cndmask_b32_e64 v62, 0, -1, s[20:21]
	v_bfe_i32 v2, v9, 0, 1
	v_lshlrev_b16_e32 v60, 8, v60
	v_bfe_i32 v59, v59, 0, 1
	v_lshlrev_b16_e32 v62, 8, v62
	v_or_b32_sdwa v61, v2, v60 dst_sel:DWORD dst_unused:UNUSED_PAD src0_sel:BYTE_0 src1_sel:DWORD
	v_or_b32_sdwa v63, v59, v62 dst_sel:WORD_1 dst_unused:UNUSED_PAD src0_sel:BYTE_0 src1_sel:DWORD
	v_or_b32_sdwa v61, v61, v63 dst_sel:DWORD dst_unused:UNUSED_PAD src0_sel:WORD_0 src1_sel:DWORD
	v_lshlrev_b16_e32 v2, 8, v2
	v_lshlrev_b16_e32 v59, 8, v59
	s_waitcnt vmcnt(0)
	v_xor_b32_e32 v56, v56, v61
	v_and_b32_e32 v61, 0xffffff00, v56
	v_sub_i16 v60, v61, v60 clamp
	v_lshlrev_b16_e32 v61, 8, v56
	v_sub_i16 v2, v61, v2 clamp
	v_perm_b32 v2, v2, v60, s29
	v_and_b32_sdwa v60, v56, s28 dst_sel:DWORD dst_unused:UNUSED_PAD src0_sel:WORD_1 src1_sel:DWORD
	v_lshlrev_b16_sdwa v56, v39, v56 dst_sel:DWORD dst_unused:UNUSED_PAD src0_sel:DWORD src1_sel:WORD_1
	v_sub_i16 v60, v60, v62 clamp
	v_sub_i16 v56, v56, v59 clamp
	v_perm_b32 v56, v56, v60, s29
	v_lshl_or_b32 v2, v56, 16, v2
	v_and_b32_e32 v56, 0x80402010, v9
	v_cmp_ne_u16_sdwa s[20:21], v56, v35 src0_sel:BYTE_3 src1_sel:DWORD
	v_cmp_ne_u16_sdwa s[30:31], v56, v35 src0_sel:BYTE_1 src1_sel:DWORD
	v_lshrrev_b32_e32 v9, 22, v9
	v_lshrrev_b16_e32 v56, 4, v56
	v_cndmask_b32_e64 v59, 0, -1, s[30:31]
	v_cndmask_b32_e64 v61, 0, -1, s[20:21]
	v_bfe_i32 v56, v56, 0, 1
	v_lshlrev_b16_e32 v59, 8, v59
	v_bfe_i32 v9, v9, 0, 1
	v_lshlrev_b16_e32 v61, 8, v61
	v_or_b32_sdwa v60, v56, v59 dst_sel:DWORD dst_unused:UNUSED_PAD src0_sel:BYTE_0 src1_sel:DWORD
	v_or_b32_sdwa v62, v9, v61 dst_sel:WORD_1 dst_unused:UNUSED_PAD src0_sel:BYTE_0 src1_sel:DWORD
	v_or_b32_sdwa v60, v60, v62 dst_sel:DWORD dst_unused:UNUSED_PAD src0_sel:WORD_0 src1_sel:DWORD
	v_xor_b32_e32 v57, v57, v60
	v_and_b32_e32 v60, 0xffffff00, v57
	v_sub_i16 v59, v60, v59 clamp
	v_lshlrev_b16_e32 v60, 8, v57
	v_lshlrev_b16_e32 v56, 8, v56
	v_sub_i16 v56, v60, v56 clamp
	v_perm_b32 v56, v56, v59, s29
	v_and_b32_sdwa v59, v57, s28 dst_sel:DWORD dst_unused:UNUSED_PAD src0_sel:WORD_1 src1_sel:DWORD
	v_lshlrev_b16_sdwa v57, v39, v57 dst_sel:DWORD dst_unused:UNUSED_PAD src0_sel:DWORD src1_sel:WORD_1
	v_lshlrev_b16_e32 v9, 8, v9
	v_sub_i16 v59, v59, v61 clamp
	v_sub_i16 v9, v57, v9 clamp
	v_perm_b32 v9, v9, v59, s29
	v_lshl_or_b32 v9, v9, 16, v56
	v_dot4_i32_i8 v3, v2, v3, 0
	v_dot4_i32_i8 v56, v9, v4, v3
	v_lshrrev_b32_e32 v3, 13, v55
	v_and_b32_e32 v3, 0xff8, v3
	global_load_dwordx2 v[3:4], v3, s[16:17]
	v_lshrrev_b32_e32 v57, 25, v55
	v_bcnt_u32_b32 v57, v57, 0
	v_and_b32_e32 v57, 1, v57
	v_alignbit_b32 v55, v57, v55, 25
	v_mul_lo_u32 v55, v55, s23
	v_and_b32_e32 v57, 0x8040201, v55
	v_cmp_ne_u16_sdwa s[16:17], v57, v35 src0_sel:BYTE_3 src1_sel:DWORD
	v_cmp_ne_u16_sdwa s[20:21], v57, v35 src0_sel:BYTE_1 src1_sel:DWORD
	v_lshrrev_b32_e32 v59, 18, v55
	v_cndmask_b32_e64 v60, 0, -1, s[20:21]
	v_cndmask_b32_e64 v62, 0, -1, s[16:17]
	v_bfe_i32 v57, v55, 0, 1
	v_lshlrev_b16_e32 v60, 8, v60
	v_bfe_i32 v59, v59, 0, 1
	v_lshlrev_b16_e32 v62, 8, v62
	v_or_b32_sdwa v61, v57, v60 dst_sel:DWORD dst_unused:UNUSED_PAD src0_sel:BYTE_0 src1_sel:DWORD
	v_or_b32_sdwa v63, v59, v62 dst_sel:WORD_1 dst_unused:UNUSED_PAD src0_sel:BYTE_0 src1_sel:DWORD
	v_or_b32_sdwa v61, v61, v63 dst_sel:DWORD dst_unused:UNUSED_PAD src0_sel:WORD_0 src1_sel:DWORD
	v_lshlrev_b16_e32 v57, 8, v57
	v_lshlrev_b16_e32 v59, 8, v59
	s_waitcnt vmcnt(0)
	v_xor_b32_e32 v3, v3, v61
	v_and_b32_e32 v61, 0xffffff00, v3
	v_sub_i16 v60, v61, v60 clamp
	v_lshlrev_b16_e32 v61, 8, v3
	v_sub_i16 v57, v61, v57 clamp
	v_perm_b32 v57, v57, v60, s29
	v_and_b32_sdwa v60, v3, s28 dst_sel:DWORD dst_unused:UNUSED_PAD src0_sel:WORD_1 src1_sel:DWORD
	v_lshlrev_b16_sdwa v3, v39, v3 dst_sel:DWORD dst_unused:UNUSED_PAD src0_sel:DWORD src1_sel:WORD_1
	v_sub_i16 v60, v60, v62 clamp
	v_sub_i16 v3, v3, v59 clamp
	v_perm_b32 v3, v3, v60, s29
	v_lshl_or_b32 v3, v3, 16, v57
	v_and_b32_e32 v57, 0x80402010, v55
	v_cmp_ne_u16_sdwa s[16:17], v57, v35 src0_sel:BYTE_3 src1_sel:DWORD
	v_cmp_ne_u16_sdwa s[20:21], v57, v35 src0_sel:BYTE_1 src1_sel:DWORD
	v_lshrrev_b32_e32 v55, 22, v55
	v_lshrrev_b16_e32 v57, 4, v57
	v_cndmask_b32_e64 v59, 0, -1, s[20:21]
	v_cndmask_b32_e64 v61, 0, -1, s[16:17]
	v_bfe_i32 v57, v57, 0, 1
	v_lshlrev_b16_e32 v59, 8, v59
	v_bfe_i32 v55, v55, 0, 1
	v_lshlrev_b16_e32 v61, 8, v61
	v_or_b32_sdwa v60, v57, v59 dst_sel:DWORD dst_unused:UNUSED_PAD src0_sel:BYTE_0 src1_sel:DWORD
	v_or_b32_sdwa v62, v55, v61 dst_sel:WORD_1 dst_unused:UNUSED_PAD src0_sel:BYTE_0 src1_sel:DWORD
	v_or_b32_sdwa v60, v60, v62 dst_sel:DWORD dst_unused:UNUSED_PAD src0_sel:WORD_0 src1_sel:DWORD
	v_xor_b32_e32 v4, v4, v60
	v_and_b32_e32 v60, 0xffffff00, v4
	v_sub_i16 v59, v60, v59 clamp
	v_lshlrev_b16_e32 v60, 8, v4
	v_lshlrev_b16_e32 v57, 8, v57
	v_sub_i16 v57, v60, v57 clamp
	v_perm_b32 v57, v57, v59, s29
	v_and_b32_sdwa v59, v4, s28 dst_sel:DWORD dst_unused:UNUSED_PAD src0_sel:WORD_1 src1_sel:DWORD
	v_lshlrev_b16_sdwa v4, v39, v4 dst_sel:DWORD dst_unused:UNUSED_PAD src0_sel:DWORD src1_sel:WORD_1
	v_lshlrev_b16_e32 v55, 8, v55
	v_sub_i16 v59, v59, v61 clamp
	v_sub_i16 v4, v4, v55 clamp
	v_perm_b32 v4, v4, v59, s29
	v_lshl_or_b32 v4, v4, 16, v57
	v_dot4_i32_i8 v5, v3, v5, v56
	v_dot4_i32_i8 v55, v4, v52, v5
	v_lshrrev_b32_e32 v5, 4, v58
	v_and_b32_e32 v52, 15, v58
	v_mul_lo_u32 v56, v54, v52
	v_mul_lo_u32 v57, v55, v5
	v_add_u32_e32 v54, v55, v54
	v_lshrrev_b32_e32 v55, 31, v54
	v_add_u32_e32 v54, v54, v55
	v_ashrrev_i32_e32 v54, 1, v54
	v_add3_u32 v54, v57, v56, v54
	v_ashrrev_i32_e32 v55, 31, v54
	v_lshrrev_b32_e32 v55, 30, v55
	v_add_u32_e32 v54, v54, v55
	v_ashrrev_i32_e32 v54, 2, v54
	v_cvt_f32_i32_e32 v53, v54
	v_fmac_f32_e32 v32, v17, v53
	v_add_u32_e32 v17, s1, v37
	v_mad_u64_u32 v[61:62], s[16:17], v17, 36, v[12:13]
	global_load_dword v17, v[61:62], off offset:32
	global_load_dwordx4 v[53:56], v[61:62], off offset:16
	global_load_dwordx4 v[57:60], v[61:62], off
	s_waitcnt vmcnt(1)
	v_dot4_i32_i8 v62, v43, v54, 0
	s_waitcnt vmcnt(0)
	v_dot4_i32_i8 v61, v6, v58, 0
	v_dot4_i32_i8 v58, v50, v58, 0
	v_dot4_i32_i8 v54, v2, v54, 0
	v_dot4_i32_i8 v61, v40, v59, v61
	v_dot4_i32_i8 v62, v44, v55, v62
	v_dot4_i32_i8 v58, v51, v59, v58
	v_dot4_i32_i8 v54, v9, v55, v54
	v_dot4_i32_i8 v61, v41, v60, v61
	v_dot4_i32_i8 v62, v45, v56, v62
	v_dot4_i32_i8 v58, v7, v60, v58
	v_dot4_i32_i8 v54, v3, v56, v54
	v_dot4_i32_i8 v61, v42, v53, v61
	v_dot4_i32_i8 v62, v46, v17, v62
	v_dot4_i32_i8 v53, v8, v53, v58
	v_dot4_i32_i8 v17, v4, v17, v54
	v_mul_lo_u32 v54, v53, v52
	v_mul_lo_u32 v55, v17, v5
	v_add_u32_e32 v17, v17, v53
	v_mul_lo_u32 v63, v61, v48
	v_mul_lo_u32 v64, v62, v47
	v_add_u32_e32 v61, v62, v61
	v_lshrrev_b32_e32 v53, 31, v17
	v_lshrrev_b32_e32 v62, 31, v61
	v_add_u32_e32 v17, v17, v53
	v_add_u32_e32 v61, v61, v62
	v_ashrrev_i32_e32 v17, 1, v17
	v_ashrrev_i32_e32 v61, 1, v61
	v_add3_u32 v17, v55, v54, v17
	v_add3_u32 v61, v64, v63, v61
	v_ashrrev_i32_e32 v53, 31, v17
	v_ashrrev_i32_e32 v62, 31, v61
	v_lshrrev_b32_e32 v53, 30, v53
	v_lshrrev_b32_e32 v62, 30, v62
	v_add_u32_e32 v17, v17, v53
	v_cvt_f32_f16_e32 v57, v57
	v_add_u32_e32 v61, v61, v62
	v_ashrrev_i32_e32 v17, 2, v17
	v_ashrrev_i32_e32 v61, 2, v61
	v_cvt_f32_i32_e32 v17, v17
	v_cvt_f32_i32_e32 v61, v61
	v_mul_f32_e32 v53, v16, v57
	v_mul_f32_e32 v62, v49, v57
	v_fmac_f32_e32 v30, v53, v17
	v_add_u32_e32 v17, s3, v37
	v_fmac_f32_e32 v31, v62, v61
	v_mad_u64_u32 v[61:62], s[16:17], v17, 36, v[12:13]
	global_load_dword v17, v[61:62], off offset:32
	global_load_dwordx4 v[53:56], v[61:62], off offset:16
	global_load_dwordx4 v[57:60], v[61:62], off
	s_waitcnt vmcnt(1)
	v_dot4_i32_i8 v62, v43, v54, 0
	s_waitcnt vmcnt(0)
	v_dot4_i32_i8 v61, v6, v58, 0
	v_dot4_i32_i8 v58, v50, v58, 0
	v_dot4_i32_i8 v54, v2, v54, 0
	v_dot4_i32_i8 v61, v40, v59, v61
	v_dot4_i32_i8 v62, v44, v55, v62
	v_dot4_i32_i8 v58, v51, v59, v58
	v_dot4_i32_i8 v54, v9, v55, v54
	v_dot4_i32_i8 v61, v41, v60, v61
	v_dot4_i32_i8 v62, v45, v56, v62
	v_dot4_i32_i8 v58, v7, v60, v58
	v_dot4_i32_i8 v54, v3, v56, v54
	v_dot4_i32_i8 v61, v42, v53, v61
	v_dot4_i32_i8 v62, v46, v17, v62
	v_dot4_i32_i8 v53, v8, v53, v58
	v_dot4_i32_i8 v17, v4, v17, v54
	v_mul_lo_u32 v54, v53, v52
	v_mul_lo_u32 v55, v17, v5
	v_add_u32_e32 v17, v17, v53
	v_mul_lo_u32 v63, v61, v48
	v_mul_lo_u32 v64, v62, v47
	v_add_u32_e32 v61, v62, v61
	v_lshrrev_b32_e32 v53, 31, v17
	v_lshrrev_b32_e32 v62, 31, v61
	v_add_u32_e32 v17, v17, v53
	v_add_u32_e32 v61, v61, v62
	v_ashrrev_i32_e32 v17, 1, v17
	v_ashrrev_i32_e32 v61, 1, v61
	v_add3_u32 v17, v55, v54, v17
	v_add3_u32 v61, v64, v63, v61
	v_ashrrev_i32_e32 v53, 31, v17
	v_ashrrev_i32_e32 v62, 31, v61
	v_lshrrev_b32_e32 v53, 30, v53
	v_lshrrev_b32_e32 v62, 30, v62
	v_add_u32_e32 v17, v17, v53
	v_cvt_f32_f16_e32 v57, v57
	v_add_u32_e32 v61, v61, v62
	v_ashrrev_i32_e32 v17, 2, v17
	v_ashrrev_i32_e32 v61, 2, v61
	v_cvt_f32_i32_e32 v17, v17
	v_cvt_f32_i32_e32 v61, v61
	v_mul_f32_e32 v53, v16, v57
	v_mul_f32_e32 v62, v49, v57
	v_fmac_f32_e32 v28, v53, v17
	v_add_u32_e32 v17, s15, v37
	v_fmac_f32_e32 v29, v62, v61
	;; [unrolled: 52-line block ×6, first 2 shown]
	v_mad_u64_u32 v[61:62], s[16:17], v17, 36, v[12:13]
	global_load_dword v63, v[61:62], off offset:32
	global_load_dwordx4 v[53:56], v[61:62], off offset:16
	global_load_dwordx4 v[57:60], v[61:62], off
	v_add_u32_e32 v37, 64, v37
	s_waitcnt vmcnt(1)
	v_dot4_i32_i8 v2, v2, v54, 0
	s_waitcnt vmcnt(0)
	v_dot4_i32_i8 v6, v6, v58, 0
	v_dot4_i32_i8 v6, v40, v59, v6
	;; [unrolled: 1-line block ×8, first 2 shown]
	v_mul_lo_u32 v41, v6, v48
	v_mul_lo_u32 v42, v40, v47
	v_add_u32_e32 v6, v40, v6
	v_lshrrev_b32_e32 v40, 31, v6
	v_add_u32_e32 v6, v6, v40
	v_ashrrev_i32_e32 v6, 1, v6
	v_add3_u32 v6, v42, v41, v6
	v_ashrrev_i32_e32 v40, 31, v6
	v_lshrrev_b32_e32 v40, 30, v40
	v_add_u32_e32 v6, v6, v40
	v_cvt_f32_f16_e32 v17, v57
	v_ashrrev_i32_e32 v6, 2, v6
	v_cvt_f32_i32_e32 v6, v6
	v_dot4_i32_i8 v2, v9, v55, v2
	v_mul_f32_e32 v40, v49, v17
	v_dot4_i32_i8 v2, v3, v56, v2
	v_fmac_f32_e32 v19, v40, v6
	v_dot4_i32_i8 v6, v50, v58, 0
	v_dot4_i32_i8 v6, v51, v59, v6
	;; [unrolled: 1-line block ×5, first 2 shown]
	v_mul_lo_u32 v3, v6, v52
	v_mul_lo_u32 v4, v2, v5
	v_add_u32_e32 v2, v2, v6
	v_lshrrev_b32_e32 v5, 31, v2
	v_add_u32_e32 v2, v2, v5
	v_ashrrev_i32_e32 v2, 1, v2
	v_add3_u32 v2, v4, v3, v2
	v_ashrrev_i32_e32 v3, 31, v2
	v_lshrrev_b32_e32 v3, 30, v3
	v_add_u32_e32 v2, v2, v3
	v_ashrrev_i32_e32 v2, 2, v2
	v_cvt_f32_i32_e32 v2, v2
	v_mul_f32_e32 v3, v16, v17
	v_fmac_f32_e32 v18, v3, v2
	s_andn2_b64 exec, exec, s[12:13]
	s_cbranch_execnz .LBB179_2
; %bb.3:
	s_or_b64 exec, exec, s[12:13]
.LBB179_4:
	s_or_b64 exec, exec, s[10:11]
	s_mov_b32 s1, 0
	v_cmp_eq_u32_e32 vcc, 0, v1
	; wave barrier
	s_and_saveexec_b64 s[10:11], vcc
	s_cbranch_execz .LBB179_21
; %bb.5:
	v_mbcnt_lo_u32_b32 v1, -1, 0
	v_mbcnt_hi_u32_b32 v6, -1, v1
	v_and_b32_e32 v1, 64, v6
	v_add_u32_e32 v7, 64, v1
	v_xor_b32_e32 v1, 32, v6
	v_cmp_lt_i32_e32 vcc, v1, v7
	v_cndmask_b32_e32 v1, v6, v1, vcc
	v_lshlrev_b32_e32 v1, 2, v1
	ds_bpermute_b32 v5, v1, v33
	ds_bpermute_b32 v8, v1, v32
	v_xor_b32_e32 v2, 16, v6
	v_cmp_lt_i32_e32 vcc, v2, v7
	v_cndmask_b32_e32 v2, v6, v2, vcc
	v_lshlrev_b32_e32 v2, 2, v2
	s_waitcnt lgkmcnt(1)
	v_add_f32_e32 v5, v33, v5
	s_waitcnt lgkmcnt(0)
	v_add_f32_e32 v8, v32, v8
	ds_bpermute_b32 v10, v2, v5
	ds_bpermute_b32 v11, v2, v8
	v_xor_b32_e32 v3, 8, v6
	v_cmp_lt_i32_e32 vcc, v3, v7
	v_cndmask_b32_e32 v3, v6, v3, vcc
	v_lshlrev_b32_e32 v3, 2, v3
	s_waitcnt lgkmcnt(1)
	v_add_f32_e32 v10, v5, v10
	s_waitcnt lgkmcnt(0)
	v_add_f32_e32 v8, v8, v11
	;; [unrolled: 10-line block ×3, first 2 shown]
	ds_bpermute_b32 v12, v4, v10
	ds_bpermute_b32 v11, v4, v8
	v_xor_b32_e32 v9, 2, v6
	v_cmp_lt_i32_e32 vcc, v9, v7
	v_cndmask_b32_e32 v9, v6, v9, vcc
	v_lshlrev_b32_e32 v5, 2, v9
	v_xor_b32_e32 v9, 1, v6
	v_cmp_lt_i32_e32 vcc, v9, v7
	s_waitcnt lgkmcnt(1)
	v_add_f32_e32 v7, v10, v12
	s_waitcnt lgkmcnt(0)
	v_add_f32_e32 v10, v8, v11
	v_cndmask_b32_e32 v6, v6, v9, vcc
	ds_bpermute_b32 v9, v5, v7
	ds_bpermute_b32 v11, v5, v10
	s_load_dwordx2 s[4:5], s[4:5], 0x38
	s_mul_i32 s3, s14, s7
	v_lshlrev_b32_e32 v8, 2, v6
	s_waitcnt lgkmcnt(0)
	v_add_f32_e32 v6, v7, v9
	v_add_f32_e32 v9, v10, v11
	s_mul_i32 s0, s18, s8
	s_add_i32 s3, s3, s6
	ds_bpermute_b32 v7, v8, v6
	ds_bpermute_b32 v10, v8, v9
	s_add_i32 s0, s3, s0
	s_lshl_b64 s[0:1], s[0:1], 2
	s_add_u32 s4, s4, s0
	v_add_u32_e32 v11, s6, v0
	s_addc_u32 s5, s5, s1
	v_cmp_gt_u32_e32 vcc, 2, v0
	v_cmp_gt_u32_e64 s[0:1], s2, v11
	s_and_b64 s[0:1], vcc, s[0:1]
	s_waitcnt lgkmcnt(1)
	v_add_f32_e32 v6, v6, v7
	s_waitcnt lgkmcnt(0)
	v_add_f32_e32 v7, v9, v10
	s_and_saveexec_b64 s[6:7], s[0:1]
	s_cbranch_execz .LBB179_7
; %bb.6:
	v_cmp_eq_u32_e32 vcc, 1, v0
	v_cndmask_b32_e32 v9, v6, v7, vcc
	v_cmp_eq_u32_e32 vcc, 2, v0
	v_cndmask_b32_e32 v9, v9, v31, vcc
	;; [unrolled: 2-line block ×15, first 2 shown]
	v_lshlrev_b32_e32 v10, 2, v0
	global_store_dword v10, v9, s[4:5]
.LBB179_7:
	s_or_b64 exec, exec, s[6:7]
	ds_bpermute_b32 v9, v1, v31
	ds_bpermute_b32 v10, v1, v30
	s_waitcnt lgkmcnt(1)
	v_add_f32_e32 v9, v31, v9
	s_waitcnt lgkmcnt(0)
	v_add_f32_e32 v10, v30, v10
	ds_bpermute_b32 v11, v2, v9
	ds_bpermute_b32 v12, v2, v10
	s_waitcnt lgkmcnt(1)
	v_add_f32_e32 v9, v9, v11
	s_waitcnt lgkmcnt(0)
	v_add_f32_e32 v10, v10, v12
	;; [unrolled: 6-line block ×6, first 2 shown]
	s_and_saveexec_b64 s[6:7], s[0:1]
	s_cbranch_execz .LBB179_9
; %bb.8:
	v_add_u32_e32 v11, 2, v0
	v_cmp_eq_u32_e32 vcc, 1, v11
	v_cndmask_b32_e32 v12, v6, v7, vcc
	v_cmp_eq_u32_e32 vcc, 2, v11
	v_cndmask_b32_e32 v12, v12, v10, vcc
	;; [unrolled: 2-line block ×15, first 2 shown]
	v_add_u32_e32 v11, s2, v0
	v_mov_b32_e32 v12, 0
	v_lshlrev_b64 v[11:12], 2, v[11:12]
	v_mov_b32_e32 v14, s5
	v_add_co_u32_e32 v11, vcc, s4, v11
	v_addc_co_u32_e32 v12, vcc, v14, v12, vcc
	global_store_dword v[11:12], v13, off
.LBB179_9:
	s_or_b64 exec, exec, s[6:7]
	ds_bpermute_b32 v11, v1, v29
	ds_bpermute_b32 v12, v1, v28
	s_waitcnt lgkmcnt(1)
	v_add_f32_e32 v11, v29, v11
	s_waitcnt lgkmcnt(0)
	v_add_f32_e32 v12, v28, v12
	ds_bpermute_b32 v13, v2, v11
	ds_bpermute_b32 v14, v2, v12
	s_waitcnt lgkmcnt(1)
	v_add_f32_e32 v11, v11, v13
	s_waitcnt lgkmcnt(0)
	v_add_f32_e32 v12, v12, v14
	;; [unrolled: 6-line block ×6, first 2 shown]
	s_and_saveexec_b64 s[6:7], s[0:1]
	s_cbranch_execz .LBB179_11
; %bb.10:
	v_add_u32_e32 v13, 4, v0
	v_cmp_eq_u32_e32 vcc, 1, v13
	v_cndmask_b32_e32 v14, v6, v7, vcc
	v_cmp_eq_u32_e32 vcc, 2, v13
	v_cndmask_b32_e32 v14, v14, v10, vcc
	;; [unrolled: 2-line block ×15, first 2 shown]
	v_lshl_or_b32 v13, s2, 1, v0
	v_mov_b32_e32 v14, 0
	v_lshlrev_b64 v[13:14], 2, v[13:14]
	v_mov_b32_e32 v16, s5
	v_add_co_u32_e32 v13, vcc, s4, v13
	v_addc_co_u32_e32 v14, vcc, v16, v14, vcc
	global_store_dword v[13:14], v15, off
.LBB179_11:
	s_or_b64 exec, exec, s[6:7]
	ds_bpermute_b32 v13, v1, v27
	ds_bpermute_b32 v14, v1, v26
	s_waitcnt lgkmcnt(1)
	v_add_f32_e32 v13, v27, v13
	s_waitcnt lgkmcnt(0)
	v_add_f32_e32 v14, v26, v14
	ds_bpermute_b32 v15, v2, v13
	ds_bpermute_b32 v16, v2, v14
	s_waitcnt lgkmcnt(1)
	v_add_f32_e32 v13, v13, v15
	s_waitcnt lgkmcnt(0)
	v_add_f32_e32 v14, v14, v16
	;; [unrolled: 6-line block ×6, first 2 shown]
	s_and_saveexec_b64 s[6:7], s[0:1]
	s_cbranch_execz .LBB179_13
; %bb.12:
	v_add_u32_e32 v17, 6, v0
	v_cmp_eq_u32_e32 vcc, 1, v17
	v_cndmask_b32_e32 v15, v6, v7, vcc
	v_cmp_eq_u32_e32 vcc, 2, v17
	v_cndmask_b32_e32 v15, v15, v10, vcc
	v_cmp_eq_u32_e32 vcc, 3, v17
	v_cndmask_b32_e32 v15, v15, v9, vcc
	v_cmp_eq_u32_e32 vcc, 4, v17
	v_cndmask_b32_e32 v15, v15, v12, vcc
	v_cmp_eq_u32_e32 vcc, 5, v17
	v_cndmask_b32_e32 v15, v15, v11, vcc
	v_cmp_eq_u32_e32 vcc, 6, v17
	v_cndmask_b32_e32 v15, v15, v14, vcc
	v_cmp_eq_u32_e32 vcc, 7, v17
	v_cndmask_b32_e32 v15, v15, v13, vcc
	v_cmp_eq_u32_e32 vcc, 8, v17
	v_cndmask_b32_e32 v15, v15, v25, vcc
	v_cmp_eq_u32_e32 vcc, 9, v17
	v_cndmask_b32_e32 v15, v15, v24, vcc
	v_cmp_eq_u32_e32 vcc, 10, v17
	v_cndmask_b32_e32 v15, v15, v23, vcc
	v_cmp_eq_u32_e32 vcc, 11, v17
	v_cndmask_b32_e32 v15, v15, v22, vcc
	v_cmp_eq_u32_e32 vcc, 12, v17
	v_cndmask_b32_e32 v15, v15, v21, vcc
	v_cmp_eq_u32_e32 vcc, 13, v17
	v_cndmask_b32_e32 v15, v15, v20, vcc
	v_cmp_eq_u32_e32 vcc, 14, v17
	v_cndmask_b32_e32 v26, v15, v19, vcc
	v_mad_u64_u32 v[15:16], s[8:9], s2, 3, v[0:1]
	v_mov_b32_e32 v16, 0
	v_cmp_eq_u32_e32 vcc, 15, v17
	v_lshlrev_b64 v[15:16], 2, v[15:16]
	v_cndmask_b32_e32 v17, v26, v18, vcc
	v_mov_b32_e32 v26, s5
	v_add_co_u32_e32 v15, vcc, s4, v15
	v_addc_co_u32_e32 v16, vcc, v26, v16, vcc
	global_store_dword v[15:16], v17, off
.LBB179_13:
	s_or_b64 exec, exec, s[6:7]
	ds_bpermute_b32 v15, v1, v25
	ds_bpermute_b32 v16, v1, v24
	s_waitcnt lgkmcnt(1)
	v_add_f32_e32 v15, v25, v15
	s_waitcnt lgkmcnt(0)
	v_add_f32_e32 v16, v24, v16
	ds_bpermute_b32 v17, v2, v15
	ds_bpermute_b32 v24, v2, v16
	s_waitcnt lgkmcnt(1)
	v_add_f32_e32 v15, v15, v17
	s_waitcnt lgkmcnt(0)
	v_add_f32_e32 v16, v16, v24
	ds_bpermute_b32 v17, v3, v15
	ds_bpermute_b32 v24, v3, v16
	s_waitcnt lgkmcnt(1)
	v_add_f32_e32 v15, v15, v17
	s_waitcnt lgkmcnt(0)
	v_add_f32_e32 v16, v16, v24
	ds_bpermute_b32 v17, v4, v15
	ds_bpermute_b32 v24, v4, v16
	s_waitcnt lgkmcnt(1)
	v_add_f32_e32 v15, v15, v17
	s_waitcnt lgkmcnt(0)
	v_add_f32_e32 v16, v16, v24
	ds_bpermute_b32 v17, v5, v15
	ds_bpermute_b32 v24, v5, v16
	s_waitcnt lgkmcnt(1)
	v_add_f32_e32 v15, v15, v17
	s_waitcnt lgkmcnt(0)
	v_add_f32_e32 v17, v16, v24
	ds_bpermute_b32 v16, v8, v15
	ds_bpermute_b32 v24, v8, v17
	s_waitcnt lgkmcnt(1)
	v_add_f32_e32 v16, v15, v16
	s_waitcnt lgkmcnt(0)
	v_add_f32_e32 v15, v17, v24
	s_and_saveexec_b64 s[6:7], s[0:1]
	s_cbranch_execz .LBB179_15
; %bb.14:
	v_add_u32_e32 v17, 8, v0
	v_cmp_eq_u32_e32 vcc, 1, v17
	v_cndmask_b32_e32 v24, v6, v7, vcc
	v_cmp_eq_u32_e32 vcc, 2, v17
	v_cndmask_b32_e32 v24, v24, v10, vcc
	;; [unrolled: 2-line block ×15, first 2 shown]
	v_lshl_or_b32 v24, s2, 2, v0
	v_mov_b32_e32 v25, 0
	v_lshlrev_b64 v[24:25], 2, v[24:25]
	v_mov_b32_e32 v26, s5
	v_add_co_u32_e32 v24, vcc, s4, v24
	v_addc_co_u32_e32 v25, vcc, v26, v25, vcc
	global_store_dword v[24:25], v17, off
.LBB179_15:
	s_or_b64 exec, exec, s[6:7]
	ds_bpermute_b32 v17, v1, v23
	ds_bpermute_b32 v24, v1, v22
	s_waitcnt lgkmcnt(1)
	v_add_f32_e32 v17, v23, v17
	s_waitcnt lgkmcnt(0)
	v_add_f32_e32 v22, v22, v24
	ds_bpermute_b32 v23, v2, v17
	ds_bpermute_b32 v24, v2, v22
	s_waitcnt lgkmcnt(1)
	v_add_f32_e32 v17, v17, v23
	s_waitcnt lgkmcnt(0)
	v_add_f32_e32 v22, v22, v24
	;; [unrolled: 6-line block ×6, first 2 shown]
	s_and_saveexec_b64 s[6:7], s[0:1]
	s_cbranch_execz .LBB179_17
; %bb.16:
	v_add_u32_e32 v25, 10, v0
	v_cmp_eq_u32_e32 vcc, 1, v25
	v_cndmask_b32_e32 v23, v6, v7, vcc
	v_cmp_eq_u32_e32 vcc, 2, v25
	v_cndmask_b32_e32 v23, v23, v10, vcc
	;; [unrolled: 2-line block ×14, first 2 shown]
	v_mad_u64_u32 v[23:24], s[8:9], s2, 5, v[0:1]
	v_mov_b32_e32 v24, 0
	v_cmp_eq_u32_e32 vcc, 15, v25
	v_lshlrev_b64 v[23:24], 2, v[23:24]
	v_cndmask_b32_e32 v25, v26, v18, vcc
	v_mov_b32_e32 v26, s5
	v_add_co_u32_e32 v23, vcc, s4, v23
	v_addc_co_u32_e32 v24, vcc, v26, v24, vcc
	global_store_dword v[23:24], v25, off
.LBB179_17:
	s_or_b64 exec, exec, s[6:7]
	ds_bpermute_b32 v23, v1, v21
	ds_bpermute_b32 v24, v1, v20
	s_waitcnt lgkmcnt(1)
	v_add_f32_e32 v21, v21, v23
	s_waitcnt lgkmcnt(0)
	v_add_f32_e32 v20, v20, v24
	ds_bpermute_b32 v23, v2, v21
	ds_bpermute_b32 v24, v2, v20
	s_waitcnt lgkmcnt(1)
	v_add_f32_e32 v21, v21, v23
	s_waitcnt lgkmcnt(0)
	v_add_f32_e32 v20, v20, v24
	;; [unrolled: 6-line block ×6, first 2 shown]
	s_and_saveexec_b64 s[6:7], s[0:1]
	s_cbranch_execz .LBB179_19
; %bb.18:
	v_add_u32_e32 v23, 12, v0
	v_cmp_eq_u32_e32 vcc, 1, v23
	v_cndmask_b32_e32 v24, v6, v7, vcc
	v_cmp_eq_u32_e32 vcc, 2, v23
	v_cndmask_b32_e32 v24, v24, v10, vcc
	;; [unrolled: 2-line block ×14, first 2 shown]
	v_cmp_eq_u32_e32 vcc, 15, v23
	s_mul_i32 s3, s2, 6
	v_cndmask_b32_e32 v25, v24, v18, vcc
	v_or_b32_e32 v23, s3, v0
	v_mov_b32_e32 v24, 0
	v_lshlrev_b64 v[23:24], 2, v[23:24]
	v_mov_b32_e32 v26, s5
	v_add_co_u32_e32 v23, vcc, s4, v23
	v_addc_co_u32_e32 v24, vcc, v26, v24, vcc
	global_store_dword v[23:24], v25, off
.LBB179_19:
	s_or_b64 exec, exec, s[6:7]
	ds_bpermute_b32 v23, v1, v19
	ds_bpermute_b32 v1, v1, v18
	s_waitcnt lgkmcnt(1)
	v_add_f32_e32 v19, v19, v23
	s_waitcnt lgkmcnt(0)
	v_add_f32_e32 v1, v18, v1
	ds_bpermute_b32 v18, v2, v19
	ds_bpermute_b32 v2, v2, v1
	s_waitcnt lgkmcnt(1)
	v_add_f32_e32 v18, v19, v18
	s_waitcnt lgkmcnt(0)
	v_add_f32_e32 v1, v1, v2
	ds_bpermute_b32 v2, v3, v18
	ds_bpermute_b32 v3, v3, v1
	s_waitcnt lgkmcnt(1)
	v_add_f32_e32 v2, v18, v2
	s_waitcnt lgkmcnt(0)
	v_add_f32_e32 v1, v1, v3
	ds_bpermute_b32 v3, v4, v2
	ds_bpermute_b32 v4, v4, v1
	s_waitcnt lgkmcnt(1)
	v_add_f32_e32 v2, v2, v3
	s_waitcnt lgkmcnt(0)
	v_add_f32_e32 v3, v1, v4
	ds_bpermute_b32 v1, v5, v2
	ds_bpermute_b32 v4, v5, v3
	s_waitcnt lgkmcnt(1)
	v_add_f32_e32 v1, v2, v1
	s_waitcnt lgkmcnt(0)
	v_add_f32_e32 v2, v3, v4
	ds_bpermute_b32 v3, v8, v1
	ds_bpermute_b32 v4, v8, v2
	s_and_b64 exec, exec, s[0:1]
	s_cbranch_execz .LBB179_21
; %bb.20:
	s_waitcnt lgkmcnt(1)
	v_add_f32_e32 v1, v1, v3
	v_add_u32_e32 v3, 14, v0
	v_cmp_eq_u32_e32 vcc, 1, v3
	s_waitcnt lgkmcnt(0)
	v_add_f32_e32 v2, v2, v4
	v_cndmask_b32_e32 v4, v6, v7, vcc
	v_cmp_eq_u32_e32 vcc, 2, v3
	v_cndmask_b32_e32 v4, v4, v10, vcc
	v_cmp_eq_u32_e32 vcc, 3, v3
	;; [unrolled: 2-line block ×13, first 2 shown]
	v_cndmask_b32_e32 v4, v4, v1, vcc
	v_mad_u64_u32 v[0:1], s[0:1], s2, 7, v[0:1]
	v_mov_b32_e32 v1, 0
	v_cmp_eq_u32_e32 vcc, 15, v3
	v_lshlrev_b64 v[0:1], 2, v[0:1]
	v_cndmask_b32_e32 v2, v4, v2, vcc
	v_mov_b32_e32 v3, s5
	v_add_co_u32_e32 v0, vcc, s4, v0
	v_addc_co_u32_e32 v1, vcc, v3, v1, vcc
	global_store_dword v[0:1], v2, off
.LBB179_21:
	s_endpgm
	.section	.rodata,"a",@progbits
	.p2align	6, 0x0
	.amdhsa_kernel _ZL13mul_mat_vec_qIL9ggml_type17ELi8ELb0ELb0EEvPKvS2_PKi31ggml_cuda_mm_fusion_args_devicePfj15HIP_vector_typeIjLj3EEjjjS8_jjjS8_jjjj
		.amdhsa_group_segment_fixed_size 0
		.amdhsa_private_segment_fixed_size 0
		.amdhsa_kernarg_size 144
		.amdhsa_user_sgpr_count 6
		.amdhsa_user_sgpr_private_segment_buffer 1
		.amdhsa_user_sgpr_dispatch_ptr 0
		.amdhsa_user_sgpr_queue_ptr 0
		.amdhsa_user_sgpr_kernarg_segment_ptr 1
		.amdhsa_user_sgpr_dispatch_id 0
		.amdhsa_user_sgpr_flat_scratch_init 0
		.amdhsa_user_sgpr_private_segment_size 0
		.amdhsa_uses_dynamic_stack 0
		.amdhsa_system_sgpr_private_segment_wavefront_offset 0
		.amdhsa_system_sgpr_workgroup_id_x 1
		.amdhsa_system_sgpr_workgroup_id_y 1
		.amdhsa_system_sgpr_workgroup_id_z 1
		.amdhsa_system_sgpr_workgroup_info 0
		.amdhsa_system_vgpr_workitem_id 1
		.amdhsa_next_free_vgpr 65
		.amdhsa_next_free_sgpr 32
		.amdhsa_reserve_vcc 1
		.amdhsa_reserve_flat_scratch 0
		.amdhsa_float_round_mode_32 0
		.amdhsa_float_round_mode_16_64 0
		.amdhsa_float_denorm_mode_32 3
		.amdhsa_float_denorm_mode_16_64 3
		.amdhsa_dx10_clamp 1
		.amdhsa_ieee_mode 1
		.amdhsa_fp16_overflow 0
		.amdhsa_exception_fp_ieee_invalid_op 0
		.amdhsa_exception_fp_denorm_src 0
		.amdhsa_exception_fp_ieee_div_zero 0
		.amdhsa_exception_fp_ieee_overflow 0
		.amdhsa_exception_fp_ieee_underflow 0
		.amdhsa_exception_fp_ieee_inexact 0
		.amdhsa_exception_int_div_zero 0
	.end_amdhsa_kernel
	.section	.text._ZL13mul_mat_vec_qIL9ggml_type17ELi8ELb0ELb0EEvPKvS2_PKi31ggml_cuda_mm_fusion_args_devicePfj15HIP_vector_typeIjLj3EEjjjS8_jjjS8_jjjj,"axG",@progbits,_ZL13mul_mat_vec_qIL9ggml_type17ELi8ELb0ELb0EEvPKvS2_PKi31ggml_cuda_mm_fusion_args_devicePfj15HIP_vector_typeIjLj3EEjjjS8_jjjS8_jjjj,comdat
.Lfunc_end179:
	.size	_ZL13mul_mat_vec_qIL9ggml_type17ELi8ELb0ELb0EEvPKvS2_PKi31ggml_cuda_mm_fusion_args_devicePfj15HIP_vector_typeIjLj3EEjjjS8_jjjS8_jjjj, .Lfunc_end179-_ZL13mul_mat_vec_qIL9ggml_type17ELi8ELb0ELb0EEvPKvS2_PKi31ggml_cuda_mm_fusion_args_devicePfj15HIP_vector_typeIjLj3EEjjjS8_jjjS8_jjjj
                                        ; -- End function
	.set _ZL13mul_mat_vec_qIL9ggml_type17ELi8ELb0ELb0EEvPKvS2_PKi31ggml_cuda_mm_fusion_args_devicePfj15HIP_vector_typeIjLj3EEjjjS8_jjjS8_jjjj.num_vgpr, 65
	.set _ZL13mul_mat_vec_qIL9ggml_type17ELi8ELb0ELb0EEvPKvS2_PKi31ggml_cuda_mm_fusion_args_devicePfj15HIP_vector_typeIjLj3EEjjjS8_jjjS8_jjjj.num_agpr, 0
	.set _ZL13mul_mat_vec_qIL9ggml_type17ELi8ELb0ELb0EEvPKvS2_PKi31ggml_cuda_mm_fusion_args_devicePfj15HIP_vector_typeIjLj3EEjjjS8_jjjS8_jjjj.numbered_sgpr, 32
	.set _ZL13mul_mat_vec_qIL9ggml_type17ELi8ELb0ELb0EEvPKvS2_PKi31ggml_cuda_mm_fusion_args_devicePfj15HIP_vector_typeIjLj3EEjjjS8_jjjS8_jjjj.num_named_barrier, 0
	.set _ZL13mul_mat_vec_qIL9ggml_type17ELi8ELb0ELb0EEvPKvS2_PKi31ggml_cuda_mm_fusion_args_devicePfj15HIP_vector_typeIjLj3EEjjjS8_jjjS8_jjjj.private_seg_size, 0
	.set _ZL13mul_mat_vec_qIL9ggml_type17ELi8ELb0ELb0EEvPKvS2_PKi31ggml_cuda_mm_fusion_args_devicePfj15HIP_vector_typeIjLj3EEjjjS8_jjjS8_jjjj.uses_vcc, 1
	.set _ZL13mul_mat_vec_qIL9ggml_type17ELi8ELb0ELb0EEvPKvS2_PKi31ggml_cuda_mm_fusion_args_devicePfj15HIP_vector_typeIjLj3EEjjjS8_jjjS8_jjjj.uses_flat_scratch, 0
	.set _ZL13mul_mat_vec_qIL9ggml_type17ELi8ELb0ELb0EEvPKvS2_PKi31ggml_cuda_mm_fusion_args_devicePfj15HIP_vector_typeIjLj3EEjjjS8_jjjS8_jjjj.has_dyn_sized_stack, 0
	.set _ZL13mul_mat_vec_qIL9ggml_type17ELi8ELb0ELb0EEvPKvS2_PKi31ggml_cuda_mm_fusion_args_devicePfj15HIP_vector_typeIjLj3EEjjjS8_jjjS8_jjjj.has_recursion, 0
	.set _ZL13mul_mat_vec_qIL9ggml_type17ELi8ELb0ELb0EEvPKvS2_PKi31ggml_cuda_mm_fusion_args_devicePfj15HIP_vector_typeIjLj3EEjjjS8_jjjS8_jjjj.has_indirect_call, 0
	.section	.AMDGPU.csdata,"",@progbits
; Kernel info:
; codeLenInByte = 9760
; TotalNumSgprs: 36
; NumVgprs: 65
; ScratchSize: 0
; MemoryBound: 0
; FloatMode: 240
; IeeeMode: 1
; LDSByteSize: 0 bytes/workgroup (compile time only)
; SGPRBlocks: 4
; VGPRBlocks: 16
; NumSGPRsForWavesPerEU: 36
; NumVGPRsForWavesPerEU: 65
; Occupancy: 3
; WaveLimiterHint : 0
; COMPUTE_PGM_RSRC2:SCRATCH_EN: 0
; COMPUTE_PGM_RSRC2:USER_SGPR: 6
; COMPUTE_PGM_RSRC2:TRAP_HANDLER: 0
; COMPUTE_PGM_RSRC2:TGID_X_EN: 1
; COMPUTE_PGM_RSRC2:TGID_Y_EN: 1
; COMPUTE_PGM_RSRC2:TGID_Z_EN: 1
; COMPUTE_PGM_RSRC2:TIDIG_COMP_CNT: 1
	.section	.text._ZL17mul_mat_vec_q_moeIL9ggml_type22ELi2EEvPKvS2_PKiPfj15HIP_vector_typeIjLj3EEjjjjjjjjj,"axG",@progbits,_ZL17mul_mat_vec_q_moeIL9ggml_type22ELi2EEvPKvS2_PKiPfj15HIP_vector_typeIjLj3EEjjjjjjjjj,comdat
	.globl	_ZL17mul_mat_vec_q_moeIL9ggml_type22ELi2EEvPKvS2_PKiPfj15HIP_vector_typeIjLj3EEjjjjjjjjj ; -- Begin function _ZL17mul_mat_vec_q_moeIL9ggml_type22ELi2EEvPKvS2_PKiPfj15HIP_vector_typeIjLj3EEjjjjjjjjj
	.p2align	8
	.type	_ZL17mul_mat_vec_q_moeIL9ggml_type22ELi2EEvPKvS2_PKiPfj15HIP_vector_typeIjLj3EEjjjjjjjjj,@function
_ZL17mul_mat_vec_q_moeIL9ggml_type22ELi2EEvPKvS2_PKiPfj15HIP_vector_typeIjLj3EEjjjjjjjjj: ; @_ZL17mul_mat_vec_q_moeIL9ggml_type22ELi2EEvPKvS2_PKiPfj15HIP_vector_typeIjLj3EEjjjjjjjjj
; %bb.0:
	s_load_dwordx8 s[8:15], s[4:5], 0x30
	s_waitcnt lgkmcnt(0)
	v_cmp_gt_u32_e32 vcc, s15, v1
	s_and_saveexec_b64 s[0:1], vcc
	s_cbranch_execz .LBB180_7
; %bb.1:
	s_load_dword s0, s[4:5], 0x20
	s_load_dword s2, s[4:5], 0x50
	s_load_dwordx8 s[16:23], s[4:5], 0x0
	v_lshrrev_b32_e32 v15, 3, v0
	s_lshl_b32 s6, s6, 1
	s_waitcnt lgkmcnt(0)
	s_lshr_b32 s15, s0, 8
	v_cmp_gt_u32_e32 vcc, s15, v15
	v_mov_b32_e32 v17, 0
	v_mov_b32_e32 v16, 0
	s_and_saveexec_b64 s[0:1], vcc
	s_cbranch_execz .LBB180_5
; %bb.2:
	v_mul_lo_u32 v2, s2, v1
	v_mov_b32_e32 v10, 0
	v_mov_b32_e32 v4, s21
	s_load_dwordx4 s[24:27], s[4:5], 0x24
	v_add_u32_e32 v9, s7, v2
	v_lshlrev_b64 v[2:3], 2, v[9:10]
	v_lshrrev_b32_e32 v5, 3, v0
	v_add_co_u32_e32 v2, vcc, s20, v2
	v_addc_co_u32_e32 v3, vcc, v4, v3, vcc
	global_load_dword v4, v[2:3], off
	v_mul_lo_u32 v2, s10, v1
	s_movk_i32 s29, 0x120
	v_and_b32_e32 v18, 7, v0
	v_mov_b32_e32 v6, s19
	v_mad_u64_u32 v[2:3], s[4:5], v2, 36, 0
	s_waitcnt lgkmcnt(0)
	s_mul_hi_u32 s4, s24, s7
	s_add_i32 s4, s7, s4
	s_lshr_b32 s4, s4, s25
	s_mul_i32 s24, s4, s26
	v_mad_u64_u32 v[2:3], s[4:5], v5, s29, v[2:3]
	s_sub_i32 s4, s7, s24
	s_mul_i32 s4, s4, s13
	v_mad_u64_u32 v[2:3], s[4:5], s4, 36, v[2:3]
	s_add_i32 s28, s6, 1
	s_mul_i32 s27, s6, s9
	v_mad_u64_u32 v[2:3], s[4:5], v18, 36, v[2:3]
	v_lshlrev_b32_e32 v5, 1, v18
	s_mul_i32 s4, s9, s28
	v_add_co_u32_e32 v2, vcc, s18, v2
	v_addc_co_u32_e32 v3, vcc, v6, v3, vcc
	v_add_co_u32_e32 v11, vcc, 32, v2
	s_mov_b64 s[2:3], 0
	s_movk_i32 s10, 0x52
	s_movk_i32 s19, 0x300
	s_movk_i32 s20, 0xff00
	s_mov_b32 s21, 0xc0c0105
	v_mov_b32_e32 v19, 8
	v_mov_b32_e32 v16, 0
	v_lshlrev_b32_e32 v20, 1, v5
	v_addc_co_u32_e32 v12, vcc, 0, v3, vcc
	v_mov_b32_e32 v17, 0
	s_waitcnt vmcnt(0)
	v_mul_lo_u32 v4, v4, s12
	v_add_u32_e32 v21, s27, v4
	v_add_u32_e32 v22, s4, v4
.LBB180_3:                              ; =>This Inner Loop Header: Depth=1
	v_mov_b32_e32 v13, s16
	v_add_u32_e32 v24, v21, v15
	v_mov_b32_e32 v14, s17
	v_mad_i64_i32 v[24:25], s[4:5], v24, s10, v[13:14]
	global_load_dword v23, v[11:12], off
	global_load_dwordx4 v[2:5], v[11:12], off offset:-16
	global_load_dwordx4 v[6:9], v[11:12], off offset:-32
	s_getpc_b64 s[4:5]
	s_add_u32 s4, s4, _ZL9iq2s_grid@rel32@lo+4
	s_addc_u32 s5, s5, _ZL9iq2s_grid@rel32@hi+12
	v_add_co_u32_e32 v26, vcc, v24, v20
	v_addc_co_u32_e32 v27, vcc, 0, v25, vcc
	v_add_co_u32_e32 v28, vcc, v24, v18
	global_load_dword v30, v[26:27], off offset:2
	v_addc_co_u32_e32 v29, vcc, 0, v25, vcc
	global_load_ubyte v32, v[28:29], off offset:66
	global_load_dword v33, v[26:27], off offset:34
	s_waitcnt vmcnt(3)
	v_cvt_f32_f16_e32 v6, v6
	global_load_ubyte v28, v[28:29], off offset:74
	s_waitcnt vmcnt(3)
	v_and_b32_e32 v26, 0xff, v30
	global_load_ushort v24, v[24:25], off
	s_waitcnt vmcnt(3)
	v_lshlrev_b32_e32 v27, 8, v32
	v_and_or_b32 v26, v27, s19, v26
	s_waitcnt vmcnt(2)
	v_and_b32_e32 v27, 0xff, v33
	v_lshlrev_b32_e32 v29, 21, v33
	v_lshl_or_b32 v29, v27, 7, v29
	v_and_b32_e32 v35, 0x1800180, v29
	v_bfe_u32 v29, v29, 24, 1
	v_cmp_ne_u16_e32 vcc, 0, v29
	v_cmp_ne_u16_sdwa s[12:13], v35, v10 src0_sel:BYTE_1 src1_sel:DWORD
	v_lshrrev_b16_e32 v29, 7, v35
	v_lshrrev_b32_e32 v35, 2, v33
	v_cndmask_b32_e64 v36, 0, -1, s[12:13]
	v_cndmask_b32_e64 v38, 0, -1, vcc
	v_bfe_i32 v29, v29, 0, 1
	v_lshlrev_b16_e32 v36, 8, v36
	v_lshlrev_b16_e32 v38, 8, v38
	v_bfe_i32 v35, v35, 0, 1
	v_or_b32_sdwa v37, v29, v36 dst_sel:DWORD dst_unused:UNUSED_PAD src0_sel:BYTE_0 src1_sel:DWORD
	v_or_b32_sdwa v39, v35, v38 dst_sel:WORD_1 dst_unused:UNUSED_PAD src0_sel:BYTE_0 src1_sel:DWORD
	v_or_b32_sdwa v37, v37, v39 dst_sel:DWORD dst_unused:UNUSED_PAD src0_sel:WORD_0 src1_sel:DWORD
	v_lshlrev_b32_e32 v39, 17, v33
	v_lshl_or_b32 v27, v27, 3, v39
	v_and_b32_e32 v39, 0x1800180, v27
	v_bfe_u32 v27, v27, 24, 1
	v_cmp_ne_u16_e32 vcc, 0, v27
	v_cmp_ne_u16_sdwa s[12:13], v39, v10 src0_sel:BYTE_1 src1_sel:DWORD
	v_lshrrev_b16_e32 v27, 7, v39
	v_lshrrev_b32_e32 v39, 6, v33
	v_bfe_i32 v40, v27, 0, 1
	v_cndmask_b32_e64 v27, 0, -1, s[12:13]
	v_cndmask_b32_e64 v42, 0, -1, vcc
	v_lshlrev_b16_e32 v41, 8, v27
	v_lshlrev_b16_e32 v42, 8, v42
	v_bfe_i32 v39, v39, 0, 1
	v_lshlrev_b32_e32 v26, 3, v26
	v_or_b32_sdwa v27, v40, v41 dst_sel:DWORD dst_unused:UNUSED_PAD src0_sel:BYTE_0 src1_sel:DWORD
	v_or_b32_sdwa v43, v39, v42 dst_sel:WORD_1 dst_unused:UNUSED_PAD src0_sel:BYTE_0 src1_sel:DWORD
	v_or_b32_sdwa v43, v27, v43 dst_sel:DWORD dst_unused:UNUSED_PAD src0_sel:WORD_0 src1_sel:DWORD
	global_load_dwordx2 v[26:27], v26, s[4:5]
	v_lshlrev_b16_e32 v29, 8, v29
	v_lshlrev_b16_e32 v35, 8, v35
	v_lshrrev_b32_e32 v34, 16, v33
	v_lshrrev_b32_e32 v31, 24, v30
	s_waitcnt vmcnt(1)
	v_cvt_f32_f16_e32 v24, v24
	v_mul_f32_e32 v24, v24, v6
	s_waitcnt vmcnt(0)
	v_xor_b32_e32 v26, v26, v37
	v_and_b32_e32 v37, 0xffffff00, v26
	v_sub_i16 v36, v37, v36 clamp
	v_lshlrev_b16_e32 v37, 8, v26
	v_sub_i16 v29, v37, v29 clamp
	v_perm_b32 v29, v29, v36, s21
	v_and_b32_sdwa v36, v26, s20 dst_sel:DWORD dst_unused:UNUSED_PAD src0_sel:WORD_1 src1_sel:DWORD
	v_lshlrev_b16_sdwa v26, v19, v26 dst_sel:DWORD dst_unused:UNUSED_PAD src0_sel:DWORD src1_sel:WORD_1
	v_sub_i16 v36, v36, v38 clamp
	v_sub_i16 v26, v26, v35 clamp
	v_perm_b32 v26, v26, v36, s21
	v_xor_b32_e32 v27, v27, v43
	v_lshl_or_b32 v26, v26, 16, v29
	v_and_b32_e32 v29, 0xffffff00, v27
	v_lshlrev_b16_e32 v35, 8, v27
	v_lshlrev_b16_e32 v36, 8, v40
	v_sub_i16 v29, v29, v41 clamp
	v_sub_i16 v35, v35, v36 clamp
	v_perm_b32 v29, v35, v29, s21
	v_and_b32_sdwa v35, v27, s20 dst_sel:DWORD dst_unused:UNUSED_PAD src0_sel:WORD_1 src1_sel:DWORD
	v_lshlrev_b16_sdwa v27, v19, v27 dst_sel:DWORD dst_unused:UNUSED_PAD src0_sel:DWORD src1_sel:WORD_1
	v_lshlrev_b16_e32 v36, 8, v39
	v_sub_i16 v35, v35, v42 clamp
	v_sub_i16 v27, v27, v36 clamp
	v_perm_b32 v27, v27, v35, s21
	v_lshl_or_b32 v27, v27, 16, v29
	v_dot4_i32_i8 v26, v26, v7, 0
	v_dot4_i32_i8 v29, v27, v8, v26
	v_bfe_u32 v26, v30, 8, 8
	v_lshlrev_b32_e32 v27, 6, v32
	v_and_or_b32 v26, v27, s19, v26
	v_lshrrev_b32_e32 v27, 1, v33
	v_and_b32_e32 v27, 0x180, v27
	v_lshrrev_b32_e32 v35, 11, v33
	v_cmp_ne_u16_sdwa s[12:13], v27, v10 src0_sel:BYTE_1 src1_sel:DWORD
	v_lshrrev_b16_e32 v27, 7, v27
	v_lshrrev_b32_e32 v36, 10, v33
	v_bfe_i32 v37, v27, 0, 1
	v_cndmask_b32_e64 v27, 0, -1, s[12:13]
	v_bfe_i32 v35, v35, 0, 1
	v_lshlrev_b16_e32 v38, 8, v27
	v_lshlrev_b16_e32 v35, 8, v35
	v_bfe_i32 v36, v36, 0, 1
	v_or_b32_sdwa v27, v37, v38 dst_sel:DWORD dst_unused:UNUSED_PAD src0_sel:BYTE_0 src1_sel:DWORD
	v_or_b32_sdwa v39, v36, v35 dst_sel:WORD_1 dst_unused:UNUSED_PAD src0_sel:BYTE_0 src1_sel:DWORD
	v_or_b32_sdwa v39, v27, v39 dst_sel:DWORD dst_unused:UNUSED_PAD src0_sel:WORD_0 src1_sel:DWORD
	v_lshrrev_b32_e32 v27, 5, v33
	v_and_b32_e32 v27, 0x180, v27
	v_lshrrev_b32_e32 v40, 15, v33
	v_cmp_ne_u16_sdwa s[12:13], v27, v10 src0_sel:BYTE_1 src1_sel:DWORD
	v_lshrrev_b16_e32 v27, 7, v27
	v_lshrrev_b32_e32 v41, 14, v33
	v_bfe_i32 v42, v27, 0, 1
	v_cndmask_b32_e64 v27, 0, -1, s[12:13]
	v_bfe_i32 v40, v40, 0, 1
	v_lshlrev_b16_e32 v43, 8, v27
	v_lshlrev_b16_e32 v40, 8, v40
	v_bfe_i32 v41, v41, 0, 1
	v_lshlrev_b32_e32 v26, 3, v26
	v_or_b32_sdwa v27, v42, v43 dst_sel:DWORD dst_unused:UNUSED_PAD src0_sel:BYTE_0 src1_sel:DWORD
	v_or_b32_sdwa v44, v41, v40 dst_sel:WORD_1 dst_unused:UNUSED_PAD src0_sel:BYTE_0 src1_sel:DWORD
	v_or_b32_sdwa v44, v27, v44 dst_sel:DWORD dst_unused:UNUSED_PAD src0_sel:WORD_0 src1_sel:DWORD
	global_load_dwordx2 v[26:27], v26, s[4:5]
	v_lshlrev_b16_e32 v37, 8, v37
	v_lshlrev_b16_e32 v36, 8, v36
	s_waitcnt vmcnt(0)
	v_xor_b32_e32 v26, v26, v39
	v_and_b32_e32 v39, 0xffffff00, v26
	v_sub_i16 v38, v39, v38 clamp
	v_lshlrev_b16_e32 v39, 8, v26
	v_sub_i16 v37, v39, v37 clamp
	v_perm_b32 v37, v37, v38, s21
	v_and_b32_sdwa v38, v26, s20 dst_sel:DWORD dst_unused:UNUSED_PAD src0_sel:WORD_1 src1_sel:DWORD
	v_lshlrev_b16_sdwa v26, v19, v26 dst_sel:DWORD dst_unused:UNUSED_PAD src0_sel:DWORD src1_sel:WORD_1
	v_sub_i16 v35, v38, v35 clamp
	v_sub_i16 v26, v26, v36 clamp
	v_perm_b32 v26, v26, v35, s21
	v_xor_b32_e32 v27, v27, v44
	v_lshl_or_b32 v26, v26, 16, v37
	v_and_b32_e32 v35, 0xffffff00, v27
	v_lshlrev_b16_e32 v36, 8, v27
	v_lshlrev_b16_e32 v37, 8, v42
	v_sub_i16 v35, v35, v43 clamp
	v_sub_i16 v36, v36, v37 clamp
	v_perm_b32 v35, v36, v35, s21
	v_and_b32_sdwa v36, v27, s20 dst_sel:DWORD dst_unused:UNUSED_PAD src0_sel:WORD_1 src1_sel:DWORD
	v_lshlrev_b16_sdwa v27, v19, v27 dst_sel:DWORD dst_unused:UNUSED_PAD src0_sel:DWORD src1_sel:WORD_1
	v_lshlrev_b16_e32 v37, 8, v41
	v_sub_i16 v36, v36, v40 clamp
	v_sub_i16 v27, v27, v37 clamp
	v_perm_b32 v27, v27, v36, s21
	v_lshl_or_b32 v27, v27, 16, v35
	v_dot4_i32_i8 v26, v26, v9, v29
	v_dot4_i32_i8 v29, v27, v2, v26
	v_bfe_u32 v26, v30, 16, 8
	v_lshlrev_b32_e32 v27, 4, v32
	v_and_or_b32 v26, v27, s19, v26
	v_lshrrev_b32_e32 v27, 9, v33
	v_lshl_or_b32 v27, v34, 21, v27
	v_and_b32_e32 v30, 0x1800180, v27
	v_bfe_u32 v27, v27, 24, 1
	v_cmp_ne_u16_e32 vcc, 0, v27
	v_cmp_ne_u16_sdwa s[12:13], v30, v10 src0_sel:BYTE_1 src1_sel:DWORD
	v_lshrrev_b16_e32 v27, 7, v30
	v_lshrrev_b32_e32 v30, 18, v33
	v_bfe_i32 v35, v27, 0, 1
	v_cndmask_b32_e64 v27, 0, -1, s[12:13]
	v_cndmask_b32_e64 v37, 0, -1, vcc
	v_lshlrev_b16_e32 v36, 8, v27
	v_lshlrev_b16_e32 v37, 8, v37
	v_bfe_i32 v30, v30, 0, 1
	v_or_b32_sdwa v27, v35, v36 dst_sel:DWORD dst_unused:UNUSED_PAD src0_sel:BYTE_0 src1_sel:DWORD
	v_or_b32_sdwa v38, v30, v37 dst_sel:WORD_1 dst_unused:UNUSED_PAD src0_sel:BYTE_0 src1_sel:DWORD
	v_or_b32_sdwa v38, v27, v38 dst_sel:DWORD dst_unused:UNUSED_PAD src0_sel:WORD_0 src1_sel:DWORD
	v_lshrrev_b32_e32 v27, 13, v33
	v_lshl_or_b32 v27, v34, 17, v27
	v_and_b32_e32 v34, 0x1800180, v27
	v_bfe_u32 v27, v27, 24, 1
	v_cmp_ne_u16_e32 vcc, 0, v27
	v_cmp_ne_u16_sdwa s[12:13], v34, v10 src0_sel:BYTE_1 src1_sel:DWORD
	v_lshrrev_b16_e32 v27, 7, v34
	v_lshrrev_b32_e32 v34, 22, v33
	v_bfe_i32 v39, v27, 0, 1
	v_cndmask_b32_e64 v27, 0, -1, s[12:13]
	v_cndmask_b32_e64 v41, 0, -1, vcc
	v_lshlrev_b16_e32 v40, 8, v27
	v_lshlrev_b16_e32 v41, 8, v41
	v_bfe_i32 v34, v34, 0, 1
	v_lshlrev_b32_e32 v26, 3, v26
	v_or_b32_sdwa v27, v39, v40 dst_sel:DWORD dst_unused:UNUSED_PAD src0_sel:BYTE_0 src1_sel:DWORD
	v_or_b32_sdwa v42, v34, v41 dst_sel:WORD_1 dst_unused:UNUSED_PAD src0_sel:BYTE_0 src1_sel:DWORD
	v_or_b32_sdwa v42, v27, v42 dst_sel:DWORD dst_unused:UNUSED_PAD src0_sel:WORD_0 src1_sel:DWORD
	global_load_dwordx2 v[26:27], v26, s[4:5]
	v_lshlrev_b16_e32 v35, 8, v35
	v_lshlrev_b16_e32 v30, 8, v30
	;; [unrolled: 1-line block ×3, first 2 shown]
	s_waitcnt vmcnt(0)
	v_xor_b32_e32 v26, v26, v38
	v_and_b32_e32 v38, 0xffffff00, v26
	v_sub_i16 v36, v38, v36 clamp
	v_lshlrev_b16_e32 v38, 8, v26
	v_sub_i16 v35, v38, v35 clamp
	v_perm_b32 v35, v35, v36, s21
	v_and_b32_sdwa v36, v26, s20 dst_sel:DWORD dst_unused:UNUSED_PAD src0_sel:WORD_1 src1_sel:DWORD
	v_lshlrev_b16_sdwa v26, v19, v26 dst_sel:DWORD dst_unused:UNUSED_PAD src0_sel:DWORD src1_sel:WORD_1
	v_sub_i16 v36, v36, v37 clamp
	v_sub_i16 v26, v26, v30 clamp
	v_perm_b32 v26, v26, v36, s21
	v_xor_b32_e32 v27, v27, v42
	v_lshl_or_b32 v26, v26, 16, v35
	v_and_b32_e32 v30, 0xffffff00, v27
	v_lshlrev_b16_e32 v35, 8, v27
	v_lshlrev_b16_e32 v36, 8, v39
	v_sub_i16 v30, v30, v40 clamp
	v_sub_i16 v35, v35, v36 clamp
	v_perm_b32 v30, v35, v30, s21
	v_and_b32_sdwa v35, v27, s20 dst_sel:DWORD dst_unused:UNUSED_PAD src0_sel:WORD_1 src1_sel:DWORD
	v_lshlrev_b16_sdwa v27, v19, v27 dst_sel:DWORD dst_unused:UNUSED_PAD src0_sel:DWORD src1_sel:WORD_1
	v_sub_i16 v35, v35, v41 clamp
	v_sub_i16 v27, v27, v34 clamp
	v_perm_b32 v27, v27, v35, s21
	v_lshl_or_b32 v27, v27, 16, v30
	v_dot4_i32_i8 v26, v26, v3, 0
	v_dot4_i32_i8 v30, v27, v4, v26
	v_lshlrev_b32_e32 v26, 2, v32
	v_and_or_b32 v26, v26, s19, v31
	v_lshrrev_b32_e32 v27, 17, v33
	v_lshrrev_b32_e32 v31, 24, v33
	v_lshl_or_b32 v27, v31, 21, v27
	v_and_b32_e32 v31, 0x1800180, v27
	v_bfe_u32 v27, v27, 24, 1
	v_cmp_ne_u16_e32 vcc, 0, v27
	v_cmp_ne_u16_sdwa s[12:13], v31, v10 src0_sel:BYTE_1 src1_sel:DWORD
	v_lshrrev_b16_e32 v27, 7, v31
	v_lshrrev_b32_e32 v31, 26, v33
	v_bfe_i32 v32, v27, 0, 1
	v_cndmask_b32_e64 v27, 0, -1, s[12:13]
	v_cndmask_b32_e64 v35, 0, -1, vcc
	v_lshlrev_b16_e32 v34, 8, v27
	v_lshlrev_b16_e32 v35, 8, v35
	v_bfe_i32 v31, v31, 0, 1
	v_or_b32_sdwa v27, v32, v34 dst_sel:DWORD dst_unused:UNUSED_PAD src0_sel:BYTE_0 src1_sel:DWORD
	v_or_b32_sdwa v36, v31, v35 dst_sel:WORD_1 dst_unused:UNUSED_PAD src0_sel:BYTE_0 src1_sel:DWORD
	v_or_b32_sdwa v36, v27, v36 dst_sel:DWORD dst_unused:UNUSED_PAD src0_sel:WORD_0 src1_sel:DWORD
	v_lshrrev_b32_e32 v27, 21, v33
	v_lshrrev_b32_e32 v38, 31, v33
	v_lshrrev_b16_e32 v37, 8, v27
	v_cmp_ne_u16_e32 vcc, 0, v38
	v_lshrrev_b32_e32 v33, 30, v33
	v_lshrrev_b16_e32 v27, 7, v27
	v_bfe_i32 v37, v37, 0, 1
	v_cndmask_b32_e64 v39, 0, -1, vcc
	v_lshlrev_b16_e32 v37, 8, v37
	v_bfe_i32 v38, v27, 0, 1
	v_bfe_i32 v33, v33, 0, 1
	v_lshlrev_b16_e32 v39, 8, v39
	v_lshlrev_b32_e32 v26, 3, v26
	v_or_b32_sdwa v27, v38, v37 dst_sel:DWORD dst_unused:UNUSED_PAD src0_sel:BYTE_0 src1_sel:DWORD
	v_or_b32_sdwa v40, v33, v39 dst_sel:WORD_1 dst_unused:UNUSED_PAD src0_sel:BYTE_0 src1_sel:DWORD
	v_or_b32_sdwa v40, v27, v40 dst_sel:DWORD dst_unused:UNUSED_PAD src0_sel:WORD_0 src1_sel:DWORD
	global_load_dwordx2 v[26:27], v26, s[4:5]
	v_lshlrev_b16_e32 v32, 8, v32
	v_lshlrev_b16_e32 v31, 8, v31
	;; [unrolled: 1-line block ×3, first 2 shown]
	s_waitcnt vmcnt(0)
	v_xor_b32_e32 v26, v26, v36
	v_and_b32_e32 v36, 0xffffff00, v26
	v_sub_i16 v34, v36, v34 clamp
	v_lshlrev_b16_e32 v36, 8, v26
	v_sub_i16 v32, v36, v32 clamp
	v_perm_b32 v32, v32, v34, s21
	v_and_b32_sdwa v34, v26, s20 dst_sel:DWORD dst_unused:UNUSED_PAD src0_sel:WORD_1 src1_sel:DWORD
	v_lshlrev_b16_sdwa v26, v19, v26 dst_sel:DWORD dst_unused:UNUSED_PAD src0_sel:DWORD src1_sel:WORD_1
	v_sub_i16 v34, v34, v35 clamp
	v_sub_i16 v26, v26, v31 clamp
	v_perm_b32 v26, v26, v34, s21
	v_xor_b32_e32 v27, v27, v40
	v_lshl_or_b32 v26, v26, 16, v32
	v_and_b32_e32 v31, 0xffffff00, v27
	v_lshlrev_b16_e32 v32, 8, v27
	v_lshlrev_b16_e32 v34, 8, v38
	v_sub_i16 v31, v31, v37 clamp
	v_sub_i16 v32, v32, v34 clamp
	v_perm_b32 v31, v32, v31, s21
	v_and_b32_sdwa v32, v27, s20 dst_sel:DWORD dst_unused:UNUSED_PAD src0_sel:WORD_1 src1_sel:DWORD
	v_lshlrev_b16_sdwa v27, v19, v27 dst_sel:DWORD dst_unused:UNUSED_PAD src0_sel:DWORD src1_sel:WORD_1
	v_sub_i16 v32, v32, v39 clamp
	v_sub_i16 v27, v27, v33 clamp
	v_perm_b32 v27, v27, v32, s21
	v_lshl_or_b32 v27, v27, 16, v31
	v_dot4_i32_i8 v26, v26, v5, v30
	v_dot4_i32_i8 v26, v27, v23, v26
	v_lshrrev_b32_e32 v27, 4, v28
	v_and_b32_e32 v28, 15, v28
	v_mul_lo_u32 v28, v29, v28
	v_mul_lo_u32 v27, v26, v27
	v_add_u32_e32 v26, v26, v29
	v_lshrrev_b32_e32 v29, 31, v26
	v_add_u32_e32 v26, v26, v29
	v_ashrrev_i32_e32 v26, 1, v26
	v_add3_u32 v26, v27, v28, v26
	v_ashrrev_i32_e32 v27, 31, v26
	v_lshrrev_b32_e32 v27, 30, v27
	v_add_u32_e32 v26, v26, v27
	v_ashrrev_i32_e32 v26, 2, v26
	v_cvt_f32_i32_e32 v25, v26
	v_fmac_f32_e32 v16, v24, v25
	v_add_u32_e32 v24, v22, v15
	v_mad_i64_i32 v[13:14], s[12:13], v24, s10, v[13:14]
	v_add_u32_e32 v15, 8, v15
	v_add_co_u32_e32 v24, vcc, v13, v20
	v_addc_co_u32_e32 v25, vcc, 0, v14, vcc
	v_add_co_u32_e32 v26, vcc, v13, v18
	global_load_dword v28, v[24:25], off offset:2
	v_addc_co_u32_e32 v27, vcc, 0, v14, vcc
	global_load_ubyte v30, v[26:27], off offset:66
	global_load_dword v31, v[24:25], off offset:34
	s_waitcnt vmcnt(2)
	v_and_b32_e32 v24, 0xff, v28
	global_load_ubyte v26, v[26:27], off offset:74
	s_waitcnt vmcnt(2)
	v_lshlrev_b32_e32 v25, 8, v30
	v_and_or_b32 v24, v25, s19, v24
	s_waitcnt vmcnt(1)
	v_and_b32_e32 v25, 0xff, v31
	v_lshlrev_b32_e32 v27, 21, v31
	v_lshl_or_b32 v27, v25, 7, v27
	v_and_b32_e32 v33, 0x1800180, v27
	v_bfe_u32 v27, v27, 24, 1
	v_cmp_ne_u16_e32 vcc, 0, v27
	v_cmp_ne_u16_sdwa s[12:13], v33, v10 src0_sel:BYTE_1 src1_sel:DWORD
	v_lshrrev_b16_e32 v27, 7, v33
	v_lshrrev_b32_e32 v33, 2, v31
	v_cndmask_b32_e64 v34, 0, -1, s[12:13]
	v_cndmask_b32_e64 v36, 0, -1, vcc
	v_bfe_i32 v27, v27, 0, 1
	v_lshlrev_b16_e32 v34, 8, v34
	v_lshlrev_b16_e32 v36, 8, v36
	v_bfe_i32 v33, v33, 0, 1
	v_or_b32_sdwa v35, v27, v34 dst_sel:DWORD dst_unused:UNUSED_PAD src0_sel:BYTE_0 src1_sel:DWORD
	v_or_b32_sdwa v37, v33, v36 dst_sel:WORD_1 dst_unused:UNUSED_PAD src0_sel:BYTE_0 src1_sel:DWORD
	v_or_b32_sdwa v35, v35, v37 dst_sel:DWORD dst_unused:UNUSED_PAD src0_sel:WORD_0 src1_sel:DWORD
	v_lshlrev_b32_e32 v37, 17, v31
	v_lshl_or_b32 v25, v25, 3, v37
	v_and_b32_e32 v37, 0x1800180, v25
	v_bfe_u32 v25, v25, 24, 1
	v_cmp_ne_u16_e32 vcc, 0, v25
	v_cmp_ne_u16_sdwa s[12:13], v37, v10 src0_sel:BYTE_1 src1_sel:DWORD
	v_lshrrev_b16_e32 v25, 7, v37
	v_lshrrev_b32_e32 v37, 6, v31
	v_bfe_i32 v38, v25, 0, 1
	v_cndmask_b32_e64 v25, 0, -1, s[12:13]
	v_cndmask_b32_e64 v40, 0, -1, vcc
	v_lshlrev_b16_e32 v39, 8, v25
	v_lshlrev_b16_e32 v40, 8, v40
	v_bfe_i32 v37, v37, 0, 1
	v_lshlrev_b32_e32 v24, 3, v24
	v_or_b32_sdwa v25, v38, v39 dst_sel:DWORD dst_unused:UNUSED_PAD src0_sel:BYTE_0 src1_sel:DWORD
	v_or_b32_sdwa v41, v37, v40 dst_sel:WORD_1 dst_unused:UNUSED_PAD src0_sel:BYTE_0 src1_sel:DWORD
	v_or_b32_sdwa v41, v25, v41 dst_sel:DWORD dst_unused:UNUSED_PAD src0_sel:WORD_0 src1_sel:DWORD
	global_load_dwordx2 v[24:25], v24, s[4:5]
	v_lshlrev_b16_e32 v27, 8, v27
	v_lshlrev_b16_e32 v33, 8, v33
	v_lshrrev_b32_e32 v32, 16, v31
	v_lshrrev_b32_e32 v29, 24, v28
	s_waitcnt vmcnt(0)
	v_xor_b32_e32 v24, v24, v35
	v_and_b32_e32 v35, 0xffffff00, v24
	v_sub_i16 v34, v35, v34 clamp
	v_lshlrev_b16_e32 v35, 8, v24
	v_sub_i16 v27, v35, v27 clamp
	v_perm_b32 v27, v27, v34, s21
	v_and_b32_sdwa v34, v24, s20 dst_sel:DWORD dst_unused:UNUSED_PAD src0_sel:WORD_1 src1_sel:DWORD
	v_lshlrev_b16_sdwa v24, v19, v24 dst_sel:DWORD dst_unused:UNUSED_PAD src0_sel:DWORD src1_sel:WORD_1
	v_sub_i16 v34, v34, v36 clamp
	v_sub_i16 v24, v24, v33 clamp
	v_perm_b32 v24, v24, v34, s21
	v_xor_b32_e32 v25, v25, v41
	v_lshl_or_b32 v24, v24, 16, v27
	v_and_b32_e32 v27, 0xffffff00, v25
	v_lshlrev_b16_e32 v33, 8, v25
	v_lshlrev_b16_e32 v34, 8, v38
	v_sub_i16 v27, v27, v39 clamp
	v_sub_i16 v33, v33, v34 clamp
	v_perm_b32 v27, v33, v27, s21
	v_and_b32_sdwa v33, v25, s20 dst_sel:DWORD dst_unused:UNUSED_PAD src0_sel:WORD_1 src1_sel:DWORD
	v_lshlrev_b16_sdwa v25, v19, v25 dst_sel:DWORD dst_unused:UNUSED_PAD src0_sel:DWORD src1_sel:WORD_1
	v_lshlrev_b16_e32 v34, 8, v37
	v_sub_i16 v33, v33, v40 clamp
	v_sub_i16 v25, v25, v34 clamp
	v_perm_b32 v25, v25, v33, s21
	v_lshl_or_b32 v25, v25, 16, v27
	v_dot4_i32_i8 v7, v24, v7, 0
	v_dot4_i32_i8 v24, v25, v8, v7
	v_bfe_u32 v7, v28, 8, 8
	v_lshlrev_b32_e32 v8, 6, v30
	v_and_or_b32 v7, v8, s19, v7
	v_lshrrev_b32_e32 v8, 1, v31
	v_and_b32_e32 v8, 0x180, v8
	v_lshrrev_b32_e32 v25, 11, v31
	v_cmp_ne_u16_sdwa s[12:13], v8, v10 src0_sel:BYTE_1 src1_sel:DWORD
	v_lshrrev_b16_e32 v8, 7, v8
	v_lshrrev_b32_e32 v27, 10, v31
	v_bfe_i32 v33, v8, 0, 1
	v_cndmask_b32_e64 v8, 0, -1, s[12:13]
	v_bfe_i32 v25, v25, 0, 1
	v_lshlrev_b16_e32 v34, 8, v8
	v_lshlrev_b16_e32 v25, 8, v25
	v_bfe_i32 v27, v27, 0, 1
	v_or_b32_sdwa v8, v33, v34 dst_sel:DWORD dst_unused:UNUSED_PAD src0_sel:BYTE_0 src1_sel:DWORD
	v_or_b32_sdwa v35, v27, v25 dst_sel:WORD_1 dst_unused:UNUSED_PAD src0_sel:BYTE_0 src1_sel:DWORD
	v_or_b32_sdwa v35, v8, v35 dst_sel:DWORD dst_unused:UNUSED_PAD src0_sel:WORD_0 src1_sel:DWORD
	v_lshrrev_b32_e32 v8, 5, v31
	v_and_b32_e32 v8, 0x180, v8
	v_lshrrev_b32_e32 v36, 15, v31
	v_cmp_ne_u16_sdwa s[12:13], v8, v10 src0_sel:BYTE_1 src1_sel:DWORD
	v_lshrrev_b16_e32 v8, 7, v8
	v_lshrrev_b32_e32 v37, 14, v31
	v_bfe_i32 v38, v8, 0, 1
	v_cndmask_b32_e64 v8, 0, -1, s[12:13]
	v_bfe_i32 v36, v36, 0, 1
	v_lshlrev_b16_e32 v39, 8, v8
	v_lshlrev_b16_e32 v36, 8, v36
	v_bfe_i32 v37, v37, 0, 1
	v_lshlrev_b32_e32 v7, 3, v7
	v_or_b32_sdwa v8, v38, v39 dst_sel:DWORD dst_unused:UNUSED_PAD src0_sel:BYTE_0 src1_sel:DWORD
	v_or_b32_sdwa v40, v37, v36 dst_sel:WORD_1 dst_unused:UNUSED_PAD src0_sel:BYTE_0 src1_sel:DWORD
	v_or_b32_sdwa v40, v8, v40 dst_sel:DWORD dst_unused:UNUSED_PAD src0_sel:WORD_0 src1_sel:DWORD
	global_load_dwordx2 v[7:8], v7, s[4:5]
	v_lshlrev_b16_e32 v33, 8, v33
	v_lshlrev_b16_e32 v27, 8, v27
	s_waitcnt vmcnt(0)
	v_xor_b32_e32 v7, v7, v35
	v_and_b32_e32 v35, 0xffffff00, v7
	v_sub_i16 v34, v35, v34 clamp
	v_lshlrev_b16_e32 v35, 8, v7
	v_sub_i16 v33, v35, v33 clamp
	v_perm_b32 v33, v33, v34, s21
	v_and_b32_sdwa v34, v7, s20 dst_sel:DWORD dst_unused:UNUSED_PAD src0_sel:WORD_1 src1_sel:DWORD
	v_lshlrev_b16_sdwa v7, v19, v7 dst_sel:DWORD dst_unused:UNUSED_PAD src0_sel:DWORD src1_sel:WORD_1
	v_sub_i16 v25, v34, v25 clamp
	v_sub_i16 v7, v7, v27 clamp
	v_perm_b32 v7, v7, v25, s21
	v_xor_b32_e32 v8, v8, v40
	v_lshl_or_b32 v7, v7, 16, v33
	v_and_b32_e32 v25, 0xffffff00, v8
	v_lshlrev_b16_e32 v27, 8, v8
	v_lshlrev_b16_e32 v33, 8, v38
	v_sub_i16 v25, v25, v39 clamp
	v_sub_i16 v27, v27, v33 clamp
	v_perm_b32 v25, v27, v25, s21
	v_and_b32_sdwa v27, v8, s20 dst_sel:DWORD dst_unused:UNUSED_PAD src0_sel:WORD_1 src1_sel:DWORD
	v_lshlrev_b16_sdwa v8, v19, v8 dst_sel:DWORD dst_unused:UNUSED_PAD src0_sel:DWORD src1_sel:WORD_1
	v_lshlrev_b16_e32 v33, 8, v37
	v_sub_i16 v27, v27, v36 clamp
	v_sub_i16 v8, v8, v33 clamp
	v_perm_b32 v8, v8, v27, s21
	v_lshl_or_b32 v8, v8, 16, v25
	v_dot4_i32_i8 v7, v7, v9, v24
	v_dot4_i32_i8 v9, v8, v2, v7
	v_bfe_u32 v2, v28, 16, 8
	v_lshlrev_b32_e32 v7, 4, v30
	v_and_or_b32 v2, v7, s19, v2
	v_lshrrev_b32_e32 v7, 9, v31
	v_lshl_or_b32 v7, v32, 21, v7
	v_and_b32_e32 v8, 0x1800180, v7
	v_bfe_u32 v7, v7, 24, 1
	v_cmp_ne_u16_e32 vcc, 0, v7
	v_cmp_ne_u16_sdwa s[12:13], v8, v10 src0_sel:BYTE_1 src1_sel:DWORD
	v_lshrrev_b16_e32 v7, 7, v8
	v_lshrrev_b32_e32 v8, 18, v31
	v_bfe_i32 v24, v7, 0, 1
	v_cndmask_b32_e64 v7, 0, -1, s[12:13]
	v_cndmask_b32_e64 v27, 0, -1, vcc
	v_lshlrev_b16_e32 v25, 8, v7
	v_lshlrev_b16_e32 v27, 8, v27
	v_bfe_i32 v28, v8, 0, 1
	v_or_b32_sdwa v7, v24, v25 dst_sel:DWORD dst_unused:UNUSED_PAD src0_sel:BYTE_0 src1_sel:DWORD
	v_or_b32_sdwa v8, v28, v27 dst_sel:WORD_1 dst_unused:UNUSED_PAD src0_sel:BYTE_0 src1_sel:DWORD
	v_or_b32_sdwa v33, v7, v8 dst_sel:DWORD dst_unused:UNUSED_PAD src0_sel:WORD_0 src1_sel:DWORD
	v_lshrrev_b32_e32 v7, 13, v31
	v_lshl_or_b32 v7, v32, 17, v7
	v_and_b32_e32 v8, 0x1800180, v7
	v_bfe_u32 v7, v7, 24, 1
	v_cmp_ne_u16_e32 vcc, 0, v7
	v_cmp_ne_u16_sdwa s[12:13], v8, v10 src0_sel:BYTE_1 src1_sel:DWORD
	v_lshrrev_b16_e32 v7, 7, v8
	v_lshrrev_b32_e32 v8, 22, v31
	v_bfe_i32 v32, v7, 0, 1
	v_cndmask_b32_e64 v7, 0, -1, s[12:13]
	v_cndmask_b32_e64 v35, 0, -1, vcc
	v_lshlrev_b16_e32 v34, 8, v7
	v_lshlrev_b16_e32 v35, 8, v35
	v_bfe_i32 v36, v8, 0, 1
	v_lshlrev_b32_e32 v2, 3, v2
	v_or_b32_sdwa v7, v32, v34 dst_sel:DWORD dst_unused:UNUSED_PAD src0_sel:BYTE_0 src1_sel:DWORD
	v_or_b32_sdwa v8, v36, v35 dst_sel:WORD_1 dst_unused:UNUSED_PAD src0_sel:BYTE_0 src1_sel:DWORD
	v_or_b32_sdwa v37, v7, v8 dst_sel:DWORD dst_unused:UNUSED_PAD src0_sel:WORD_0 src1_sel:DWORD
	global_load_dwordx2 v[7:8], v2, s[4:5]
	v_lshlrev_b16_e32 v24, 8, v24
	s_waitcnt vmcnt(0)
	v_xor_b32_e32 v2, v7, v33
	v_and_b32_e32 v7, 0xffffff00, v2
	v_sub_i16 v7, v7, v25 clamp
	v_lshlrev_b16_e32 v25, 8, v2
	v_sub_i16 v24, v25, v24 clamp
	v_perm_b32 v7, v24, v7, s21
	v_and_b32_sdwa v24, v2, s20 dst_sel:DWORD dst_unused:UNUSED_PAD src0_sel:WORD_1 src1_sel:DWORD
	v_lshlrev_b16_sdwa v2, v19, v2 dst_sel:DWORD dst_unused:UNUSED_PAD src0_sel:DWORD src1_sel:WORD_1
	v_lshlrev_b16_e32 v25, 8, v28
	v_sub_i16 v24, v24, v27 clamp
	v_sub_i16 v2, v2, v25 clamp
	v_perm_b32 v2, v2, v24, s21
	v_lshl_or_b32 v2, v2, 16, v7
	v_xor_b32_e32 v7, v8, v37
	v_and_b32_e32 v8, 0xffffff00, v7
	v_lshlrev_b16_e32 v24, 8, v7
	v_lshlrev_b16_e32 v25, 8, v32
	v_sub_i16 v8, v8, v34 clamp
	v_sub_i16 v24, v24, v25 clamp
	v_perm_b32 v8, v24, v8, s21
	v_and_b32_sdwa v24, v7, s20 dst_sel:DWORD dst_unused:UNUSED_PAD src0_sel:WORD_1 src1_sel:DWORD
	v_lshlrev_b16_sdwa v7, v19, v7 dst_sel:DWORD dst_unused:UNUSED_PAD src0_sel:DWORD src1_sel:WORD_1
	v_lshlrev_b16_e32 v25, 8, v36
	v_sub_i16 v24, v24, v35 clamp
	v_sub_i16 v7, v7, v25 clamp
	v_perm_b32 v7, v7, v24, s21
	v_lshl_or_b32 v7, v7, 16, v8
	v_dot4_i32_i8 v2, v2, v3, 0
	v_dot4_i32_i8 v4, v7, v4, v2
	v_lshrrev_b32_e32 v3, 17, v31
	v_lshrrev_b32_e32 v7, 24, v31
	v_lshl_or_b32 v3, v7, 21, v3
	v_and_b32_e32 v7, 0x1800180, v3
	v_bfe_u32 v3, v3, 24, 1
	v_cmp_ne_u16_e32 vcc, 0, v3
	v_cmp_ne_u16_sdwa s[12:13], v7, v10 src0_sel:BYTE_1 src1_sel:DWORD
	v_lshrrev_b16_e32 v3, 7, v7
	v_lshrrev_b32_e32 v7, 26, v31
	v_bfe_i32 v8, v3, 0, 1
	v_cndmask_b32_e64 v3, 0, -1, s[12:13]
	v_cndmask_b32_e64 v25, 0, -1, vcc
	v_lshlrev_b16_e32 v24, 8, v3
	v_lshlrev_b16_e32 v25, 8, v25
	v_bfe_i32 v7, v7, 0, 1
	v_lshlrev_b32_e32 v2, 2, v30
	v_or_b32_sdwa v3, v8, v24 dst_sel:DWORD dst_unused:UNUSED_PAD src0_sel:BYTE_0 src1_sel:DWORD
	v_or_b32_sdwa v27, v7, v25 dst_sel:WORD_1 dst_unused:UNUSED_PAD src0_sel:BYTE_0 src1_sel:DWORD
	v_and_or_b32 v2, v2, s19, v29
	v_or_b32_sdwa v27, v3, v27 dst_sel:DWORD dst_unused:UNUSED_PAD src0_sel:WORD_0 src1_sel:DWORD
	v_lshrrev_b32_e32 v3, 21, v31
	v_lshrrev_b32_e32 v29, 31, v31
	v_lshrrev_b16_e32 v28, 8, v3
	v_cmp_ne_u16_e32 vcc, 0, v29
	v_lshrrev_b32_e32 v29, 30, v31
	v_lshrrev_b16_e32 v3, 7, v3
	v_bfe_i32 v28, v28, 0, 1
	v_cndmask_b32_e64 v31, 0, -1, vcc
	v_lshlrev_b16_e32 v28, 8, v28
	v_bfe_i32 v30, v3, 0, 1
	v_bfe_i32 v29, v29, 0, 1
	v_lshlrev_b16_e32 v31, 8, v31
	v_lshlrev_b32_e32 v2, 3, v2
	v_or_b32_sdwa v3, v30, v28 dst_sel:DWORD dst_unused:UNUSED_PAD src0_sel:BYTE_0 src1_sel:DWORD
	v_or_b32_sdwa v32, v29, v31 dst_sel:WORD_1 dst_unused:UNUSED_PAD src0_sel:BYTE_0 src1_sel:DWORD
	v_or_b32_sdwa v32, v3, v32 dst_sel:DWORD dst_unused:UNUSED_PAD src0_sel:WORD_0 src1_sel:DWORD
	global_load_dwordx2 v[2:3], v2, s[4:5]
	v_lshlrev_b16_e32 v8, 8, v8
	v_lshlrev_b16_e32 v7, 8, v7
	v_add_co_u32_e32 v11, vcc, 0x900, v11
	v_addc_co_u32_e32 v12, vcc, 0, v12, vcc
	v_cmp_le_u32_e32 vcc, s15, v15
	s_or_b64 s[2:3], vcc, s[2:3]
	s_waitcnt vmcnt(0)
	v_xor_b32_e32 v2, v2, v27
	v_and_b32_e32 v27, 0xffffff00, v2
	v_sub_i16 v24, v27, v24 clamp
	v_lshlrev_b16_e32 v27, 8, v2
	v_sub_i16 v8, v27, v8 clamp
	v_perm_b32 v8, v8, v24, s21
	v_and_b32_sdwa v24, v2, s20 dst_sel:DWORD dst_unused:UNUSED_PAD src0_sel:WORD_1 src1_sel:DWORD
	v_lshlrev_b16_sdwa v2, v19, v2 dst_sel:DWORD dst_unused:UNUSED_PAD src0_sel:DWORD src1_sel:WORD_1
	v_sub_i16 v24, v24, v25 clamp
	v_sub_i16 v2, v2, v7 clamp
	v_perm_b32 v2, v2, v24, s21
	v_xor_b32_e32 v3, v3, v32
	v_lshl_or_b32 v2, v2, 16, v8
	v_and_b32_e32 v7, 0xffffff00, v3
	v_lshlrev_b16_e32 v8, 8, v3
	v_lshlrev_b16_e32 v24, 8, v30
	v_sub_i16 v7, v7, v28 clamp
	v_sub_i16 v8, v8, v24 clamp
	v_perm_b32 v7, v8, v7, s21
	v_and_b32_sdwa v8, v3, s20 dst_sel:DWORD dst_unused:UNUSED_PAD src0_sel:WORD_1 src1_sel:DWORD
	v_lshlrev_b16_sdwa v3, v19, v3 dst_sel:DWORD dst_unused:UNUSED_PAD src0_sel:DWORD src1_sel:WORD_1
	v_lshlrev_b16_e32 v24, 8, v29
	v_sub_i16 v8, v8, v31 clamp
	v_sub_i16 v3, v3, v24 clamp
	v_perm_b32 v3, v3, v8, s21
	v_lshl_or_b32 v3, v3, 16, v7
	v_dot4_i32_i8 v2, v2, v5, v4
	v_dot4_i32_i8 v2, v3, v23, v2
	v_lshrrev_b32_e32 v3, 4, v26
	v_and_b32_e32 v4, 15, v26
	v_mul_lo_u32 v4, v9, v4
	v_mul_lo_u32 v3, v2, v3
	v_add_u32_e32 v2, v2, v9
	v_lshrrev_b32_e32 v5, 31, v2
	v_add_u32_e32 v2, v2, v5
	v_ashrrev_i32_e32 v2, 1, v2
	v_add3_u32 v2, v3, v4, v2
	v_ashrrev_i32_e32 v3, 31, v2
	v_lshrrev_b32_e32 v3, 30, v3
	v_add_u32_e32 v2, v2, v3
	global_load_ushort v3, v[13:14], off
	v_ashrrev_i32_e32 v2, 2, v2
	v_cvt_f32_i32_e32 v2, v2
	s_waitcnt vmcnt(0)
	v_cvt_f32_f16_e32 v3, v3
	v_mul_f32_e32 v3, v3, v6
	v_fmac_f32_e32 v17, v3, v2
	s_andn2_b64 exec, exec, s[2:3]
	s_cbranch_execnz .LBB180_3
; %bb.4:
	s_or_b64 exec, exec, s[2:3]
.LBB180_5:
	s_or_b64 exec, exec, s[0:1]
	v_mbcnt_lo_u32_b32 v2, -1, 0
	v_mbcnt_hi_u32_b32 v2, -1, v2
	v_and_b32_e32 v3, 64, v2
	v_add_u32_e32 v3, 64, v3
	v_xor_b32_e32 v4, 32, v2
	v_cmp_lt_i32_e32 vcc, v4, v3
	v_cndmask_b32_e32 v4, v2, v4, vcc
	v_lshlrev_b32_e32 v4, 2, v4
	ds_bpermute_b32 v7, v4, v16
	ds_bpermute_b32 v4, v4, v17
	v_xor_b32_e32 v5, 16, v2
	v_cmp_lt_i32_e32 vcc, v5, v3
	v_cndmask_b32_e32 v5, v2, v5, vcc
	v_lshlrev_b32_e32 v5, 2, v5
	s_waitcnt lgkmcnt(1)
	v_add_f32_e32 v7, v16, v7
	s_waitcnt lgkmcnt(0)
	v_add_f32_e32 v4, v17, v4
	ds_bpermute_b32 v9, v5, v7
	ds_bpermute_b32 v5, v5, v4
	v_xor_b32_e32 v6, 8, v2
	v_cmp_lt_i32_e32 vcc, v6, v3
	v_cndmask_b32_e32 v6, v2, v6, vcc
	v_lshlrev_b32_e32 v6, 2, v6
	s_waitcnt lgkmcnt(1)
	v_add_f32_e32 v7, v7, v9
	s_waitcnt lgkmcnt(0)
	v_add_f32_e32 v4, v4, v5
	;; [unrolled: 10-line block ×5, first 2 shown]
	ds_bpermute_b32 v3, v6, v2
	ds_bpermute_b32 v5, v6, v4
	v_add_u32_e32 v6, s6, v0
	v_cmp_gt_u32_e32 vcc, 2, v0
	v_cmp_gt_u32_e64 s[0:1], s8, v6
	s_and_b64 s[0:1], vcc, s[0:1]
	s_and_b64 exec, exec, s[0:1]
	s_cbranch_execz .LBB180_7
; %bb.6:
	v_mul_lo_u32 v1, s11, v1
	v_cmp_eq_u32_e32 vcc, 1, v0
	s_mul_i32 s0, s14, s7
	v_or_b32_e32 v0, s6, v0
	v_add3_u32 v0, v0, v1, s0
	v_mov_b32_e32 v1, 0
	v_lshlrev_b64 v[0:1], 2, v[0:1]
	s_waitcnt lgkmcnt(1)
	v_add_f32_e32 v2, v2, v3
	s_waitcnt lgkmcnt(0)
	v_add_f32_e32 v3, v4, v5
	v_cndmask_b32_e32 v2, v2, v3, vcc
	v_mov_b32_e32 v3, s23
	v_add_co_u32_e32 v0, vcc, s22, v0
	v_addc_co_u32_e32 v1, vcc, v3, v1, vcc
	global_store_dword v[0:1], v2, off
.LBB180_7:
	s_endpgm
	.section	.rodata,"a",@progbits
	.p2align	6, 0x0
	.amdhsa_kernel _ZL17mul_mat_vec_q_moeIL9ggml_type22ELi2EEvPKvS2_PKiPfj15HIP_vector_typeIjLj3EEjjjjjjjjj
		.amdhsa_group_segment_fixed_size 0
		.amdhsa_private_segment_fixed_size 0
		.amdhsa_kernarg_size 84
		.amdhsa_user_sgpr_count 6
		.amdhsa_user_sgpr_private_segment_buffer 1
		.amdhsa_user_sgpr_dispatch_ptr 0
		.amdhsa_user_sgpr_queue_ptr 0
		.amdhsa_user_sgpr_kernarg_segment_ptr 1
		.amdhsa_user_sgpr_dispatch_id 0
		.amdhsa_user_sgpr_flat_scratch_init 0
		.amdhsa_user_sgpr_private_segment_size 0
		.amdhsa_uses_dynamic_stack 0
		.amdhsa_system_sgpr_private_segment_wavefront_offset 0
		.amdhsa_system_sgpr_workgroup_id_x 1
		.amdhsa_system_sgpr_workgroup_id_y 1
		.amdhsa_system_sgpr_workgroup_id_z 0
		.amdhsa_system_sgpr_workgroup_info 0
		.amdhsa_system_vgpr_workitem_id 1
		.amdhsa_next_free_vgpr 45
		.amdhsa_next_free_sgpr 30
		.amdhsa_reserve_vcc 1
		.amdhsa_reserve_flat_scratch 0
		.amdhsa_float_round_mode_32 0
		.amdhsa_float_round_mode_16_64 0
		.amdhsa_float_denorm_mode_32 3
		.amdhsa_float_denorm_mode_16_64 3
		.amdhsa_dx10_clamp 1
		.amdhsa_ieee_mode 1
		.amdhsa_fp16_overflow 0
		.amdhsa_exception_fp_ieee_invalid_op 0
		.amdhsa_exception_fp_denorm_src 0
		.amdhsa_exception_fp_ieee_div_zero 0
		.amdhsa_exception_fp_ieee_overflow 0
		.amdhsa_exception_fp_ieee_underflow 0
		.amdhsa_exception_fp_ieee_inexact 0
		.amdhsa_exception_int_div_zero 0
	.end_amdhsa_kernel
	.section	.text._ZL17mul_mat_vec_q_moeIL9ggml_type22ELi2EEvPKvS2_PKiPfj15HIP_vector_typeIjLj3EEjjjjjjjjj,"axG",@progbits,_ZL17mul_mat_vec_q_moeIL9ggml_type22ELi2EEvPKvS2_PKiPfj15HIP_vector_typeIjLj3EEjjjjjjjjj,comdat
.Lfunc_end180:
	.size	_ZL17mul_mat_vec_q_moeIL9ggml_type22ELi2EEvPKvS2_PKiPfj15HIP_vector_typeIjLj3EEjjjjjjjjj, .Lfunc_end180-_ZL17mul_mat_vec_q_moeIL9ggml_type22ELi2EEvPKvS2_PKiPfj15HIP_vector_typeIjLj3EEjjjjjjjjj
                                        ; -- End function
	.set _ZL17mul_mat_vec_q_moeIL9ggml_type22ELi2EEvPKvS2_PKiPfj15HIP_vector_typeIjLj3EEjjjjjjjjj.num_vgpr, 45
	.set _ZL17mul_mat_vec_q_moeIL9ggml_type22ELi2EEvPKvS2_PKiPfj15HIP_vector_typeIjLj3EEjjjjjjjjj.num_agpr, 0
	.set _ZL17mul_mat_vec_q_moeIL9ggml_type22ELi2EEvPKvS2_PKiPfj15HIP_vector_typeIjLj3EEjjjjjjjjj.numbered_sgpr, 30
	.set _ZL17mul_mat_vec_q_moeIL9ggml_type22ELi2EEvPKvS2_PKiPfj15HIP_vector_typeIjLj3EEjjjjjjjjj.num_named_barrier, 0
	.set _ZL17mul_mat_vec_q_moeIL9ggml_type22ELi2EEvPKvS2_PKiPfj15HIP_vector_typeIjLj3EEjjjjjjjjj.private_seg_size, 0
	.set _ZL17mul_mat_vec_q_moeIL9ggml_type22ELi2EEvPKvS2_PKiPfj15HIP_vector_typeIjLj3EEjjjjjjjjj.uses_vcc, 1
	.set _ZL17mul_mat_vec_q_moeIL9ggml_type22ELi2EEvPKvS2_PKiPfj15HIP_vector_typeIjLj3EEjjjjjjjjj.uses_flat_scratch, 0
	.set _ZL17mul_mat_vec_q_moeIL9ggml_type22ELi2EEvPKvS2_PKiPfj15HIP_vector_typeIjLj3EEjjjjjjjjj.has_dyn_sized_stack, 0
	.set _ZL17mul_mat_vec_q_moeIL9ggml_type22ELi2EEvPKvS2_PKiPfj15HIP_vector_typeIjLj3EEjjjjjjjjj.has_recursion, 0
	.set _ZL17mul_mat_vec_q_moeIL9ggml_type22ELi2EEvPKvS2_PKiPfj15HIP_vector_typeIjLj3EEjjjjjjjjj.has_indirect_call, 0
	.section	.AMDGPU.csdata,"",@progbits
; Kernel info:
; codeLenInByte = 4804
; TotalNumSgprs: 34
; NumVgprs: 45
; ScratchSize: 0
; MemoryBound: 0
; FloatMode: 240
; IeeeMode: 1
; LDSByteSize: 0 bytes/workgroup (compile time only)
; SGPRBlocks: 4
; VGPRBlocks: 11
; NumSGPRsForWavesPerEU: 34
; NumVGPRsForWavesPerEU: 45
; Occupancy: 5
; WaveLimiterHint : 1
; COMPUTE_PGM_RSRC2:SCRATCH_EN: 0
; COMPUTE_PGM_RSRC2:USER_SGPR: 6
; COMPUTE_PGM_RSRC2:TRAP_HANDLER: 0
; COMPUTE_PGM_RSRC2:TGID_X_EN: 1
; COMPUTE_PGM_RSRC2:TGID_Y_EN: 1
; COMPUTE_PGM_RSRC2:TGID_Z_EN: 0
; COMPUTE_PGM_RSRC2:TIDIG_COMP_CNT: 1
	.section	.text._ZL13mul_mat_vec_qIL9ggml_type22ELi1ELb1ELb1EEvPKvS2_PKi31ggml_cuda_mm_fusion_args_devicePfj15HIP_vector_typeIjLj3EEjjjS8_jjjS8_jjjj,"axG",@progbits,_ZL13mul_mat_vec_qIL9ggml_type22ELi1ELb1ELb1EEvPKvS2_PKi31ggml_cuda_mm_fusion_args_devicePfj15HIP_vector_typeIjLj3EEjjjS8_jjjS8_jjjj,comdat
	.globl	_ZL13mul_mat_vec_qIL9ggml_type22ELi1ELb1ELb1EEvPKvS2_PKi31ggml_cuda_mm_fusion_args_devicePfj15HIP_vector_typeIjLj3EEjjjS8_jjjS8_jjjj ; -- Begin function _ZL13mul_mat_vec_qIL9ggml_type22ELi1ELb1ELb1EEvPKvS2_PKi31ggml_cuda_mm_fusion_args_devicePfj15HIP_vector_typeIjLj3EEjjjS8_jjjS8_jjjj
	.p2align	8
	.type	_ZL13mul_mat_vec_qIL9ggml_type22ELi1ELb1ELb1EEvPKvS2_PKi31ggml_cuda_mm_fusion_args_devicePfj15HIP_vector_typeIjLj3EEjjjS8_jjjS8_jjjj,@function
_ZL13mul_mat_vec_qIL9ggml_type22ELi1ELb1ELb1EEvPKvS2_PKi31ggml_cuda_mm_fusion_args_devicePfj15HIP_vector_typeIjLj3EEjjjS8_jjjS8_jjjj: ; @_ZL13mul_mat_vec_qIL9ggml_type22ELi1ELb1ELb1EEvPKvS2_PKi31ggml_cuda_mm_fusion_args_devicePfj15HIP_vector_typeIjLj3EEjjjS8_jjjS8_jjjj
; %bb.0:
	s_load_dwordx8 s[40:47], s[4:5], 0x0
	s_load_dwordx4 s[56:59], s[4:5], 0x20
	s_load_dwordx4 s[12:15], s[4:5], 0x40
	;; [unrolled: 1-line block ×3, first 2 shown]
	s_mov_b32 s60, s7
	s_waitcnt lgkmcnt(0)
	s_cmp_lg_u64 s[44:45], 0
	s_cselect_b64 s[0:1], -1, 0
	s_cmp_eq_u64 s[44:45], 0
	s_mov_b64 s[2:3], 0
	s_cbranch_scc1 .LBB181_5
; %bb.1:
	s_mov_b32 s61, 0
	s_lshl_b64 s[10:11], s[60:61], 2
	s_add_u32 s10, s44, s10
	s_addc_u32 s11, s45, s11
	s_load_dword s17, s[10:11], 0x0
	s_load_dword s16, s[4:5], 0x50
	;; [unrolled: 1-line block ×3, first 2 shown]
	s_andn2_b64 vcc, exec, s[2:3]
	s_cbranch_vccnz .LBB181_3
.LBB181_2:
	s_load_dwordx2 s[2:3], s[4:5], 0x5c
	s_waitcnt lgkmcnt(0)
	s_mul_hi_u32 s2, s2, s60
	s_add_i32 s2, s60, s2
	s_lshr_b32 s17, s2, s3
.LBB181_3:
	s_andn2_b64 vcc, exec, s[0:1]
	s_cbranch_vccnz .LBB181_6
; %bb.4:
	s_mul_hi_u32 s0, s13, s60
	s_add_i32 s0, s60, s0
	s_lshr_b32 s0, s0, s14
	s_mul_i32 s0, s0, s15
	s_sub_i32 s13, s60, s0
	s_waitcnt lgkmcnt(0)
	s_mov_b32 s19, s17
	s_branch .LBB181_7
.LBB181_5:
                                        ; implicit-def: $sgpr17
	s_load_dword s16, s[4:5], 0x50
	s_load_dword s18, s[4:5], 0x78
	s_branch .LBB181_2
.LBB181_6:
	s_mov_b32 s19, s60
	s_mov_b32 s13, s60
.LBB181_7:
	s_load_dword s9, s[4:5], 0x58
	s_load_dwordx4 s[52:55], s[4:5], 0x80
	s_lshl_b32 s44, s6, 1
	s_cmp_eq_u64 s[46:47], 0
	s_cselect_b64 s[0:1], -1, 0
	v_mov_b32_e32 v36, 0
	s_and_b64 vcc, exec, s[0:1]
	v_cmp_gt_u32_e64 s[2:3], 2, v0
	v_cmp_eq_u32_e64 s[6:7], 0, v1
	v_add_u32_e32 v35, s44, v0
	v_mov_b32_e32 v37, 0
	s_cbranch_vccnz .LBB181_11
; %bb.8:
	s_waitcnt lgkmcnt(0)
	v_cmp_gt_u32_e32 vcc, s9, v35
	s_and_b64 s[2:3], s[2:3], vcc
	s_mov_b32 s11, 0
	s_and_b64 s[6:7], s[2:3], s[6:7]
	v_mov_b32_e32 v37, 0
	s_and_saveexec_b64 s[2:3], s[6:7]
	s_cbranch_execz .LBB181_10
; %bb.9:
	s_mul_i32 s10, s54, s8
	s_lshl_b64 s[6:7], s[10:11], 2
	s_add_u32 s14, s46, s6
	s_mul_i32 s10, s19, s50
	s_addc_u32 s15, s47, s7
	s_lshl_b64 s[6:7], s[10:11], 2
	s_add_u32 s10, s14, s6
	s_addc_u32 s11, s15, s7
	s_ashr_i32 s45, s44, 31
	s_lshl_b64 s[6:7], s[44:45], 2
	s_add_u32 s6, s10, s6
	s_addc_u32 s7, s11, s7
	v_lshlrev_b32_e32 v2, 2, v0
	global_load_dword v37, v2, s[6:7]
.LBB181_10:
	s_or_b64 exec, exec, s[2:3]
.LBB181_11:
	s_cmp_lg_u64 s[56:57], 0
	s_cselect_b64 s[46:47], -1, 0
	s_cmp_eq_u64 s[56:57], 0
	s_cselect_b64 s[22:23], -1, 0
	s_cmp_lg_u64 s[58:59], 0
	s_cselect_b64 s[2:3], -1, 0
	s_and_b64 s[6:7], s[2:3], s[46:47]
	s_andn2_b64 vcc, exec, s[6:7]
	s_waitcnt lgkmcnt(0)
	v_cmp_gt_u32_e64 s[6:7], s9, v35
	s_cbranch_vccnz .LBB181_15
; %bb.12:
	v_cmp_gt_u32_e32 vcc, 2, v0
	v_cmp_eq_u32_e64 s[10:11], 0, v1
	s_and_b64 s[6:7], vcc, s[6:7]
	s_mov_b32 s15, 0
	s_and_b64 s[10:11], s[6:7], s[10:11]
	v_mov_b32_e32 v36, 0
	s_and_saveexec_b64 s[6:7], s[10:11]
	s_cbranch_execz .LBB181_14
; %bb.13:
	s_mul_i32 s14, s54, s8
	s_lshl_b64 s[10:11], s[14:15], 2
	s_add_u32 s20, s58, s10
	s_mul_i32 s14, s19, s50
	s_addc_u32 s21, s59, s11
	s_lshl_b64 s[10:11], s[14:15], 2
	s_add_u32 s14, s20, s10
	s_addc_u32 s15, s21, s11
	s_ashr_i32 s45, s44, 31
	s_lshl_b64 s[10:11], s[44:45], 2
	s_add_u32 s10, s14, s10
	s_addc_u32 s11, s15, s11
	v_lshlrev_b32_e32 v2, 2, v0
	global_load_dword v36, v2, s[10:11]
.LBB181_14:
	s_or_b64 exec, exec, s[6:7]
.LBB181_15:
	v_lshl_add_u32 v2, v1, 6, v0
	v_mov_b32_e32 v12, 0
	s_lshr_b32 s33, s12, 8
	v_lshrrev_b32_e32 v39, 3, v2
	v_mov_b32_e32 v13, v12
	v_mov_b32_e32 v10, v12
	v_cmp_gt_u32_e32 vcc, s33, v39
	v_cndmask_b32_e64 v38, 0, 1, s[46:47]
	v_mov_b32_e32 v14, v12
	v_mov_b32_e32 v11, v13
	s_and_saveexec_b64 s[58:59], vcc
	s_cbranch_execz .LBB181_23
; %bb.16:
	s_mul_hi_u32 s6, s51, s8
	s_add_i32 s6, s8, s6
	s_lshr_b32 s6, s6, s18
	s_mul_i32 s7, s17, s48
	s_mul_i32 s6, s6, s52
	s_mul_i32 s11, s13, s49
	s_add_i32 s51, s7, s6
	s_mul_hi_u32 s6, s11, 36
	s_mul_i32 s11, s11, 36
	v_lshrrev_b32_e32 v5, 3, v2
	v_mov_b32_e32 v2, s11
	v_mov_b32_e32 v3, s6
	s_movk_i32 s6, 0x120
	v_mad_u64_u32 v[2:3], s[6:7], v5, s6, v[2:3]
	s_mul_i32 s10, s53, s8
	s_mul_i32 s6, s44, s16
	s_add_i32 s45, s51, s6
	v_mad_u64_u32 v[2:3], s[6:7], s10, 36, v[2:3]
	v_and_b32_e32 v40, 7, v0
	s_add_i32 s6, s44, 1
	s_mul_i32 s16, s16, s6
	v_mad_u64_u32 v[2:3], s[6:7], v40, 36, v[2:3]
	v_mov_b32_e32 v5, s43
	v_mov_b32_e32 v13, 0
	v_add_co_u32_e32 v2, vcc, s42, v2
	v_addc_co_u32_e32 v3, vcc, v5, v3, vcc
                                        ; implicit-def: $vgpr110 : SGPR spill to VGPR lane
	v_lshlrev_b32_e32 v4, 1, v40
	v_add_co_u32_e32 v15, vcc, 32, v2
	v_mov_b32_e32 v14, v13
	v_mov_b32_e32 v17, s40
	;; [unrolled: 1-line block ×3, first 2 shown]
	v_writelane_b32 v110, s22, 0
	s_add_i32 s51, s51, s16
	v_addc_co_u32_e32 v16, vcc, 0, v3, vcc
	s_mov_b64 s[42:43], 0
	s_movk_i32 s55, 0x52
	v_mov_b32_e32 v18, s41
	s_movk_i32 s61, 0x300
	s_movk_i32 s90, 0xff00
	s_mov_b32 s91, 0xc0c0105
	v_lshlrev_b32_e32 v41, 1, v4
	v_cmp_ne_u32_e64 s[6:7], 1, v38
	v_mov_b32_e32 v42, 8
	v_mov_b32_e32 v11, v14
	;; [unrolled: 1-line block ×4, first 2 shown]
	v_writelane_b32 v110, s23, 1
	s_branch .LBB181_18
.LBB181_17:                             ;   in Loop: Header=BB181_18 Depth=1
	v_lshrrev_b16_e32 v63, 7, v63
	v_lshrrev_b32_e32 v64, 2, v46
	v_cndmask_b32_e64 v65, 0, -1, s[86:87]
	v_cndmask_b32_e64 v67, 0, -1, s[30:31]
	v_bfe_i32 v63, v63, 0, 1
	v_lshlrev_b16_e32 v65, 8, v65
	v_lshlrev_b16_e32 v67, 8, v67
	v_bfe_i32 v64, v64, 0, 1
	v_or_b32_sdwa v66, v63, v65 dst_sel:DWORD dst_unused:UNUSED_PAD src0_sel:BYTE_0 src1_sel:DWORD
	v_or_b32_sdwa v68, v64, v67 dst_sel:WORD_1 dst_unused:UNUSED_PAD src0_sel:BYTE_0 src1_sel:DWORD
	v_or_b32_sdwa v66, v66, v68 dst_sel:DWORD dst_unused:UNUSED_PAD src0_sel:WORD_0 src1_sel:DWORD
	v_xor_b32_e32 v25, v25, v66
	v_and_b32_e32 v66, 0xffffff00, v25
	v_lshrrev_b16_e32 v62, 7, v62
	v_lshrrev_b32_e32 v68, 6, v46
	v_cndmask_b32_e64 v69, 0, -1, s[84:85]
	v_cndmask_b32_e64 v71, 0, -1, s[28:29]
	v_sub_i16 v65, v66, v65 clamp
	v_lshlrev_b16_e32 v66, 8, v25
	v_lshlrev_b16_e32 v63, 8, v63
	v_bfe_i32 v62, v62, 0, 1
	v_lshlrev_b16_e32 v69, 8, v69
	v_lshlrev_b16_e32 v71, 8, v71
	v_bfe_i32 v68, v68, 0, 1
	v_sub_i16 v63, v66, v63 clamp
	v_or_b32_sdwa v70, v62, v69 dst_sel:DWORD dst_unused:UNUSED_PAD src0_sel:BYTE_0 src1_sel:DWORD
	v_or_b32_sdwa v72, v68, v71 dst_sel:WORD_1 dst_unused:UNUSED_PAD src0_sel:BYTE_0 src1_sel:DWORD
	v_perm_b32 v63, v63, v65, s91
	v_and_b32_sdwa v65, v25, s90 dst_sel:DWORD dst_unused:UNUSED_PAD src0_sel:WORD_1 src1_sel:DWORD
	v_lshlrev_b16_sdwa v25, v42, v25 dst_sel:DWORD dst_unused:UNUSED_PAD src0_sel:DWORD src1_sel:WORD_1
	v_lshlrev_b16_e32 v64, 8, v64
	v_or_b32_sdwa v70, v70, v72 dst_sel:DWORD dst_unused:UNUSED_PAD src0_sel:WORD_0 src1_sel:DWORD
	v_sub_i16 v65, v65, v67 clamp
	v_sub_i16 v25, v25, v64 clamp
	v_perm_b32 v25, v25, v65, s91
	v_xor_b32_e32 v26, v26, v70
	v_lshl_or_b32 v25, v25, 16, v63
	v_and_b32_e32 v63, 0xffffff00, v26
	v_lshlrev_b16_e32 v64, 8, v26
	v_lshlrev_b16_e32 v62, 8, v62
	v_sub_i16 v63, v63, v69 clamp
	v_sub_i16 v62, v64, v62 clamp
	v_perm_b32 v62, v62, v63, s91
	v_and_b32_sdwa v63, v26, s90 dst_sel:DWORD dst_unused:UNUSED_PAD src0_sel:WORD_1 src1_sel:DWORD
	v_lshlrev_b16_sdwa v26, v42, v26 dst_sel:DWORD dst_unused:UNUSED_PAD src0_sel:DWORD src1_sel:WORD_1
	v_lshlrev_b16_e32 v64, 8, v68
	v_sub_i16 v63, v63, v71 clamp
	v_sub_i16 v26, v26, v64 clamp
	v_perm_b32 v26, v26, v63, s91
	v_lshl_or_b32 v26, v26, 16, v62
	v_dot4_i32_i8 v25, v25, v7, 0
	v_dot4_i32_i8 v25, v26, v8, v25
	v_lshrrev_b32_e32 v26, 11, v46
	v_lshrrev_b32_e32 v62, 10, v46
	v_lshrrev_b16_e32 v61, 7, v61
	v_cndmask_b32_e64 v63, 0, -1, s[82:83]
	v_bfe_i32 v26, v26, 0, 1
	v_bfe_i32 v61, v61, 0, 1
	v_lshlrev_b16_e32 v63, 8, v63
	v_lshlrev_b16_e32 v26, 8, v26
	v_bfe_i32 v62, v62, 0, 1
	v_or_b32_sdwa v64, v61, v63 dst_sel:DWORD dst_unused:UNUSED_PAD src0_sel:BYTE_0 src1_sel:DWORD
	v_or_b32_sdwa v65, v62, v26 dst_sel:WORD_1 dst_unused:UNUSED_PAD src0_sel:BYTE_0 src1_sel:DWORD
	v_or_b32_sdwa v64, v64, v65 dst_sel:DWORD dst_unused:UNUSED_PAD src0_sel:WORD_0 src1_sel:DWORD
	v_xor_b32_e32 v23, v23, v64
	v_lshrrev_b32_e32 v65, 15, v46
	v_and_b32_e32 v64, 0xffffff00, v23
	v_lshrrev_b32_e32 v66, 14, v46
	v_lshrrev_b16_e32 v60, 7, v60
	v_cndmask_b32_e64 v67, 0, -1, s[80:81]
	v_bfe_i32 v65, v65, 0, 1
	v_sub_i16 v63, v64, v63 clamp
	v_lshlrev_b16_e32 v64, 8, v23
	v_lshlrev_b16_e32 v61, 8, v61
	v_bfe_i32 v60, v60, 0, 1
	v_lshlrev_b16_e32 v67, 8, v67
	v_lshlrev_b16_e32 v65, 8, v65
	v_bfe_i32 v66, v66, 0, 1
	v_sub_i16 v61, v64, v61 clamp
	v_or_b32_sdwa v68, v60, v67 dst_sel:DWORD dst_unused:UNUSED_PAD src0_sel:BYTE_0 src1_sel:DWORD
	v_or_b32_sdwa v69, v66, v65 dst_sel:WORD_1 dst_unused:UNUSED_PAD src0_sel:BYTE_0 src1_sel:DWORD
	v_perm_b32 v61, v61, v63, s91
	v_and_b32_sdwa v63, v23, s90 dst_sel:DWORD dst_unused:UNUSED_PAD src0_sel:WORD_1 src1_sel:DWORD
	v_lshlrev_b16_sdwa v23, v42, v23 dst_sel:DWORD dst_unused:UNUSED_PAD src0_sel:DWORD src1_sel:WORD_1
	v_lshlrev_b16_e32 v62, 8, v62
	v_or_b32_sdwa v68, v68, v69 dst_sel:DWORD dst_unused:UNUSED_PAD src0_sel:WORD_0 src1_sel:DWORD
	v_sub_i16 v26, v63, v26 clamp
	v_sub_i16 v23, v23, v62 clamp
	v_perm_b32 v23, v23, v26, s91
	v_xor_b32_e32 v24, v24, v68
	v_lshl_or_b32 v23, v23, 16, v61
	v_and_b32_e32 v26, 0xffffff00, v24
	v_lshlrev_b16_e32 v61, 8, v24
	v_lshlrev_b16_e32 v60, 8, v60
	v_sub_i16 v26, v26, v67 clamp
	v_sub_i16 v60, v61, v60 clamp
	v_perm_b32 v26, v60, v26, s91
	v_and_b32_sdwa v60, v24, s90 dst_sel:DWORD dst_unused:UNUSED_PAD src0_sel:WORD_1 src1_sel:DWORD
	v_lshlrev_b16_sdwa v24, v42, v24 dst_sel:DWORD dst_unused:UNUSED_PAD src0_sel:DWORD src1_sel:WORD_1
	v_lshlrev_b16_e32 v61, 8, v66
	v_sub_i16 v60, v60, v65 clamp
	v_sub_i16 v24, v24, v61 clamp
	v_perm_b32 v24, v24, v60, s91
	v_lshl_or_b32 v24, v24, 16, v26
	v_dot4_i32_i8 v23, v23, v9, v25
	v_dot4_i32_i8 v23, v24, v2, v23
	v_lshrrev_b16_e32 v24, 7, v59
	v_lshrrev_b32_e32 v25, 18, v46
	v_cndmask_b32_e64 v26, 0, -1, s[78:79]
	v_cndmask_b32_e64 v60, 0, -1, s[26:27]
	v_bfe_i32 v24, v24, 0, 1
	v_lshlrev_b16_e32 v26, 8, v26
	v_lshlrev_b16_e32 v60, 8, v60
	v_bfe_i32 v25, v25, 0, 1
	v_or_b32_sdwa v59, v24, v26 dst_sel:DWORD dst_unused:UNUSED_PAD src0_sel:BYTE_0 src1_sel:DWORD
	v_or_b32_sdwa v61, v25, v60 dst_sel:WORD_1 dst_unused:UNUSED_PAD src0_sel:BYTE_0 src1_sel:DWORD
	v_or_b32_sdwa v59, v59, v61 dst_sel:DWORD dst_unused:UNUSED_PAD src0_sel:WORD_0 src1_sel:DWORD
	v_xor_b32_e32 v21, v21, v59
	v_and_b32_e32 v59, 0xffffff00, v21
	v_lshrrev_b16_e32 v58, 7, v58
	v_lshrrev_b32_e32 v61, 22, v46
	v_cndmask_b32_e64 v62, 0, -1, s[76:77]
	v_cndmask_b32_e64 v64, 0, -1, s[24:25]
	v_sub_i16 v26, v59, v26 clamp
	v_lshlrev_b16_e32 v59, 8, v21
	v_lshlrev_b16_e32 v24, 8, v24
	v_bfe_i32 v58, v58, 0, 1
	v_lshlrev_b16_e32 v62, 8, v62
	v_lshlrev_b16_e32 v64, 8, v64
	v_bfe_i32 v61, v61, 0, 1
	v_sub_i16 v24, v59, v24 clamp
	v_or_b32_sdwa v63, v58, v62 dst_sel:DWORD dst_unused:UNUSED_PAD src0_sel:BYTE_0 src1_sel:DWORD
	v_or_b32_sdwa v65, v61, v64 dst_sel:WORD_1 dst_unused:UNUSED_PAD src0_sel:BYTE_0 src1_sel:DWORD
	v_perm_b32 v24, v24, v26, s91
	v_and_b32_sdwa v26, v21, s90 dst_sel:DWORD dst_unused:UNUSED_PAD src0_sel:WORD_1 src1_sel:DWORD
	v_lshlrev_b16_sdwa v21, v42, v21 dst_sel:DWORD dst_unused:UNUSED_PAD src0_sel:DWORD src1_sel:WORD_1
	v_lshlrev_b16_e32 v25, 8, v25
	v_or_b32_sdwa v63, v63, v65 dst_sel:DWORD dst_unused:UNUSED_PAD src0_sel:WORD_0 src1_sel:DWORD
	v_sub_i16 v26, v26, v60 clamp
	v_sub_i16 v21, v21, v25 clamp
	v_perm_b32 v21, v21, v26, s91
	v_xor_b32_e32 v22, v22, v63
	v_lshl_or_b32 v21, v21, 16, v24
	v_and_b32_e32 v24, 0xffffff00, v22
	v_lshlrev_b16_e32 v25, 8, v22
	v_lshlrev_b16_e32 v26, 8, v58
	v_sub_i16 v24, v24, v62 clamp
	v_sub_i16 v25, v25, v26 clamp
	v_perm_b32 v24, v25, v24, s91
	v_and_b32_sdwa v25, v22, s90 dst_sel:DWORD dst_unused:UNUSED_PAD src0_sel:WORD_1 src1_sel:DWORD
	v_lshlrev_b16_sdwa v22, v42, v22 dst_sel:DWORD dst_unused:UNUSED_PAD src0_sel:DWORD src1_sel:WORD_1
	v_lshlrev_b16_e32 v26, 8, v61
	v_sub_i16 v25, v25, v64 clamp
	v_sub_i16 v22, v22, v26 clamp
	v_perm_b32 v22, v22, v25, s91
	v_lshl_or_b32 v22, v22, 16, v24
	v_dot4_i32_i8 v21, v21, v3, 0
	v_dot4_i32_i8 v21, v22, v4, v21
	v_lshrrev_b16_e32 v22, 7, v57
	v_lshrrev_b32_e32 v24, 26, v46
	v_cndmask_b32_e64 v25, 0, -1, s[74:75]
	v_cndmask_b32_e64 v57, 0, -1, s[22:23]
	v_bfe_i32 v22, v22, 0, 1
	v_lshlrev_b16_e32 v25, 8, v25
	v_lshlrev_b16_e32 v57, 8, v57
	v_bfe_i32 v24, v24, 0, 1
	v_or_b32_sdwa v26, v22, v25 dst_sel:DWORD dst_unused:UNUSED_PAD src0_sel:BYTE_0 src1_sel:DWORD
	v_or_b32_sdwa v58, v24, v57 dst_sel:WORD_1 dst_unused:UNUSED_PAD src0_sel:BYTE_0 src1_sel:DWORD
	v_or_b32_sdwa v26, v26, v58 dst_sel:DWORD dst_unused:UNUSED_PAD src0_sel:WORD_0 src1_sel:DWORD
	v_lshrrev_b32_e32 v58, 21, v46
	v_xor_b32_e32 v19, v19, v26
	v_lshrrev_b16_e32 v59, 8, v58
	v_and_b32_e32 v26, 0xffffff00, v19
	v_lshrrev_b32_e32 v46, 30, v46
	v_lshrrev_b16_e32 v58, 7, v58
	v_bfe_i32 v59, v59, 0, 1
	v_cndmask_b32_e64 v61, 0, -1, s[20:21]
	v_sub_i16 v25, v26, v25 clamp
	v_lshlrev_b16_e32 v26, 8, v19
	v_lshlrev_b16_e32 v22, 8, v22
	;; [unrolled: 1-line block ×3, first 2 shown]
	v_bfe_i32 v58, v58, 0, 1
	v_bfe_i32 v46, v46, 0, 1
	v_lshlrev_b16_e32 v61, 8, v61
	v_sub_i16 v22, v26, v22 clamp
	v_or_b32_sdwa v60, v58, v59 dst_sel:DWORD dst_unused:UNUSED_PAD src0_sel:BYTE_0 src1_sel:DWORD
	v_or_b32_sdwa v62, v46, v61 dst_sel:WORD_1 dst_unused:UNUSED_PAD src0_sel:BYTE_0 src1_sel:DWORD
	v_perm_b32 v22, v22, v25, s91
	v_and_b32_sdwa v25, v19, s90 dst_sel:DWORD dst_unused:UNUSED_PAD src0_sel:WORD_1 src1_sel:DWORD
	v_lshlrev_b16_sdwa v19, v42, v19 dst_sel:DWORD dst_unused:UNUSED_PAD src0_sel:DWORD src1_sel:WORD_1
	v_lshlrev_b16_e32 v24, 8, v24
	v_or_b32_sdwa v60, v60, v62 dst_sel:DWORD dst_unused:UNUSED_PAD src0_sel:WORD_0 src1_sel:DWORD
	v_sub_i16 v25, v25, v57 clamp
	v_sub_i16 v19, v19, v24 clamp
	v_perm_b32 v19, v19, v25, s91
	v_xor_b32_e32 v20, v20, v60
	v_lshl_or_b32 v19, v19, 16, v22
	v_and_b32_e32 v22, 0xffffff00, v20
	v_lshlrev_b16_e32 v24, 8, v20
	v_lshlrev_b16_e32 v25, 8, v58
	v_sub_i16 v22, v22, v59 clamp
	v_sub_i16 v24, v24, v25 clamp
	v_perm_b32 v22, v24, v22, s91
	v_and_b32_sdwa v24, v20, s90 dst_sel:DWORD dst_unused:UNUSED_PAD src0_sel:WORD_1 src1_sel:DWORD
	v_lshlrev_b16_sdwa v20, v42, v20 dst_sel:DWORD dst_unused:UNUSED_PAD src0_sel:DWORD src1_sel:WORD_1
	v_lshlrev_b16_e32 v25, 8, v46
	v_sub_i16 v24, v24, v61 clamp
	v_sub_i16 v20, v20, v25 clamp
	v_perm_b32 v20, v20, v24, s91
	v_lshl_or_b32 v20, v20, 16, v22
	v_dot4_i32_i8 v19, v19, v5, v21
	v_dot4_i32_i8 v19, v20, v43, v19
	v_bfe_u32 v20, v45, 4, 4
	v_and_b32_e32 v21, 15, v45
	v_mul_lo_u32 v21, v23, v21
	v_mul_lo_u32 v20, v19, v20
	v_add_u32_e32 v19, v19, v23
	v_lshrrev_b32_e32 v22, 31, v19
	v_add_u32_e32 v19, v19, v22
	v_ashrrev_i32_e32 v19, 1, v19
	v_add3_u32 v19, v20, v21, v19
	v_lshrrev_b16_e32 v21, 7, v56
	v_lshrrev_b32_e32 v22, 2, v48
	v_cndmask_b32_e64 v23, 0, -1, s[72:73]
	v_cndmask_b32_e64 v25, 0, -1, s[18:19]
	v_bfe_i32 v21, v21, 0, 1
	v_lshlrev_b16_e32 v23, 8, v23
	v_lshlrev_b16_e32 v25, 8, v25
	v_bfe_i32 v22, v22, 0, 1
	v_or_b32_sdwa v24, v21, v23 dst_sel:DWORD dst_unused:UNUSED_PAD src0_sel:BYTE_0 src1_sel:DWORD
	v_or_b32_sdwa v26, v22, v25 dst_sel:WORD_1 dst_unused:UNUSED_PAD src0_sel:BYTE_0 src1_sel:DWORD
	v_or_b32_sdwa v24, v24, v26 dst_sel:DWORD dst_unused:UNUSED_PAD src0_sel:WORD_0 src1_sel:DWORD
	s_waitcnt vmcnt(3)
	v_xor_b32_e32 v24, v33, v24
	v_ashrrev_i32_e32 v20, 31, v19
	v_and_b32_e32 v33, 0xffffff00, v24
	v_lshrrev_b32_e32 v20, 30, v20
	v_sub_i16 v23, v33, v23 clamp
	v_lshlrev_b16_e32 v33, 8, v24
	v_lshlrev_b16_e32 v21, 8, v21
	v_add_u32_e32 v19, v19, v20
	v_cvt_f32_f16_e32 v20, v44
	v_lshrrev_b16_e32 v26, 7, v55
	v_lshrrev_b32_e32 v44, 6, v48
	v_cndmask_b32_e64 v45, 0, -1, s[70:71]
	v_cndmask_b32_e64 v55, 0, -1, s[16:17]
	v_sub_i16 v21, v33, v21 clamp
	v_bfe_i32 v26, v26, 0, 1
	v_lshlrev_b16_e32 v45, 8, v45
	v_lshlrev_b16_e32 v55, 8, v55
	v_bfe_i32 v44, v44, 0, 1
	v_perm_b32 v21, v21, v23, s91
	v_and_b32_sdwa v23, v24, s90 dst_sel:DWORD dst_unused:UNUSED_PAD src0_sel:WORD_1 src1_sel:DWORD
	v_lshlrev_b16_sdwa v24, v42, v24 dst_sel:DWORD dst_unused:UNUSED_PAD src0_sel:DWORD src1_sel:WORD_1
	v_lshlrev_b16_e32 v22, 8, v22
	v_or_b32_sdwa v46, v26, v45 dst_sel:DWORD dst_unused:UNUSED_PAD src0_sel:BYTE_0 src1_sel:DWORD
	v_or_b32_sdwa v56, v44, v55 dst_sel:WORD_1 dst_unused:UNUSED_PAD src0_sel:BYTE_0 src1_sel:DWORD
	v_sub_i16 v23, v23, v25 clamp
	v_sub_i16 v22, v24, v22 clamp
	v_or_b32_sdwa v46, v46, v56 dst_sel:DWORD dst_unused:UNUSED_PAD src0_sel:WORD_0 src1_sel:DWORD
	v_perm_b32 v22, v22, v23, s91
	v_lshl_or_b32 v21, v22, 16, v21
	v_xor_b32_e32 v22, v34, v46
	v_and_b32_e32 v23, 0xffffff00, v22
	v_lshlrev_b16_e32 v24, 8, v22
	v_lshlrev_b16_e32 v25, 8, v26
	v_sub_i16 v23, v23, v45 clamp
	v_sub_i16 v24, v24, v25 clamp
	v_perm_b32 v23, v24, v23, s91
	v_and_b32_sdwa v24, v22, s90 dst_sel:DWORD dst_unused:UNUSED_PAD src0_sel:WORD_1 src1_sel:DWORD
	v_lshlrev_b16_sdwa v22, v42, v22 dst_sel:DWORD dst_unused:UNUSED_PAD src0_sel:DWORD src1_sel:WORD_1
	v_lshlrev_b16_e32 v25, 8, v44
	v_sub_i16 v24, v24, v55 clamp
	v_sub_i16 v22, v22, v25 clamp
	v_perm_b32 v22, v22, v24, s91
	v_lshl_or_b32 v22, v22, 16, v23
	v_dot4_i32_i8 v7, v21, v7, 0
	v_dot4_i32_i8 v7, v22, v8, v7
	v_lshrrev_b32_e32 v8, 11, v48
	v_lshrrev_b32_e32 v21, 10, v48
	v_lshrrev_b16_e32 v22, 7, v54
	v_cndmask_b32_e64 v23, 0, -1, s[68:69]
	v_bfe_i32 v8, v8, 0, 1
	v_bfe_i32 v22, v22, 0, 1
	v_lshlrev_b16_e32 v23, 8, v23
	v_lshlrev_b16_e32 v8, 8, v8
	v_bfe_i32 v21, v21, 0, 1
	v_or_b32_sdwa v24, v22, v23 dst_sel:DWORD dst_unused:UNUSED_PAD src0_sel:BYTE_0 src1_sel:DWORD
	v_or_b32_sdwa v25, v21, v8 dst_sel:WORD_1 dst_unused:UNUSED_PAD src0_sel:BYTE_0 src1_sel:DWORD
	v_or_b32_sdwa v24, v24, v25 dst_sel:DWORD dst_unused:UNUSED_PAD src0_sel:WORD_0 src1_sel:DWORD
	s_waitcnt vmcnt(2)
	v_xor_b32_e32 v24, v31, v24
	v_and_b32_e32 v31, 0xffffff00, v24
	v_lshrrev_b32_e32 v25, 15, v48
	v_sub_i16 v23, v31, v23 clamp
	v_lshlrev_b16_e32 v31, 8, v24
	v_lshlrev_b16_e32 v22, 8, v22
	v_lshrrev_b32_e32 v26, 14, v48
	v_lshrrev_b16_e32 v33, 7, v53
	v_cndmask_b32_e64 v34, 0, -1, s[66:67]
	v_bfe_i32 v25, v25, 0, 1
	v_sub_i16 v22, v31, v22 clamp
	v_bfe_i32 v33, v33, 0, 1
	v_lshlrev_b16_e32 v34, 8, v34
	v_lshlrev_b16_e32 v25, 8, v25
	v_bfe_i32 v26, v26, 0, 1
	v_perm_b32 v22, v22, v23, s91
	v_and_b32_sdwa v23, v24, s90 dst_sel:DWORD dst_unused:UNUSED_PAD src0_sel:WORD_1 src1_sel:DWORD
	v_or_b32_sdwa v44, v33, v34 dst_sel:DWORD dst_unused:UNUSED_PAD src0_sel:BYTE_0 src1_sel:DWORD
	v_or_b32_sdwa v45, v26, v25 dst_sel:WORD_1 dst_unused:UNUSED_PAD src0_sel:BYTE_0 src1_sel:DWORD
	v_sub_i16 v8, v23, v8 clamp
	v_lshlrev_b16_sdwa v23, v42, v24 dst_sel:DWORD dst_unused:UNUSED_PAD src0_sel:DWORD src1_sel:WORD_1
	v_lshlrev_b16_e32 v21, 8, v21
	v_or_b32_sdwa v44, v44, v45 dst_sel:DWORD dst_unused:UNUSED_PAD src0_sel:WORD_0 src1_sel:DWORD
	v_sub_i16 v21, v23, v21 clamp
	v_perm_b32 v8, v21, v8, s91
	v_xor_b32_e32 v21, v32, v44
	v_lshl_or_b32 v8, v8, 16, v22
	v_and_b32_e32 v22, 0xffffff00, v21
	v_lshlrev_b16_e32 v23, 8, v21
	v_lshlrev_b16_e32 v24, 8, v33
	v_sub_i16 v22, v22, v34 clamp
	v_sub_i16 v23, v23, v24 clamp
	v_perm_b32 v22, v23, v22, s91
	v_and_b32_sdwa v23, v21, s90 dst_sel:DWORD dst_unused:UNUSED_PAD src0_sel:WORD_1 src1_sel:DWORD
	v_lshlrev_b16_sdwa v21, v42, v21 dst_sel:DWORD dst_unused:UNUSED_PAD src0_sel:DWORD src1_sel:WORD_1
	v_lshlrev_b16_e32 v24, 8, v26
	v_sub_i16 v23, v23, v25 clamp
	v_sub_i16 v21, v21, v24 clamp
	v_perm_b32 v21, v21, v23, s91
	v_lshl_or_b32 v21, v21, 16, v22
	v_dot4_i32_i8 v7, v8, v9, v7
	v_dot4_i32_i8 v2, v21, v2, v7
	v_lshrrev_b16_e32 v7, 7, v52
	v_lshrrev_b32_e32 v8, 18, v48
	v_cndmask_b32_e64 v9, 0, -1, s[64:65]
	v_cndmask_b32_e64 v22, 0, -1, s[14:15]
	v_bfe_i32 v7, v7, 0, 1
	v_lshlrev_b16_e32 v9, 8, v9
	v_lshlrev_b16_e32 v22, 8, v22
	v_bfe_i32 v8, v8, 0, 1
	v_or_b32_sdwa v21, v7, v9 dst_sel:DWORD dst_unused:UNUSED_PAD src0_sel:BYTE_0 src1_sel:DWORD
	v_or_b32_sdwa v23, v8, v22 dst_sel:WORD_1 dst_unused:UNUSED_PAD src0_sel:BYTE_0 src1_sel:DWORD
	v_or_b32_sdwa v21, v21, v23 dst_sel:DWORD dst_unused:UNUSED_PAD src0_sel:WORD_0 src1_sel:DWORD
	s_waitcnt vmcnt(1)
	v_xor_b32_e32 v21, v29, v21
	v_and_b32_e32 v29, 0xffffff00, v21
	v_sub_i16 v9, v29, v9 clamp
	v_lshlrev_b16_e32 v29, 8, v21
	v_lshlrev_b16_e32 v7, 8, v7
	v_lshrrev_b16_e32 v23, 7, v51
	v_lshrrev_b32_e32 v24, 22, v48
	v_cndmask_b32_e64 v25, 0, -1, s[52:53]
	v_cndmask_b32_e64 v31, 0, -1, s[12:13]
	v_sub_i16 v7, v29, v7 clamp
	v_bfe_i32 v23, v23, 0, 1
	v_lshlrev_b16_e32 v25, 8, v25
	v_lshlrev_b16_e32 v31, 8, v31
	v_bfe_i32 v24, v24, 0, 1
	v_perm_b32 v7, v7, v9, s91
	v_and_b32_sdwa v9, v21, s90 dst_sel:DWORD dst_unused:UNUSED_PAD src0_sel:WORD_1 src1_sel:DWORD
	v_lshlrev_b16_sdwa v21, v42, v21 dst_sel:DWORD dst_unused:UNUSED_PAD src0_sel:DWORD src1_sel:WORD_1
	v_lshlrev_b16_e32 v8, 8, v8
	v_or_b32_sdwa v26, v23, v25 dst_sel:DWORD dst_unused:UNUSED_PAD src0_sel:BYTE_0 src1_sel:DWORD
	v_or_b32_sdwa v32, v24, v31 dst_sel:WORD_1 dst_unused:UNUSED_PAD src0_sel:BYTE_0 src1_sel:DWORD
	v_sub_i16 v9, v9, v22 clamp
	v_sub_i16 v8, v21, v8 clamp
	v_or_b32_sdwa v26, v26, v32 dst_sel:DWORD dst_unused:UNUSED_PAD src0_sel:WORD_0 src1_sel:DWORD
	v_perm_b32 v8, v8, v9, s91
	v_lshl_or_b32 v7, v8, 16, v7
	v_xor_b32_e32 v8, v30, v26
	v_and_b32_e32 v9, 0xffffff00, v8
	v_lshlrev_b16_e32 v21, 8, v8
	v_lshlrev_b16_e32 v22, 8, v23
	v_sub_i16 v9, v9, v25 clamp
	v_sub_i16 v21, v21, v22 clamp
	v_perm_b32 v9, v21, v9, s91
	v_and_b32_sdwa v21, v8, s90 dst_sel:DWORD dst_unused:UNUSED_PAD src0_sel:WORD_1 src1_sel:DWORD
	v_lshlrev_b16_sdwa v8, v42, v8 dst_sel:DWORD dst_unused:UNUSED_PAD src0_sel:DWORD src1_sel:WORD_1
	v_lshlrev_b16_e32 v22, 8, v24
	v_sub_i16 v21, v21, v31 clamp
	v_sub_i16 v8, v8, v22 clamp
	v_perm_b32 v8, v8, v21, s91
	v_lshl_or_b32 v8, v8, 16, v9
	v_dot4_i32_i8 v3, v7, v3, 0
	v_dot4_i32_i8 v3, v8, v4, v3
	v_lshrrev_b16_e32 v4, 7, v50
	v_lshrrev_b32_e32 v7, 26, v48
	v_cndmask_b32_e64 v8, 0, -1, s[48:49]
	v_cndmask_b32_e64 v21, 0, -1, s[10:11]
	v_bfe_i32 v4, v4, 0, 1
	v_lshlrev_b16_e32 v8, 8, v8
	v_lshlrev_b16_e32 v21, 8, v21
	v_bfe_i32 v7, v7, 0, 1
	v_or_b32_sdwa v9, v4, v8 dst_sel:DWORD dst_unused:UNUSED_PAD src0_sel:BYTE_0 src1_sel:DWORD
	v_or_b32_sdwa v22, v7, v21 dst_sel:WORD_1 dst_unused:UNUSED_PAD src0_sel:BYTE_0 src1_sel:DWORD
	v_or_b32_sdwa v9, v9, v22 dst_sel:DWORD dst_unused:UNUSED_PAD src0_sel:WORD_0 src1_sel:DWORD
	s_waitcnt vmcnt(0)
	v_xor_b32_e32 v9, v27, v9
	v_lshrrev_b32_e32 v22, 21, v48
	v_and_b32_e32 v27, 0xffffff00, v9
	v_lshrrev_b16_e32 v23, 8, v22
	v_sub_i16 v8, v27, v8 clamp
	v_lshlrev_b16_e32 v27, 8, v9
	v_lshlrev_b16_e32 v4, 8, v4
	v_lshrrev_b32_e32 v24, 30, v48
	v_lshrrev_b16_e32 v22, 7, v22
	v_bfe_i32 v23, v23, 0, 1
	v_cndmask_b32_e64 v26, 0, -1, s[34:35]
	v_sub_i16 v4, v27, v4 clamp
	v_lshlrev_b16_e32 v23, 8, v23
	v_bfe_i32 v22, v22, 0, 1
	v_bfe_i32 v24, v24, 0, 1
	v_lshlrev_b16_e32 v26, 8, v26
	v_perm_b32 v4, v4, v8, s91
	v_and_b32_sdwa v8, v9, s90 dst_sel:DWORD dst_unused:UNUSED_PAD src0_sel:WORD_1 src1_sel:DWORD
	v_lshlrev_b16_sdwa v9, v42, v9 dst_sel:DWORD dst_unused:UNUSED_PAD src0_sel:DWORD src1_sel:WORD_1
	v_lshlrev_b16_e32 v7, 8, v7
	v_or_b32_sdwa v25, v22, v23 dst_sel:DWORD dst_unused:UNUSED_PAD src0_sel:BYTE_0 src1_sel:DWORD
	v_or_b32_sdwa v29, v24, v26 dst_sel:WORD_1 dst_unused:UNUSED_PAD src0_sel:BYTE_0 src1_sel:DWORD
	v_sub_i16 v8, v8, v21 clamp
	v_sub_i16 v7, v9, v7 clamp
	v_or_b32_sdwa v25, v25, v29 dst_sel:DWORD dst_unused:UNUSED_PAD src0_sel:WORD_0 src1_sel:DWORD
	v_perm_b32 v7, v7, v8, s91
	v_lshl_or_b32 v4, v7, 16, v4
	v_xor_b32_e32 v7, v28, v25
	v_and_b32_e32 v8, 0xffffff00, v7
	v_lshlrev_b16_e32 v9, 8, v7
	v_lshlrev_b16_e32 v21, 8, v22
	v_sub_i16 v8, v8, v23 clamp
	v_sub_i16 v9, v9, v21 clamp
	v_perm_b32 v8, v9, v8, s91
	v_and_b32_sdwa v9, v7, s90 dst_sel:DWORD dst_unused:UNUSED_PAD src0_sel:WORD_1 src1_sel:DWORD
	v_lshlrev_b16_sdwa v7, v42, v7 dst_sel:DWORD dst_unused:UNUSED_PAD src0_sel:DWORD src1_sel:WORD_1
	v_lshlrev_b16_e32 v21, 8, v24
	v_sub_i16 v9, v9, v26 clamp
	v_sub_i16 v7, v7, v21 clamp
	v_perm_b32 v7, v7, v9, s91
	v_lshl_or_b32 v7, v7, 16, v8
	v_dot4_i32_i8 v3, v4, v5, v3
	v_dot4_i32_i8 v3, v7, v43, v3
	v_lshrrev_b32_e32 v4, 4, v47
	v_and_b32_e32 v5, 15, v47
	v_mul_lo_u32 v5, v2, v5
	v_mul_lo_u32 v4, v3, v4
	v_add_u32_e32 v2, v3, v2
	v_lshrrev_b32_e32 v3, 31, v2
	v_add_u32_e32 v2, v2, v3
	v_ashrrev_i32_e32 v2, 1, v2
	v_add3_u32 v2, v4, v5, v2
	v_ashrrev_i32_e32 v3, 31, v2
	v_lshrrev_b32_e32 v3, 30, v3
	v_add_u32_e32 v2, v2, v3
	v_ashrrev_i32_e32 v19, 2, v19
	v_ashrrev_i32_e32 v2, 2, v2
	v_cvt_f32_f16_e32 v3, v49
	v_cvt_f32_i32_e32 v19, v19
	v_cvt_f32_i32_e32 v2, v2
	v_add_u32_e32 v39, 16, v39
	v_mul_f32_e32 v4, v20, v6
	v_mul_f32_e32 v3, v3, v6
	v_add_co_u32_e32 v15, vcc, 0x1200, v15
	v_cmp_le_u32_e64 s[10:11], s33, v39
	v_fmac_f32_e32 v14, v4, v19
	v_fmac_f32_e32 v12, v3, v2
	s_or_b64 s[42:43], s[10:11], s[42:43]
	v_addc_co_u32_e32 v16, vcc, 0, v16, vcc
	s_andn2_b64 exec, exec, s[42:43]
	s_cbranch_execz .LBB181_22
.LBB181_18:                             ; =>This Inner Loop Header: Depth=1
	v_add_u32_e32 v27, s45, v39
	v_mad_i64_i32 v[2:3], s[10:11], v27, s55, v[17:18]
	s_getpc_b64 s[10:11]
	s_add_u32 s10, s10, _ZL9iq2s_grid@rel32@lo+4
	s_addc_u32 s11, s11, _ZL9iq2s_grid@rel32@hi+12
	v_add_co_u32_e32 v4, vcc, v2, v41
	v_addc_co_u32_e32 v5, vcc, 0, v3, vcc
	v_add_co_u32_e32 v19, vcc, v2, v40
	global_load_dword v21, v[4:5], off offset:2
	v_addc_co_u32_e32 v20, vcc, 0, v3, vcc
	global_load_ubyte v22, v[19:20], off offset:66
	global_load_dword v43, v[15:16], off
	global_load_dwordx4 v[6:9], v[15:16], off offset:-32
	global_load_ubyte v45, v[19:20], off offset:74
	global_load_dword v46, v[4:5], off offset:34
	global_load_ushort v44, v[2:3], off
	s_and_b64 vcc, exec, s[6:7]
	s_waitcnt vmcnt(6)
	v_and_b32_e32 v3, 0xff, v21
	v_lshrrev_b32_e32 v2, 24, v21
	s_waitcnt vmcnt(5)
	v_lshlrev_b32_e32 v4, 8, v22
	v_bfe_u32 v5, v21, 8, 8
	v_lshlrev_b32_e32 v19, 6, v22
	v_bfe_u32 v20, v21, 16, 8
	v_lshlrev_b32_e32 v21, 4, v22
	v_lshlrev_b32_e32 v22, 2, v22
	v_and_or_b32 v3, v4, s61, v3
	v_and_or_b32 v4, v19, s61, v5
	;; [unrolled: 1-line block ×4, first 2 shown]
	v_lshlrev_b32_e32 v28, 3, v3
	v_lshlrev_b32_e32 v29, 3, v4
	;; [unrolled: 1-line block ×4, first 2 shown]
	global_load_dwordx2 v[25:26], v28, s[10:11]
	global_load_dwordx2 v[23:24], v29, s[10:11]
	;; [unrolled: 1-line block ×4, first 2 shown]
	global_load_dwordx4 v[2:5], v[15:16], off offset:-16
	s_waitcnt vmcnt(8)
	v_cvt_f32_f16_e32 v6, v6
	s_cbranch_vccnz .LBB181_20
; %bb.19:                               ;   in Loop: Header=BB181_18 Depth=1
	v_mov_b32_e32 v28, s56
	v_mov_b32_e32 v29, s57
	v_mad_i64_i32 v[29:30], s[12:13], v27, s55, v[28:29]
	v_add_co_u32_e32 v27, vcc, v29, v41
	v_addc_co_u32_e32 v28, vcc, 0, v30, vcc
	v_add_co_u32_e32 v31, vcc, v29, v40
	v_addc_co_u32_e32 v32, vcc, 0, v30, vcc
	global_load_dword v47, v[27:28], off offset:2
	global_load_ubyte v33, v[31:32], off offset:74
	global_load_dword v34, v[27:28], off offset:34
	global_load_ubyte v48, v[31:32], off offset:66
	global_load_ushort v49, v[29:30], off
	s_waitcnt vmcnt(4)
	v_and_b32_e32 v27, 0xff, v47
	v_bfe_u32 v53, v47, 8, 8
	s_waitcnt vmcnt(2)
	v_and_b32_e32 v29, 0xff, v34
	s_waitcnt vmcnt(1)
	v_lshlrev_b32_e32 v28, 8, v48
	v_lshlrev_b32_e32 v30, 21, v34
	v_lshrrev_b32_e32 v32, 2, v34
	v_lshlrev_b32_e32 v51, 17, v34
	v_lshlrev_b32_e32 v54, 6, v48
	v_and_or_b32 v27, v28, s61, v27
	v_lshl_or_b32 v64, v29, 7, v30
	v_bfe_i32 v65, v32, 0, 1
	v_lshl_or_b32 v32, v29, 3, v51
	v_and_or_b32 v29, v54, s61, v53
	v_lshlrev_b32_e32 v27, 3, v27
	global_load_dwordx2 v[27:28], v27, s[10:11]
	v_lshlrev_b32_e32 v29, 3, v29
	global_load_dwordx2 v[29:30], v29, s[10:11]
	v_lshrrev_b32_e32 v52, 6, v34
	v_lshrrev_b32_e32 v55, 1, v34
	;; [unrolled: 1-line block ×3, first 2 shown]
	v_bfe_i32 v51, v52, 0, 1
	v_and_b32_e32 v52, 0x180, v55
	v_lshrrev_b32_e32 v31, 24, v47
	v_lshrrev_b32_e32 v57, 10, v34
	;; [unrolled: 1-line block ×3, first 2 shown]
	v_lshlrev_b32_e32 v61, 4, v48
	v_lshlrev_b32_e32 v48, 2, v48
	v_and_b32_e32 v55, 0x180, v58
	v_cmp_ne_u16_sdwa s[12:13], v52, v13 src0_sel:BYTE_1 src1_sel:DWORD
	v_lshrrev_b32_e32 v50, 16, v34
	v_bfe_u32 v47, v47, 16, 8
	v_lshrrev_b32_e32 v62, 9, v34
	v_bfe_i32 v54, v57, 0, 1
	v_bfe_i32 v57, v60, 0, 1
	v_and_or_b32 v31, v48, s61, v31
	v_and_b32_e32 v48, 0x1800180, v64
	v_bfe_u32 v60, v64, 24, 1
	v_lshrrev_b16_e32 v64, 7, v52
	v_cndmask_b32_e64 v52, 0, -1, s[12:13]
	v_cmp_ne_u16_sdwa s[12:13], v55, v13 src0_sel:BYTE_1 src1_sel:DWORD
	v_and_or_b32 v47, v61, s61, v47
	v_lshl_or_b32 v58, v50, 21, v62
	v_and_b32_e32 v61, 0x1800180, v32
	v_lshrrev_b16_e32 v66, 7, v55
	v_cndmask_b32_e64 v55, 0, -1, s[12:13]
	v_cmp_ne_u16_sdwa s[12:13], v48, v13 src0_sel:BYTE_1 src1_sel:DWORD
	v_bfe_u32 v32, v32, 24, 1
	v_lshlrev_b32_e32 v69, 3, v47
	v_and_b32_e32 v47, 0x1800180, v58
	v_cndmask_b32_e64 v72, 0, -1, s[12:13]
	v_cmp_ne_u16_e32 vcc, 0, v60
	v_cmp_ne_u16_sdwa s[12:13], v61, v13 src0_sel:BYTE_1 src1_sel:DWORD
	v_lshlrev_b32_e32 v70, 3, v31
	v_lshrrev_b16_e32 v71, 7, v48
	v_cndmask_b32_e64 v60, 0, -1, vcc
	v_lshrrev_b16_e32 v73, 7, v61
	v_cndmask_b32_e64 v61, 0, -1, s[12:13]
	v_cmp_ne_u16_e32 vcc, 0, v32
	v_lshrrev_b16_e32 v75, 7, v47
	v_cmp_ne_u16_sdwa s[12:13], v47, v13 src0_sel:BYTE_1 src1_sel:DWORD
	global_load_dwordx2 v[31:32], v69, s[10:11]
	global_load_dwordx2 v[47:48], v70, s[10:11]
	v_lshrrev_b32_e32 v56, 11, v34
	v_lshrrev_b32_e32 v59, 15, v34
	v_bfe_i32 v53, v56, 0, 1
	v_bfe_i32 v56, v59, 0, 1
	v_cndmask_b32_e64 v74, 0, -1, vcc
	v_bfe_i32 v69, v71, 0, 1
	v_lshlrev_b16_e32 v70, 8, v72
	v_lshlrev_b16_e32 v60, 8, v60
	v_lshrrev_b32_e32 v63, 18, v34
	v_lshlrev_b16_e32 v62, 8, v65
	v_lshlrev_b16_e32 v53, 8, v53
	;; [unrolled: 1-line block ×3, first 2 shown]
	v_bfe_i32 v64, v64, 0, 1
	v_lshlrev_b16_e32 v52, 8, v52
	v_bfe_i32 v66, v66, 0, 1
	v_lshlrev_b16_e32 v55, 8, v55
	;; [unrolled: 2-line block ×3, first 2 shown]
	v_lshlrev_b16_e32 v72, 8, v74
	v_or_b32_sdwa v77, v69, v70 dst_sel:DWORD dst_unused:UNUSED_PAD src0_sel:BYTE_0 src1_sel:DWORD
	v_or_b32_sdwa v65, v65, v60 dst_sel:WORD_1 dst_unused:UNUSED_PAD src0_sel:BYTE_0 src1_sel:DWORD
	v_bfe_i32 v59, v63, 0, 1
	v_lshlrev_b16_e32 v63, 8, v51
	v_lshlrev_b16_e32 v67, 8, v54
	;; [unrolled: 1-line block ×3, first 2 shown]
	v_or_b32_sdwa v54, v54, v53 dst_sel:WORD_1 dst_unused:UNUSED_PAD src0_sel:BYTE_0 src1_sel:DWORD
	v_or_b32_sdwa v57, v57, v56 dst_sel:WORD_1 dst_unused:UNUSED_PAD src0_sel:BYTE_0 src1_sel:DWORD
	v_or_b32_sdwa v73, v64, v52 dst_sel:DWORD dst_unused:UNUSED_PAD src0_sel:BYTE_0 src1_sel:DWORD
	v_or_b32_sdwa v74, v66, v55 dst_sel:DWORD dst_unused:UNUSED_PAD src0_sel:BYTE_0 src1_sel:DWORD
	v_or_b32_sdwa v78, v71, v61 dst_sel:DWORD dst_unused:UNUSED_PAD src0_sel:BYTE_0 src1_sel:DWORD
	v_or_b32_sdwa v51, v51, v72 dst_sel:WORD_1 dst_unused:UNUSED_PAD src0_sel:BYTE_0 src1_sel:DWORD
	v_or_b32_sdwa v65, v77, v65 dst_sel:DWORD dst_unused:UNUSED_PAD src0_sel:WORD_0 src1_sel:DWORD
	v_or_b32_sdwa v54, v73, v54 dst_sel:DWORD dst_unused:UNUSED_PAD src0_sel:WORD_0 src1_sel:DWORD
	;; [unrolled: 1-line block ×4, first 2 shown]
	s_waitcnt vmcnt(3)
	v_xor_b32_e32 v27, v27, v65
	v_lshlrev_b16_e32 v69, 8, v69
	v_xor_b32_e32 v28, v28, v51
	s_waitcnt vmcnt(2)
	v_xor_b32_e32 v29, v29, v54
	v_xor_b32_e32 v30, v30, v57
	v_and_b32_e32 v51, 0xffffff00, v27
	v_lshlrev_b16_e32 v54, 8, v27
	v_and_b32_sdwa v57, v27, s90 dst_sel:DWORD dst_unused:UNUSED_PAD src0_sel:WORD_1 src1_sel:DWORD
	v_lshlrev_b16_sdwa v27, v42, v27 dst_sel:DWORD dst_unused:UNUSED_PAD src0_sel:DWORD src1_sel:WORD_1
	v_lshlrev_b16_e32 v71, 8, v71
	v_and_b32_e32 v65, 0xffffff00, v28
	v_lshlrev_b16_e32 v77, 8, v28
	v_and_b32_sdwa v78, v28, s90 dst_sel:DWORD dst_unused:UNUSED_PAD src0_sel:WORD_1 src1_sel:DWORD
	v_lshlrev_b16_sdwa v28, v42, v28 dst_sel:DWORD dst_unused:UNUSED_PAD src0_sel:DWORD src1_sel:WORD_1
	v_sub_i16 v51, v51, v70 clamp
	v_sub_i16 v54, v54, v69 clamp
	;; [unrolled: 1-line block ×4, first 2 shown]
	v_lshlrev_b16_e32 v64, 8, v64
	v_and_b32_e32 v79, 0xffffff00, v29
	v_lshlrev_b16_e32 v80, 8, v29
	v_and_b32_sdwa v81, v29, s90 dst_sel:DWORD dst_unused:UNUSED_PAD src0_sel:WORD_1 src1_sel:DWORD
	v_lshlrev_b16_sdwa v29, v42, v29 dst_sel:DWORD dst_unused:UNUSED_PAD src0_sel:DWORD src1_sel:WORD_1
	v_sub_i16 v60, v65, v61 clamp
	v_sub_i16 v61, v77, v71 clamp
	;; [unrolled: 1-line block ×4, first 2 shown]
	v_perm_b32 v51, v54, v51, s91
	v_perm_b32 v27, v27, v57, s91
	v_sub_i16 v52, v79, v52 clamp
	v_sub_i16 v63, v80, v64 clamp
	;; [unrolled: 1-line block ×4, first 2 shown]
	v_perm_b32 v54, v61, v60, s91
	v_perm_b32 v28, v28, v62, s91
	v_lshl_or_b32 v27, v27, 16, v51
	v_lshlrev_b16_e32 v66, 8, v66
	v_and_b32_e32 v82, 0xffffff00, v30
	v_lshlrev_b16_e32 v83, 8, v30
	v_and_b32_sdwa v84, v30, s90 dst_sel:DWORD dst_unused:UNUSED_PAD src0_sel:WORD_1 src1_sel:DWORD
	v_lshlrev_b16_sdwa v30, v42, v30 dst_sel:DWORD dst_unused:UNUSED_PAD src0_sel:DWORD src1_sel:WORD_1
	v_perm_b32 v52, v63, v52, s91
	v_perm_b32 v29, v29, v53, s91
	v_lshl_or_b32 v28, v28, 16, v54
	v_dot4_i32_i8 v27, v27, v7, 0
	v_sub_i16 v55, v82, v55 clamp
	v_sub_i16 v64, v83, v66 clamp
	;; [unrolled: 1-line block ×4, first 2 shown]
	v_lshl_or_b32 v29, v29, 16, v52
	v_dot4_i32_i8 v27, v28, v8, v27
	v_bfe_u32 v58, v58, 24, 1
	v_perm_b32 v53, v64, v55, s91
	v_perm_b32 v30, v30, v56, s91
	v_dot4_i32_i8 v27, v29, v9, v27
	v_lshrrev_b32_e32 v29, 13, v34
	v_cmp_ne_u16_e32 vcc, 0, v58
	v_lshl_or_b32 v30, v30, 16, v53
	v_lshl_or_b32 v29, v50, 17, v29
	v_cndmask_b32_e64 v76, 0, -1, s[12:13]
	v_cndmask_b32_e64 v58, 0, -1, vcc
	v_dot4_i32_i8 v27, v30, v2, v27
	v_and_b32_e32 v30, 0x1800180, v29
	v_bfe_u32 v29, v29, 24, 1
	v_bfe_i32 v75, v75, 0, 1
	v_lshlrev_b16_e32 v76, 8, v76
	v_lshlrev_b16_e32 v58, 8, v58
	v_cmp_ne_u16_sdwa s[12:13], v30, v13 src0_sel:BYTE_1 src1_sel:DWORD
	v_cmp_ne_u16_e32 vcc, 0, v29
	v_or_b32_sdwa v73, v75, v76 dst_sel:DWORD dst_unused:UNUSED_PAD src0_sel:BYTE_0 src1_sel:DWORD
	v_or_b32_sdwa v74, v59, v58 dst_sel:WORD_1 dst_unused:UNUSED_PAD src0_sel:BYTE_0 src1_sel:DWORD
	v_lshrrev_b16_e32 v50, 7, v30
	v_lshrrev_b32_e32 v51, 22, v34
	v_cndmask_b32_e64 v30, 0, -1, s[12:13]
	v_cndmask_b32_e64 v29, 0, -1, vcc
	v_or_b32_sdwa v28, v73, v74 dst_sel:DWORD dst_unused:UNUSED_PAD src0_sel:WORD_0 src1_sel:DWORD
	v_bfe_i32 v50, v50, 0, 1
	v_lshlrev_b16_e32 v30, 8, v30
	v_lshlrev_b16_e32 v29, 8, v29
	v_bfe_i32 v51, v51, 0, 1
	v_or_b32_sdwa v52, v50, v30 dst_sel:DWORD dst_unused:UNUSED_PAD src0_sel:BYTE_0 src1_sel:DWORD
	v_or_b32_sdwa v53, v51, v29 dst_sel:WORD_1 dst_unused:UNUSED_PAD src0_sel:BYTE_0 src1_sel:DWORD
	s_waitcnt vmcnt(1)
	v_xor_b32_e32 v28, v31, v28
	v_or_b32_sdwa v52, v52, v53 dst_sel:DWORD dst_unused:UNUSED_PAD src0_sel:WORD_0 src1_sel:DWORD
	v_and_b32_e32 v31, 0xffffff00, v28
	v_lshlrev_b16_e32 v53, 8, v28
	v_lshlrev_b16_e32 v54, 8, v75
	v_sub_i16 v31, v31, v76 clamp
	v_sub_i16 v53, v53, v54 clamp
	v_perm_b32 v31, v53, v31, s91
	v_and_b32_sdwa v53, v28, s90 dst_sel:DWORD dst_unused:UNUSED_PAD src0_sel:WORD_1 src1_sel:DWORD
	v_lshlrev_b16_sdwa v28, v42, v28 dst_sel:DWORD dst_unused:UNUSED_PAD src0_sel:DWORD src1_sel:WORD_1
	v_lshlrev_b16_e32 v54, 8, v59
	v_sub_i16 v53, v53, v58 clamp
	v_sub_i16 v28, v28, v54 clamp
	v_perm_b32 v28, v28, v53, s91
	v_lshl_or_b32 v28, v28, 16, v31
	v_xor_b32_e32 v31, v32, v52
	v_and_b32_e32 v32, 0xffffff00, v31
	v_sub_i16 v30, v32, v30 clamp
	v_lshlrev_b16_e32 v32, 8, v31
	v_lshlrev_b16_e32 v50, 8, v50
	v_sub_i16 v32, v32, v50 clamp
	v_perm_b32 v30, v32, v30, s91
	v_and_b32_sdwa v32, v31, s90 dst_sel:DWORD dst_unused:UNUSED_PAD src0_sel:WORD_1 src1_sel:DWORD
	v_sub_i16 v29, v32, v29 clamp
	v_lshlrev_b16_sdwa v31, v42, v31 dst_sel:DWORD dst_unused:UNUSED_PAD src0_sel:DWORD src1_sel:WORD_1
	v_lshlrev_b16_e32 v32, 8, v51
	v_sub_i16 v31, v31, v32 clamp
	v_perm_b32 v29, v31, v29, s91
	v_lshl_or_b32 v29, v29, 16, v30
	v_dot4_i32_i8 v28, v28, v3, 0
	v_dot4_i32_i8 v28, v29, v4, v28
	v_lshrrev_b32_e32 v29, 17, v34
	v_lshrrev_b32_e32 v30, 24, v34
	v_lshl_or_b32 v29, v30, 21, v29
	v_and_b32_e32 v30, 0x1800180, v29
	v_bfe_u32 v29, v29, 24, 1
	v_cmp_ne_u16_sdwa s[12:13], v30, v13 src0_sel:BYTE_1 src1_sel:DWORD
	v_cmp_ne_u16_e32 vcc, 0, v29
	v_lshrrev_b16_e32 v31, 7, v30
	v_lshrrev_b32_e32 v32, 26, v34
	v_cndmask_b32_e64 v30, 0, -1, s[12:13]
	v_cndmask_b32_e64 v29, 0, -1, vcc
	v_bfe_i32 v31, v31, 0, 1
	v_lshlrev_b16_e32 v30, 8, v30
	v_lshlrev_b16_e32 v29, 8, v29
	v_bfe_i32 v32, v32, 0, 1
	v_or_b32_sdwa v50, v31, v30 dst_sel:DWORD dst_unused:UNUSED_PAD src0_sel:BYTE_0 src1_sel:DWORD
	v_or_b32_sdwa v51, v32, v29 dst_sel:WORD_1 dst_unused:UNUSED_PAD src0_sel:BYTE_0 src1_sel:DWORD
	v_or_b32_sdwa v50, v50, v51 dst_sel:DWORD dst_unused:UNUSED_PAD src0_sel:WORD_0 src1_sel:DWORD
	s_waitcnt vmcnt(0)
	v_xor_b32_e32 v47, v47, v50
	v_and_b32_e32 v50, 0xffffff00, v47
	v_lshrrev_b32_e32 v51, 21, v34
	v_lshrrev_b32_e32 v53, 31, v34
	v_sub_i16 v30, v50, v30 clamp
	v_lshlrev_b16_e32 v50, 8, v47
	v_lshlrev_b16_e32 v31, 8, v31
	v_lshrrev_b16_e32 v52, 8, v51
	v_cmp_ne_u16_e32 vcc, 0, v53
	v_sub_i16 v31, v50, v31 clamp
	v_lshrrev_b32_e32 v34, 30, v34
	v_lshrrev_b16_e32 v51, 7, v51
	v_bfe_i32 v52, v52, 0, 1
	v_cndmask_b32_e64 v53, 0, -1, vcc
	v_perm_b32 v30, v31, v30, s91
	v_and_b32_sdwa v31, v47, s90 dst_sel:DWORD dst_unused:UNUSED_PAD src0_sel:WORD_1 src1_sel:DWORD
	v_lshlrev_b16_e32 v52, 8, v52
	v_bfe_i32 v51, v51, 0, 1
	v_bfe_i32 v34, v34, 0, 1
	v_lshlrev_b16_e32 v53, 8, v53
	v_sub_i16 v29, v31, v29 clamp
	v_lshlrev_b16_sdwa v31, v42, v47 dst_sel:DWORD dst_unused:UNUSED_PAD src0_sel:DWORD src1_sel:WORD_1
	v_lshlrev_b16_e32 v32, 8, v32
	v_or_b32_sdwa v54, v51, v52 dst_sel:DWORD dst_unused:UNUSED_PAD src0_sel:BYTE_0 src1_sel:DWORD
	v_or_b32_sdwa v55, v34, v53 dst_sel:WORD_1 dst_unused:UNUSED_PAD src0_sel:BYTE_0 src1_sel:DWORD
	v_sub_i16 v31, v31, v32 clamp
	v_or_b32_sdwa v54, v54, v55 dst_sel:DWORD dst_unused:UNUSED_PAD src0_sel:WORD_0 src1_sel:DWORD
	v_perm_b32 v29, v31, v29, s91
	v_lshl_or_b32 v29, v29, 16, v30
	v_xor_b32_e32 v30, v48, v54
	v_and_b32_e32 v31, 0xffffff00, v30
	v_lshlrev_b16_e32 v32, 8, v30
	v_lshlrev_b16_e32 v47, 8, v51
	v_sub_i16 v31, v31, v52 clamp
	v_sub_i16 v32, v32, v47 clamp
	v_perm_b32 v31, v32, v31, s91
	v_and_b32_sdwa v32, v30, s90 dst_sel:DWORD dst_unused:UNUSED_PAD src0_sel:WORD_1 src1_sel:DWORD
	v_lshlrev_b16_sdwa v30, v42, v30 dst_sel:DWORD dst_unused:UNUSED_PAD src0_sel:DWORD src1_sel:WORD_1
	v_lshlrev_b16_e32 v34, 8, v34
	v_sub_i16 v32, v32, v53 clamp
	v_sub_i16 v30, v30, v34 clamp
	v_perm_b32 v30, v30, v32, s91
	v_lshl_or_b32 v30, v30, 16, v31
	v_dot4_i32_i8 v28, v29, v5, v28
	v_dot4_i32_i8 v28, v30, v43, v28
	v_lshrrev_b32_e32 v29, 4, v33
	v_and_b32_e32 v30, 15, v33
	v_mul_lo_u32 v30, v27, v30
	v_mul_lo_u32 v29, v28, v29
	v_add_u32_e32 v27, v28, v27
	v_lshrrev_b32_e32 v28, 31, v27
	v_add_u32_e32 v27, v27, v28
	v_ashrrev_i32_e32 v27, 1, v27
	v_add3_u32 v27, v29, v30, v27
	v_ashrrev_i32_e32 v28, 31, v27
	v_lshrrev_b32_e32 v28, 30, v28
	v_add_u32_e32 v27, v27, v28
	v_ashrrev_i32_e32 v27, 2, v27
	v_cvt_f32_f16_e32 v28, v49
	v_cvt_f32_i32_e32 v27, v27
	v_mul_f32_e32 v28, v6, v28
	v_fma_f32 v10, v28, v27, v10
.LBB181_20:                             ;   in Loop: Header=BB181_18 Depth=1
	v_mov_b32_e32 v27, s40
	v_add_u32_e32 v64, s51, v39
	v_mov_b32_e32 v28, s41
	v_mad_i64_i32 v[27:28], s[12:13], v64, s55, v[27:28]
	s_waitcnt vmcnt(6)
	v_and_b32_e32 v51, 0xff, v46
	v_lshrrev_b32_e32 v50, 16, v46
	v_add_co_u32_e32 v29, vcc, v27, v41
	v_addc_co_u32_e32 v30, vcc, 0, v28, vcc
	global_load_dword v33, v[29:30], off offset:2
	v_add_co_u32_e32 v31, vcc, v27, v40
	v_addc_co_u32_e32 v32, vcc, 0, v28, vcc
	global_load_ubyte v34, v[31:32], off offset:66
	global_load_ubyte v47, v[31:32], off offset:74
	global_load_dword v48, v[29:30], off offset:34
	v_lshlrev_b32_e32 v29, 21, v46
	v_lshl_or_b32 v52, v51, 7, v29
	global_load_ushort v49, v[27:28], off
	v_and_b32_e32 v63, 0x1800180, v52
	v_bfe_u32 v52, v52, 24, 1
	v_cmp_ne_u16_e64 s[30:31], 0, v52
	v_lshlrev_b32_e32 v52, 17, v46
	v_lshl_or_b32 v51, v51, 3, v52
	v_and_b32_e32 v62, 0x1800180, v51
	v_bfe_u32 v51, v51, 24, 1
	v_cmp_ne_u16_e64 s[28:29], 0, v51
	v_lshrrev_b32_e32 v51, 1, v46
	v_and_b32_e32 v61, 0x180, v51
	v_lshrrev_b32_e32 v51, 5, v46
	v_and_b32_e32 v60, 0x180, v51
	v_lshrrev_b32_e32 v51, 9, v46
	v_lshl_or_b32 v51, v50, 21, v51
	v_and_b32_e32 v59, 0x1800180, v51
	v_bfe_u32 v51, v51, 24, 1
	v_cmp_ne_u16_e64 s[26:27], 0, v51
	v_lshrrev_b32_e32 v51, 13, v46
	v_lshl_or_b32 v50, v50, 17, v51
	v_and_b32_e32 v58, 0x1800180, v50
	v_bfe_u32 v50, v50, 24, 1
	v_cmp_ne_u16_e64 s[24:25], 0, v50
	v_lshrrev_b32_e32 v50, 17, v46
	v_lshrrev_b32_e32 v51, 24, v46
	v_lshl_or_b32 v50, v51, 21, v50
	v_and_b32_e32 v57, 0x1800180, v50
	v_bfe_u32 v50, v50, 24, 1
	v_cmp_ne_u16_e64 s[22:23], 0, v50
	v_lshrrev_b32_e32 v50, 31, v46
	v_cmp_ne_u16_e64 s[20:21], 0, v50
	v_cmp_ne_u16_sdwa s[86:87], v63, v13 src0_sel:BYTE_1 src1_sel:DWORD
	v_cmp_ne_u16_sdwa s[84:85], v62, v13 src0_sel:BYTE_1 src1_sel:DWORD
	;; [unrolled: 1-line block ×7, first 2 shown]
	s_and_b64 vcc, exec, s[6:7]
	s_waitcnt vmcnt(4)
	v_and_b32_e32 v28, 0xff, v33
	v_lshrrev_b32_e32 v27, 24, v33
	v_bfe_u32 v30, v33, 8, 8
	s_waitcnt vmcnt(3)
	v_lshlrev_b32_e32 v29, 8, v34
	v_lshlrev_b32_e32 v31, 6, v34
	v_bfe_u32 v32, v33, 16, 8
	v_lshlrev_b32_e32 v33, 4, v34
	v_lshlrev_b32_e32 v34, 2, v34
	v_and_or_b32 v28, v29, s61, v28
	v_and_or_b32 v29, v31, s61, v30
	;; [unrolled: 1-line block ×4, first 2 shown]
	v_lshlrev_b32_e32 v53, 3, v28
	v_lshlrev_b32_e32 v54, 3, v29
	v_lshlrev_b32_e32 v55, 3, v30
	v_lshlrev_b32_e32 v56, 3, v27
	global_load_dwordx2 v[33:34], v53, s[10:11]
	global_load_dwordx2 v[31:32], v54, s[10:11]
	;; [unrolled: 1-line block ×4, first 2 shown]
	s_waitcnt vmcnt(5)
	v_and_b32_e32 v51, 0xff, v48
	v_lshlrev_b32_e32 v52, 21, v48
	v_lshl_or_b32 v52, v51, 7, v52
	v_and_b32_e32 v56, 0x1800180, v52
	v_bfe_u32 v52, v52, 24, 1
	v_cmp_ne_u16_e64 s[18:19], 0, v52
	v_lshlrev_b32_e32 v52, 17, v48
	v_lshl_or_b32 v51, v51, 3, v52
	v_and_b32_e32 v55, 0x1800180, v51
	v_bfe_u32 v51, v51, 24, 1
	v_cmp_ne_u16_e64 s[16:17], 0, v51
	v_lshrrev_b32_e32 v51, 1, v48
	v_and_b32_e32 v54, 0x180, v51
	v_lshrrev_b32_e32 v51, 5, v48
	v_lshrrev_b32_e32 v50, 16, v48
	v_and_b32_e32 v53, 0x180, v51
	v_lshrrev_b32_e32 v51, 9, v48
	v_lshl_or_b32 v51, v50, 21, v51
	v_and_b32_e32 v52, 0x1800180, v51
	v_bfe_u32 v51, v51, 24, 1
	v_cmp_ne_u16_e64 s[14:15], 0, v51
	v_lshrrev_b32_e32 v51, 13, v48
	v_lshl_or_b32 v50, v50, 17, v51
	v_and_b32_e32 v51, 0x1800180, v50
	v_bfe_u32 v50, v50, 24, 1
	v_cmp_ne_u16_e64 s[12:13], 0, v50
	v_lshrrev_b32_e32 v50, 17, v48
	v_lshrrev_b32_e32 v65, 24, v48
	v_lshl_or_b32 v65, v65, 21, v50
	v_and_b32_e32 v50, 0x1800180, v65
	v_bfe_u32 v65, v65, 24, 1
	v_cmp_ne_u16_e64 s[10:11], 0, v65
	v_lshrrev_b32_e32 v65, 31, v48
	v_cmp_ne_u16_sdwa s[72:73], v56, v13 src0_sel:BYTE_1 src1_sel:DWORD
	v_cmp_ne_u16_sdwa s[70:71], v55, v13 src0_sel:BYTE_1 src1_sel:DWORD
	;; [unrolled: 1-line block ×7, first 2 shown]
	v_cmp_ne_u16_e64 s[34:35], 0, v65
	s_cbranch_vccnz .LBB181_17
; %bb.21:                               ;   in Loop: Header=BB181_18 Depth=1
	v_mov_b32_e32 v66, s57
	v_mov_b32_e32 v65, s56
	v_mad_i64_i32 v[65:66], s[36:37], v64, s55, v[65:66]
	s_getpc_b64 s[88:89]
	s_add_u32 s88, s88, _ZL9iq2s_grid@rel32@lo+4
	s_addc_u32 s89, s89, _ZL9iq2s_grid@rel32@hi+12
	v_add_co_u32_e32 v67, vcc, v65, v41
	v_addc_co_u32_e32 v68, vcc, 0, v66, vcc
	v_add_co_u32_e32 v69, vcc, v65, v40
	v_addc_co_u32_e32 v70, vcc, 0, v66, vcc
	global_load_dword v71, v[67:68], off offset:2
	global_load_dword v64, v[67:68], off offset:34
	s_waitcnt vmcnt(1)
	v_bfe_u32 v78, v71, 8, 8
	global_load_ubyte v67, v[69:70], off offset:66
	global_load_ushort v73, v[65:66], off
	global_load_ubyte v74, v[69:70], off offset:74
	v_and_b32_e32 v65, 0xff, v71
	s_waitcnt vmcnt(3)
	v_and_b32_e32 v68, 0xff, v64
	v_lshlrev_b32_e32 v70, 21, v64
	v_lshrrev_b32_e32 v72, 2, v64
	v_lshlrev_b32_e32 v76, 17, v64
	v_lshl_or_b32 v70, v68, 7, v70
	v_bfe_i32 v90, v72, 0, 1
	v_lshl_or_b32 v72, v68, 3, v76
	v_lshrrev_b32_e32 v69, 24, v71
	v_lshrrev_b32_e32 v77, 6, v64
	;; [unrolled: 1-line block ×3, first 2 shown]
	v_bfe_u32 v71, v71, 16, 8
	v_lshrrev_b32_e32 v82, 10, v64
	v_lshrrev_b32_e32 v85, 14, v64
	v_bfe_i32 v76, v77, 0, 1
	v_and_b32_e32 v77, 0x180, v80
	v_cmp_ne_u16_sdwa s[36:37], v77, v13 src0_sel:BYTE_1 src1_sel:DWORD
	v_cndmask_b32_e64 v94, 0, -1, s[36:37]
	v_lshrrev_b32_e32 v75, 16, v64
	v_lshrrev_b32_e32 v83, 5, v64
	;; [unrolled: 1-line block ×3, first 2 shown]
	v_and_b32_e32 v80, 0x180, v83
	v_lshl_or_b32 v83, v75, 21, v87
	v_lshrrev_b32_e32 v81, 11, v64
	v_cmp_ne_u16_sdwa s[38:39], v80, v13 src0_sel:BYTE_1 src1_sel:DWORD
	v_and_b32_e32 v92, 0x1800180, v83
	v_bfe_u32 v83, v83, 24, 1
	v_lshrrev_b32_e32 v84, 15, v64
	v_cndmask_b32_e64 v95, 0, -1, s[38:39]
	v_cmp_ne_u16_sdwa s[62:63], v92, v13 src0_sel:BYTE_1 src1_sel:DWORD
	v_cmp_ne_u16_e64 s[38:39], 0, v83
	v_lshrrev_b32_e32 v88, 18, v64
	v_lshlrev_b16_e32 v87, 8, v90
	v_lshlrev_b16_e32 v94, 8, v94
	;; [unrolled: 1-line block ×3, first 2 shown]
	v_cndmask_b32_e64 v98, 0, -1, s[62:63]
	v_cndmask_b32_e64 v99, 0, -1, s[38:39]
	v_lshlrev_b16_e32 v98, 8, v98
	v_lshlrev_b16_e32 v99, 8, v99
	s_waitcnt vmcnt(2)
	v_lshlrev_b32_e32 v66, 8, v67
	v_lshlrev_b32_e32 v79, 6, v67
	v_and_or_b32 v65, v66, s61, v65
	v_lshlrev_b32_e32 v86, 4, v67
	v_lshlrev_b32_e32 v89, 2, v67
	v_and_or_b32 v67, v79, s61, v78
	v_lshlrev_b32_e32 v65, 3, v65
	global_load_dwordx2 v[65:66], v65, s[88:89]
	v_lshlrev_b32_e32 v67, 3, v67
	global_load_dwordx2 v[67:68], v67, s[88:89]
	v_and_or_b32 v71, v86, s61, v71
	v_bfe_i32 v79, v82, 0, 1
	v_bfe_i32 v82, v85, 0, 1
	v_and_or_b32 v69, v89, s61, v69
	v_and_b32_e32 v85, 0x1800180, v70
	v_bfe_u32 v70, v70, 24, 1
	v_and_b32_e32 v86, 0x1800180, v72
	v_bfe_u32 v72, v72, 24, 1
	v_lshlrev_b32_e32 v71, 3, v71
	v_lshlrev_b32_e32 v93, 3, v69
	v_cmp_ne_u16_e32 vcc, 0, v70
	v_cmp_ne_u16_e64 s[36:37], 0, v72
	global_load_dwordx2 v[69:70], v71, s[88:89]
	s_nop 0
	global_load_dwordx2 v[71:72], v93, s[88:89]
	v_lshrrev_b16_e32 v89, 7, v77
	v_cmp_ne_u16_sdwa s[92:93], v85, v13 src0_sel:BYTE_1 src1_sel:DWORD
	v_bfe_i32 v78, v81, 0, 1
	v_lshrrev_b16_e32 v96, 7, v85
	v_lshrrev_b16_e32 v85, 7, v86
	v_cmp_ne_u16_sdwa s[94:95], v86, v13 src0_sel:BYTE_1 src1_sel:DWORD
	v_bfe_i32 v86, v89, 0, 1
	v_lshrrev_b16_e32 v89, 7, v92
	v_cndmask_b32_e64 v83, 0, -1, s[92:93]
	v_cndmask_b32_e64 v92, 0, -1, vcc
	v_bfe_i32 v81, v84, 0, 1
	v_lshlrev_b16_e32 v77, 8, v78
	v_lshrrev_b16_e32 v78, 7, v80
	v_cndmask_b32_e64 v93, 0, -1, s[94:95]
	v_cndmask_b32_e64 v97, 0, -1, s[36:37]
	v_bfe_i32 v96, v96, 0, 1
	v_lshlrev_b16_e32 v83, 8, v83
	v_lshlrev_b16_e32 v92, 8, v92
	;; [unrolled: 1-line block ×3, first 2 shown]
	v_bfe_i32 v78, v78, 0, 1
	v_bfe_i32 v85, v85, 0, 1
	v_lshlrev_b16_e32 v93, 8, v93
	v_lshlrev_b16_e32 v97, 8, v97
	;; [unrolled: 1-line block ×3, first 2 shown]
	v_or_b32_sdwa v96, v96, v83 dst_sel:DWORD dst_unused:UNUSED_PAD src0_sel:BYTE_0 src1_sel:DWORD
	v_or_b32_sdwa v90, v90, v92 dst_sel:WORD_1 dst_unused:UNUSED_PAD src0_sel:BYTE_0 src1_sel:DWORD
	v_bfe_i32 v84, v88, 0, 1
	v_lshlrev_b16_e32 v88, 8, v76
	v_lshlrev_b16_e32 v81, 8, v79
	;; [unrolled: 1-line block ×3, first 2 shown]
	v_or_b32_sdwa v79, v79, v77 dst_sel:WORD_1 dst_unused:UNUSED_PAD src0_sel:BYTE_0 src1_sel:DWORD
	v_or_b32_sdwa v82, v82, v80 dst_sel:WORD_1 dst_unused:UNUSED_PAD src0_sel:BYTE_0 src1_sel:DWORD
	v_lshlrev_b16_e32 v100, 8, v86
	v_lshlrev_b16_e32 v101, 8, v78
	v_or_b32_sdwa v86, v86, v94 dst_sel:DWORD dst_unused:UNUSED_PAD src0_sel:BYTE_0 src1_sel:DWORD
	v_or_b32_sdwa v78, v78, v95 dst_sel:DWORD dst_unused:UNUSED_PAD src0_sel:BYTE_0 src1_sel:DWORD
	v_lshlrev_b16_e32 v103, 8, v85
	v_or_b32_sdwa v85, v85, v93 dst_sel:DWORD dst_unused:UNUSED_PAD src0_sel:BYTE_0 src1_sel:DWORD
	v_or_b32_sdwa v76, v76, v97 dst_sel:WORD_1 dst_unused:UNUSED_PAD src0_sel:BYTE_0 src1_sel:DWORD
	v_or_b32_sdwa v90, v96, v90 dst_sel:DWORD dst_unused:UNUSED_PAD src0_sel:WORD_0 src1_sel:DWORD
	v_or_b32_sdwa v79, v86, v79 dst_sel:DWORD dst_unused:UNUSED_PAD src0_sel:WORD_0 src1_sel:DWORD
	;; [unrolled: 1-line block ×4, first 2 shown]
	v_bfe_i32 v89, v89, 0, 1
	v_or_b32_sdwa v82, v89, v98 dst_sel:DWORD dst_unused:UNUSED_PAD src0_sel:BYTE_0 src1_sel:DWORD
	v_or_b32_sdwa v86, v84, v99 dst_sel:WORD_1 dst_unused:UNUSED_PAD src0_sel:BYTE_0 src1_sel:DWORD
	s_waitcnt vmcnt(3)
	v_xor_b32_e32 v65, v65, v90
	v_xor_b32_e32 v66, v66, v76
	s_waitcnt vmcnt(2)
	v_xor_b32_e32 v67, v67, v79
	v_xor_b32_e32 v68, v68, v78
	v_and_b32_e32 v76, 0xffffff00, v65
	v_lshlrev_b16_e32 v78, 8, v65
	v_and_b32_sdwa v79, v65, s90 dst_sel:DWORD dst_unused:UNUSED_PAD src0_sel:WORD_1 src1_sel:DWORD
	v_lshlrev_b16_sdwa v65, v42, v65 dst_sel:DWORD dst_unused:UNUSED_PAD src0_sel:DWORD src1_sel:WORD_1
	v_and_b32_e32 v85, 0xffffff00, v66
	v_lshlrev_b16_e32 v90, 8, v66
	v_and_b32_sdwa v96, v66, s90 dst_sel:DWORD dst_unused:UNUSED_PAD src0_sel:WORD_1 src1_sel:DWORD
	v_lshlrev_b16_sdwa v66, v42, v66 dst_sel:DWORD dst_unused:UNUSED_PAD src0_sel:DWORD src1_sel:WORD_1
	v_sub_i16 v76, v76, v83 clamp
	v_sub_i16 v78, v78, v102 clamp
	;; [unrolled: 1-line block ×4, first 2 shown]
	v_and_b32_e32 v104, 0xffffff00, v67
	v_lshlrev_b16_e32 v105, 8, v67
	v_and_b32_sdwa v106, v67, s90 dst_sel:DWORD dst_unused:UNUSED_PAD src0_sel:WORD_1 src1_sel:DWORD
	v_lshlrev_b16_sdwa v67, v42, v67 dst_sel:DWORD dst_unused:UNUSED_PAD src0_sel:DWORD src1_sel:WORD_1
	v_sub_i16 v83, v85, v93 clamp
	v_sub_i16 v85, v90, v103 clamp
	;; [unrolled: 1-line block ×4, first 2 shown]
	v_perm_b32 v76, v78, v76, s91
	v_perm_b32 v65, v65, v79, s91
	v_sub_i16 v88, v104, v94 clamp
	v_sub_i16 v90, v105, v100 clamp
	v_sub_i16 v77, v106, v77 clamp
	v_sub_i16 v67, v67, v81 clamp
	v_perm_b32 v78, v85, v83, s91
	v_perm_b32 v66, v66, v87, s91
	v_lshl_or_b32 v65, v65, 16, v76
	v_and_b32_e32 v107, 0xffffff00, v68
	v_lshlrev_b16_e32 v108, 8, v68
	v_and_b32_sdwa v109, v68, s90 dst_sel:DWORD dst_unused:UNUSED_PAD src0_sel:WORD_1 src1_sel:DWORD
	v_lshlrev_b16_sdwa v68, v42, v68 dst_sel:DWORD dst_unused:UNUSED_PAD src0_sel:DWORD src1_sel:WORD_1
	v_perm_b32 v79, v90, v88, s91
	v_perm_b32 v67, v67, v77, s91
	v_lshl_or_b32 v66, v66, 16, v78
	v_dot4_i32_i8 v65, v65, v7, 0
	v_sub_i16 v81, v107, v95 clamp
	v_sub_i16 v92, v108, v101 clamp
	;; [unrolled: 1-line block ×4, first 2 shown]
	v_lshl_or_b32 v67, v67, 16, v79
	v_dot4_i32_i8 v65, v66, v8, v65
	v_perm_b32 v77, v92, v81, s91
	v_perm_b32 v68, v68, v80, s91
	v_dot4_i32_i8 v65, v67, v9, v65
	v_lshrrev_b32_e32 v67, 13, v64
	v_lshl_or_b32 v68, v68, 16, v77
	v_lshl_or_b32 v67, v75, 17, v67
	v_dot4_i32_i8 v65, v68, v2, v65
	v_and_b32_e32 v68, 0x1800180, v67
	v_bfe_u32 v67, v67, 24, 1
	v_cmp_ne_u16_sdwa s[36:37], v68, v13 src0_sel:BYTE_1 src1_sel:DWORD
	v_cmp_ne_u16_e32 vcc, 0, v67
	v_lshrrev_b16_e32 v75, 7, v68
	v_lshrrev_b32_e32 v76, 22, v64
	v_cndmask_b32_e64 v68, 0, -1, s[36:37]
	v_cndmask_b32_e64 v67, 0, -1, vcc
	v_or_b32_sdwa v66, v82, v86 dst_sel:DWORD dst_unused:UNUSED_PAD src0_sel:WORD_0 src1_sel:DWORD
	v_bfe_i32 v75, v75, 0, 1
	v_lshlrev_b16_e32 v68, 8, v68
	v_lshlrev_b16_e32 v67, 8, v67
	v_bfe_i32 v76, v76, 0, 1
	v_or_b32_sdwa v77, v75, v68 dst_sel:DWORD dst_unused:UNUSED_PAD src0_sel:BYTE_0 src1_sel:DWORD
	v_or_b32_sdwa v78, v76, v67 dst_sel:WORD_1 dst_unused:UNUSED_PAD src0_sel:BYTE_0 src1_sel:DWORD
	s_waitcnt vmcnt(1)
	v_xor_b32_e32 v66, v69, v66
	v_or_b32_sdwa v77, v77, v78 dst_sel:DWORD dst_unused:UNUSED_PAD src0_sel:WORD_0 src1_sel:DWORD
	v_and_b32_e32 v69, 0xffffff00, v66
	v_lshlrev_b16_e32 v78, 8, v66
	v_lshlrev_b16_e32 v79, 8, v89
	v_sub_i16 v69, v69, v98 clamp
	v_sub_i16 v78, v78, v79 clamp
	v_perm_b32 v69, v78, v69, s91
	v_and_b32_sdwa v78, v66, s90 dst_sel:DWORD dst_unused:UNUSED_PAD src0_sel:WORD_1 src1_sel:DWORD
	v_lshlrev_b16_sdwa v66, v42, v66 dst_sel:DWORD dst_unused:UNUSED_PAD src0_sel:DWORD src1_sel:WORD_1
	v_lshlrev_b16_e32 v79, 8, v84
	v_sub_i16 v78, v78, v99 clamp
	v_sub_i16 v66, v66, v79 clamp
	v_perm_b32 v66, v66, v78, s91
	v_lshl_or_b32 v66, v66, 16, v69
	v_xor_b32_e32 v69, v70, v77
	v_and_b32_e32 v70, 0xffffff00, v69
	v_sub_i16 v68, v70, v68 clamp
	v_lshlrev_b16_e32 v70, 8, v69
	v_lshlrev_b16_e32 v75, 8, v75
	v_sub_i16 v70, v70, v75 clamp
	v_perm_b32 v68, v70, v68, s91
	v_and_b32_sdwa v70, v69, s90 dst_sel:DWORD dst_unused:UNUSED_PAD src0_sel:WORD_1 src1_sel:DWORD
	v_sub_i16 v67, v70, v67 clamp
	v_lshlrev_b16_sdwa v69, v42, v69 dst_sel:DWORD dst_unused:UNUSED_PAD src0_sel:DWORD src1_sel:WORD_1
	v_lshlrev_b16_e32 v70, 8, v76
	v_sub_i16 v69, v69, v70 clamp
	v_perm_b32 v67, v69, v67, s91
	v_lshl_or_b32 v67, v67, 16, v68
	v_dot4_i32_i8 v66, v66, v3, 0
	v_dot4_i32_i8 v66, v67, v4, v66
	v_lshrrev_b32_e32 v67, 17, v64
	v_lshrrev_b32_e32 v68, 24, v64
	v_lshl_or_b32 v67, v68, 21, v67
	v_and_b32_e32 v68, 0x1800180, v67
	v_bfe_u32 v67, v67, 24, 1
	v_cmp_ne_u16_sdwa s[36:37], v68, v13 src0_sel:BYTE_1 src1_sel:DWORD
	v_cmp_ne_u16_e32 vcc, 0, v67
	v_lshrrev_b16_e32 v69, 7, v68
	v_lshrrev_b32_e32 v70, 26, v64
	v_cndmask_b32_e64 v68, 0, -1, s[36:37]
	v_cndmask_b32_e64 v67, 0, -1, vcc
	v_bfe_i32 v69, v69, 0, 1
	v_lshlrev_b16_e32 v68, 8, v68
	v_lshlrev_b16_e32 v67, 8, v67
	v_bfe_i32 v70, v70, 0, 1
	v_or_b32_sdwa v75, v69, v68 dst_sel:DWORD dst_unused:UNUSED_PAD src0_sel:BYTE_0 src1_sel:DWORD
	v_or_b32_sdwa v76, v70, v67 dst_sel:WORD_1 dst_unused:UNUSED_PAD src0_sel:BYTE_0 src1_sel:DWORD
	v_or_b32_sdwa v75, v75, v76 dst_sel:DWORD dst_unused:UNUSED_PAD src0_sel:WORD_0 src1_sel:DWORD
	s_waitcnt vmcnt(0)
	v_xor_b32_e32 v71, v71, v75
	v_and_b32_e32 v75, 0xffffff00, v71
	v_lshrrev_b32_e32 v76, 21, v64
	v_lshrrev_b32_e32 v78, 31, v64
	v_sub_i16 v68, v75, v68 clamp
	v_lshlrev_b16_e32 v75, 8, v71
	v_lshlrev_b16_e32 v69, 8, v69
	v_lshrrev_b16_e32 v77, 8, v76
	v_cmp_ne_u16_e32 vcc, 0, v78
	v_sub_i16 v69, v75, v69 clamp
	v_lshrrev_b32_e32 v64, 30, v64
	v_lshrrev_b16_e32 v76, 7, v76
	v_bfe_i32 v77, v77, 0, 1
	v_cndmask_b32_e64 v78, 0, -1, vcc
	v_perm_b32 v68, v69, v68, s91
	v_and_b32_sdwa v69, v71, s90 dst_sel:DWORD dst_unused:UNUSED_PAD src0_sel:WORD_1 src1_sel:DWORD
	v_lshlrev_b16_e32 v77, 8, v77
	v_bfe_i32 v76, v76, 0, 1
	v_bfe_i32 v64, v64, 0, 1
	v_lshlrev_b16_e32 v78, 8, v78
	v_sub_i16 v67, v69, v67 clamp
	v_lshlrev_b16_sdwa v69, v42, v71 dst_sel:DWORD dst_unused:UNUSED_PAD src0_sel:DWORD src1_sel:WORD_1
	v_lshlrev_b16_e32 v70, 8, v70
	v_or_b32_sdwa v79, v76, v77 dst_sel:DWORD dst_unused:UNUSED_PAD src0_sel:BYTE_0 src1_sel:DWORD
	v_or_b32_sdwa v80, v64, v78 dst_sel:WORD_1 dst_unused:UNUSED_PAD src0_sel:BYTE_0 src1_sel:DWORD
	v_sub_i16 v69, v69, v70 clamp
	v_or_b32_sdwa v79, v79, v80 dst_sel:DWORD dst_unused:UNUSED_PAD src0_sel:WORD_0 src1_sel:DWORD
	v_perm_b32 v67, v69, v67, s91
	v_lshl_or_b32 v67, v67, 16, v68
	v_xor_b32_e32 v68, v72, v79
	v_and_b32_e32 v69, 0xffffff00, v68
	v_lshlrev_b16_e32 v70, 8, v68
	v_lshlrev_b16_e32 v71, 8, v76
	v_sub_i16 v69, v69, v77 clamp
	v_sub_i16 v70, v70, v71 clamp
	v_perm_b32 v69, v70, v69, s91
	v_and_b32_sdwa v70, v68, s90 dst_sel:DWORD dst_unused:UNUSED_PAD src0_sel:WORD_1 src1_sel:DWORD
	v_lshlrev_b16_sdwa v68, v42, v68 dst_sel:DWORD dst_unused:UNUSED_PAD src0_sel:DWORD src1_sel:WORD_1
	v_lshlrev_b16_e32 v64, 8, v64
	v_sub_i16 v70, v70, v78 clamp
	v_sub_i16 v64, v68, v64 clamp
	v_perm_b32 v64, v64, v70, s91
	v_lshl_or_b32 v64, v64, 16, v69
	v_dot4_i32_i8 v66, v67, v5, v66
	v_dot4_i32_i8 v64, v64, v43, v66
	v_lshrrev_b32_e32 v66, 4, v74
	v_and_b32_e32 v67, 15, v74
	v_mul_lo_u32 v67, v65, v67
	v_mul_lo_u32 v66, v64, v66
	v_add_u32_e32 v64, v64, v65
	v_lshrrev_b32_e32 v65, 31, v64
	v_add_u32_e32 v64, v64, v65
	v_ashrrev_i32_e32 v64, 1, v64
	v_add3_u32 v64, v66, v67, v64
	v_ashrrev_i32_e32 v65, 31, v64
	v_lshrrev_b32_e32 v65, 30, v65
	v_add_u32_e32 v64, v64, v65
	v_ashrrev_i32_e32 v64, 2, v64
	v_cvt_f32_f16_e32 v65, v73
	v_cvt_f32_i32_e32 v64, v64
	v_mul_f32_e32 v65, v6, v65
	v_fma_f32 v11, v65, v64, v11
	s_branch .LBB181_17
.LBB181_22:
	s_or_b64 exec, exec, s[42:43]
	v_readlane_b32 s22, v110, 0
	v_readlane_b32 s23, v110, 1
.LBB181_23:
	s_or_b64 exec, exec, s[58:59]
	s_load_dword s14, s[4:5], 0x30
	v_cmp_eq_u32_e64 s[6:7], 0, v1
	v_cmp_ne_u32_e32 vcc, 0, v1
	v_lshlrev_b32_e32 v2, 2, v0
	s_and_saveexec_b64 s[10:11], vcc
	s_cbranch_execz .LBB181_28
; %bb.24:
	v_lshl_or_b32 v1, v1, 9, v2
	v_add_u32_e32 v3, 0xfffffe00, v1
	s_mov_b64 s[12:13], -1
	s_and_b64 vcc, exec, s[22:23]
	ds_write_b32 v3, v14
	s_cbranch_vccz .LBB181_26
; %bb.25:
	ds_write_b32 v3, v12 offset:256
	s_mov_b64 s[12:13], 0
.LBB181_26:
	s_andn2_b64 vcc, exec, s[12:13]
	s_cbranch_vccnz .LBB181_28
; %bb.27:
	ds_write_b32 v3, v12 offset:256
	ds_write2st64_b32 v1, v10, v11 offset1:1
.LBB181_28:
	s_or_b64 exec, exec, s[10:11]
	s_waitcnt vmcnt(0) lgkmcnt(0)
	s_barrier
	s_and_saveexec_b64 s[10:11], s[6:7]
	s_cbranch_execz .LBB181_61
; %bb.29:
	ds_read_b32 v4, v2
	v_cmp_ne_u32_e64 s[6:7], 1, v38
	s_andn2_b64 vcc, exec, s[46:47]
	v_or_b32_e32 v3, 0x200, v2
	s_cbranch_vccnz .LBB181_31
; %bb.30:
	ds_read_b32 v1, v3
	s_waitcnt lgkmcnt(0)
	v_add_f32_e32 v10, v10, v1
.LBB181_31:
	v_mbcnt_lo_u32_b32 v1, -1, 0
	v_mbcnt_hi_u32_b32 v5, -1, v1
	v_and_b32_e32 v1, 64, v5
	v_add_u32_e32 v13, 64, v1
	v_xor_b32_e32 v1, 32, v5
	v_cmp_lt_i32_e32 vcc, v1, v13
	v_cndmask_b32_e32 v1, v5, v1, vcc
	v_lshlrev_b32_e32 v1, 2, v1
	s_waitcnt lgkmcnt(0)
	v_add_f32_e32 v4, v14, v4
	ds_bpermute_b32 v7, v1, v4
	v_xor_b32_e32 v6, 16, v5
	v_cmp_lt_i32_e32 vcc, v6, v13
	v_cndmask_b32_e32 v6, v5, v6, vcc
	v_lshlrev_b32_e32 v6, 2, v6
	s_waitcnt lgkmcnt(0)
	v_add_f32_e32 v4, v4, v7
	ds_bpermute_b32 v8, v6, v4
	;; [unrolled: 7-line block ×6, first 2 shown]
	s_and_b64 vcc, exec, s[6:7]
	s_cbranch_vccnz .LBB181_33
; %bb.32:
	ds_bpermute_b32 v14, v1, v10
	s_waitcnt lgkmcnt(0)
	v_add_f32_e32 v10, v10, v14
	ds_bpermute_b32 v14, v6, v10
	s_waitcnt lgkmcnt(0)
	v_add_f32_e32 v10, v10, v14
	;; [unrolled: 3-line block ×6, first 2 shown]
.LBB181_33:
	ds_read_b32 v14, v2 offset:256
	s_and_b64 vcc, exec, s[6:7]
	s_cbranch_vccnz .LBB181_35
; %bb.34:
	ds_read_b32 v3, v3 offset:256
	s_waitcnt lgkmcnt(0)
	v_add_f32_e32 v11, v11, v3
.LBB181_35:
	s_waitcnt lgkmcnt(0)
	v_add_f32_e32 v3, v12, v14
	ds_bpermute_b32 v12, v1, v3
	s_and_b64 vcc, exec, s[6:7]
	s_waitcnt lgkmcnt(0)
	v_add_f32_e32 v3, v3, v12
	ds_bpermute_b32 v12, v6, v3
	s_waitcnt lgkmcnt(0)
	v_add_f32_e32 v3, v3, v12
	ds_bpermute_b32 v12, v7, v3
	;; [unrolled: 3-line block ×5, first 2 shown]
	s_cbranch_vccnz .LBB181_37
; %bb.36:
	ds_bpermute_b32 v1, v1, v11
	s_waitcnt lgkmcnt(0)
	v_add_f32_e32 v1, v11, v1
	ds_bpermute_b32 v6, v6, v1
	s_waitcnt lgkmcnt(0)
	v_add_f32_e32 v1, v1, v6
	;; [unrolled: 3-line block ×6, first 2 shown]
.LBB181_37:
	v_cmp_gt_u32_e32 vcc, s9, v35
	v_cmp_gt_u32_e64 s[10:11], 2, v0
	s_and_b64 s[10:11], s[10:11], vcc
	s_and_b64 exec, exec, s[10:11]
	s_cbranch_execz .LBB181_61
; %bb.38:
	v_add_f32_e32 v1, v4, v5
	s_waitcnt lgkmcnt(0)
	v_add_f32_e32 v3, v3, v12
	v_cmp_eq_u32_e64 s[10:11], 1, v0
	v_cndmask_b32_e64 v0, v1, v3, s[10:11]
	v_add_f32_e32 v1, v37, v0
	s_and_b64 vcc, exec, s[6:7]
	v_cndmask_b32_e64 v0, v1, v0, s[0:1]
	s_cbranch_vccnz .LBB181_60
; %bb.39:
	v_cndmask_b32_e64 v1, v10, v11, s[10:11]
	v_add_f32_e32 v3, v36, v1
	v_cndmask_b32_e64 v1, v1, v3, s[2:3]
	s_cmp_lt_i32 s14, 2
	s_mov_b64 s[0:1], 0
	s_cbranch_scc1 .LBB181_43
; %bb.40:
	s_cmp_gt_i32 s14, 2
	s_cbranch_scc0 .LBB181_44
; %bb.41:
	s_cmp_eq_u32 s14, 3
	s_cbranch_scc0 .LBB181_45
; %bb.42:
	v_max_f32_e32 v3, v1, v1
	v_min_f32_e32 v3, 0x40e00000, v3
	v_mul_f32_e32 v4, 0xbfd9db23, v3
	s_mov_b32 s2, 0x3fb8aa3b
	v_mul_f32_e32 v5, 0x3fb8aa3b, v4
	v_fma_f32 v6, v4, s2, -v5
	v_rndne_f32_e32 v7, v5
	v_fmac_f32_e32 v6, 0x32a5705f, v4
	v_sub_f32_e32 v5, v5, v7
	v_add_f32_e32 v5, v5, v6
	v_exp_f32_e32 v5, v5
	v_cvt_i32_f32_e32 v6, v7
	s_mov_b32 s2, 0xc2ce8ed0
	v_cmp_ngt_f32_e32 vcc, s2, v4
	s_mov_b32 s2, 0x42b17218
	v_ldexp_f32 v5, v5, v6
	v_cndmask_b32_e32 v5, 0, v5, vcc
	v_mov_b32_e32 v6, 0x7f800000
	v_cmp_nlt_f32_e32 vcc, s2, v4
	v_cndmask_b32_e32 v4, v6, v5, vcc
	v_add_f32_e32 v4, 1.0, v4
	v_div_scale_f32 v5, s[2:3], v4, v4, v3
	v_div_scale_f32 v6, vcc, v3, v4, v3
	s_mov_b64 s[2:3], 0
	v_rcp_f32_e32 v7, v5
	v_fma_f32 v8, -v5, v7, 1.0
	v_fmac_f32_e32 v7, v8, v7
	v_mul_f32_e32 v8, v6, v7
	v_fma_f32 v9, -v5, v8, v6
	v_fmac_f32_e32 v8, v9, v7
	v_fma_f32 v5, -v5, v8, v6
	v_div_fmas_f32 v5, v5, v7, v8
	v_max_f32_e32 v6, v0, v0
	v_min_f32_e32 v6, 0x40e00000, v6
	v_max_f32_e32 v6, 0xc0e00000, v6
	v_add_f32_e32 v6, 1.0, v6
	v_div_fixup_f32 v3, v5, v4, v3
	v_mul_f32_e32 v3, v6, v3
	s_branch .LBB181_46
.LBB181_43:
                                        ; implicit-def: $vgpr3
	s_mov_b64 s[2:3], 0
	s_cbranch_execnz .LBB181_50
	s_branch .LBB181_51
.LBB181_44:
	s_mov_b64 s[6:7], -1
	s_mov_b64 s[2:3], 0
                                        ; implicit-def: $vgpr3
	s_branch .LBB181_47
.LBB181_45:
	s_mov_b64 s[2:3], -1
                                        ; implicit-def: $vgpr3
.LBB181_46:
	s_mov_b64 s[6:7], 0
.LBB181_47:
	s_and_b64 vcc, exec, s[6:7]
	s_cbranch_vccz .LBB181_49
; %bb.48:
	v_mul_f32_e32 v3, 0xbfb8aa3b, v1
	s_mov_b32 s6, 0xbfb8aa3b
	v_rndne_f32_e32 v4, v3
	v_sub_f32_e32 v5, v3, v4
	v_fma_f32 v3, v1, s6, -v3
	v_fmac_f32_e32 v3, 0xb2a5705f, v1
	v_add_f32_e32 v3, v5, v3
	v_exp_f32_e32 v3, v3
	v_cvt_i32_f32_e32 v4, v4
	s_mov_b32 s6, 0x42ce8ed0
	v_cmp_nlt_f32_e32 vcc, s6, v1
	s_mov_b32 s6, 0xc2b17218
	v_ldexp_f32 v3, v3, v4
	v_cndmask_b32_e32 v3, 0, v3, vcc
	v_mov_b32_e32 v4, 0x7f800000
	v_cmp_ngt_f32_e32 vcc, s6, v1
	v_cndmask_b32_e32 v3, v4, v3, vcc
	v_add_f32_e32 v3, 1.0, v3
	v_div_scale_f32 v4, s[6:7], v3, v3, v1
	v_div_scale_f32 v5, vcc, v1, v3, v1
	v_rcp_f32_e32 v6, v4
	v_fma_f32 v7, -v4, v6, 1.0
	v_fmac_f32_e32 v6, v7, v6
	v_mul_f32_e32 v7, v5, v6
	v_fma_f32 v8, -v4, v7, v5
	v_fmac_f32_e32 v7, v8, v6
	v_fma_f32 v4, -v4, v7, v5
	v_div_fmas_f32 v4, v4, v6, v7
	v_div_fixup_f32 v3, v4, v3, v1
	v_mul_f32_e32 v3, v0, v3
.LBB181_49:
	s_branch .LBB181_51
.LBB181_50:
	s_cmp_lg_u32 s14, 1
	s_mov_b64 s[0:1], -1
	s_cselect_b64 s[2:3], -1, 0
.LBB181_51:
	s_andn2_b64 vcc, exec, s[2:3]
	s_cbranch_vccz .LBB181_53
; %bb.52:
	s_andn2_b64 vcc, exec, s[0:1]
	s_cbranch_vccz .LBB181_54
	s_branch .LBB181_59
.LBB181_53:
	v_mul_f32_e32 v3, v1, v0
	s_cbranch_execnz .LBB181_59
.LBB181_54:
	v_mul_f32_e32 v4, 0x3d372713, v1
	v_mul_f32_e32 v3, 0x3f4c422a, v1
	v_fma_f32 v4, v1, v4, 1.0
	v_mul_f32_e32 v3, v3, v4
	s_mov_b32 s0, 0x3f200000
	v_cmp_nlt_f32_e64 s[0:1], |v3|, s0
                                        ; implicit-def: $vgpr4
	s_and_saveexec_b64 s[2:3], s[0:1]
	s_xor_b64 s[0:1], exec, s[2:3]
	s_cbranch_execz .LBB181_56
; %bb.55:
	v_add_f32_e64 v4, |v3|, |v3|
	v_mul_f32_e32 v5, 0x3fb8aa3b, v4
	s_mov_b32 s2, 0x3fb8aa3b
	v_rndne_f32_e32 v6, v5
	v_sub_f32_e32 v7, v5, v6
	v_fma_f32 v5, v4, s2, -v5
	v_fmac_f32_e32 v5, 0x32a5705f, v4
	v_add_f32_e32 v5, v7, v5
	v_exp_f32_e32 v5, v5
	v_cvt_i32_f32_e32 v6, v6
	s_mov_b32 s2, 0xc2ce8ed0
	v_cmp_ngt_f32_e32 vcc, s2, v4
	s_mov_b32 s2, 0x42b17218
	v_ldexp_f32 v5, v5, v6
	v_cndmask_b32_e32 v5, 0, v5, vcc
	v_mov_b32_e32 v6, 0x7f800000
	v_cmp_nlt_f32_e32 vcc, s2, v4
	v_cndmask_b32_e32 v4, v6, v5, vcc
	v_add_f32_e32 v4, 1.0, v4
	v_rcp_f32_e32 v4, v4
	v_fma_f32 v4, v4, -2.0, 1.0
.LBB181_56:
	s_andn2_saveexec_b64 s[0:1], s[0:1]
	s_cbranch_execz .LBB181_58
; %bb.57:
	v_mul_f32_e32 v4, v3, v3
	v_mov_b32_e32 v5, 0x3ca908c9
	v_fmac_f32_e32 v5, 0xbbbac73d, v4
	v_mov_b32_e32 v6, 0xbd5c1c4e
	v_fmac_f32_e32 v6, v4, v5
	;; [unrolled: 2-line block ×4, first 2 shown]
	v_mul_f32_e64 v5, |v3|, v6
	v_fma_f32 v4, v4, v5, |v3|
.LBB181_58:
	s_or_b64 exec, exec, s[0:1]
	s_brev_b32 s0, -2
	v_bfi_b32 v3, s0, v4, v3
	v_mul_f32_e32 v1, 0.5, v1
	v_add_f32_e32 v3, 1.0, v3
	v_mul_f32_e32 v1, v1, v3
	v_mul_f32_e32 v3, v0, v1
.LBB181_59:
	v_mov_b32_e32 v0, v3
.LBB181_60:
	s_load_dwordx2 s[0:1], s[4:5], 0x38
	s_mul_i32 s3, s50, s60
	s_mul_i32 s2, s54, s8
	s_add_i32 s3, s3, s44
	s_add_i32 s2, s3, s2
	s_mov_b32 s3, 0
	s_lshl_b64 s[2:3], s[2:3], 2
	s_waitcnt lgkmcnt(0)
	s_add_u32 s0, s0, s2
	s_addc_u32 s1, s1, s3
	global_store_dword v2, v0, s[0:1]
.LBB181_61:
	s_endpgm
	.section	.rodata,"a",@progbits
	.p2align	6, 0x0
	.amdhsa_kernel _ZL13mul_mat_vec_qIL9ggml_type22ELi1ELb1ELb1EEvPKvS2_PKi31ggml_cuda_mm_fusion_args_devicePfj15HIP_vector_typeIjLj3EEjjjS8_jjjS8_jjjj
		.amdhsa_group_segment_fixed_size 1024
		.amdhsa_private_segment_fixed_size 0
		.amdhsa_kernarg_size 144
		.amdhsa_user_sgpr_count 6
		.amdhsa_user_sgpr_private_segment_buffer 1
		.amdhsa_user_sgpr_dispatch_ptr 0
		.amdhsa_user_sgpr_queue_ptr 0
		.amdhsa_user_sgpr_kernarg_segment_ptr 1
		.amdhsa_user_sgpr_dispatch_id 0
		.amdhsa_user_sgpr_flat_scratch_init 0
		.amdhsa_user_sgpr_private_segment_size 0
		.amdhsa_uses_dynamic_stack 0
		.amdhsa_system_sgpr_private_segment_wavefront_offset 0
		.amdhsa_system_sgpr_workgroup_id_x 1
		.amdhsa_system_sgpr_workgroup_id_y 1
		.amdhsa_system_sgpr_workgroup_id_z 1
		.amdhsa_system_sgpr_workgroup_info 0
		.amdhsa_system_vgpr_workitem_id 1
		.amdhsa_next_free_vgpr 111
		.amdhsa_next_free_sgpr 96
		.amdhsa_reserve_vcc 1
		.amdhsa_reserve_flat_scratch 0
		.amdhsa_float_round_mode_32 0
		.amdhsa_float_round_mode_16_64 0
		.amdhsa_float_denorm_mode_32 3
		.amdhsa_float_denorm_mode_16_64 3
		.amdhsa_dx10_clamp 1
		.amdhsa_ieee_mode 1
		.amdhsa_fp16_overflow 0
		.amdhsa_exception_fp_ieee_invalid_op 0
		.amdhsa_exception_fp_denorm_src 0
		.amdhsa_exception_fp_ieee_div_zero 0
		.amdhsa_exception_fp_ieee_overflow 0
		.amdhsa_exception_fp_ieee_underflow 0
		.amdhsa_exception_fp_ieee_inexact 0
		.amdhsa_exception_int_div_zero 0
	.end_amdhsa_kernel
	.section	.text._ZL13mul_mat_vec_qIL9ggml_type22ELi1ELb1ELb1EEvPKvS2_PKi31ggml_cuda_mm_fusion_args_devicePfj15HIP_vector_typeIjLj3EEjjjS8_jjjS8_jjjj,"axG",@progbits,_ZL13mul_mat_vec_qIL9ggml_type22ELi1ELb1ELb1EEvPKvS2_PKi31ggml_cuda_mm_fusion_args_devicePfj15HIP_vector_typeIjLj3EEjjjS8_jjjS8_jjjj,comdat
.Lfunc_end181:
	.size	_ZL13mul_mat_vec_qIL9ggml_type22ELi1ELb1ELb1EEvPKvS2_PKi31ggml_cuda_mm_fusion_args_devicePfj15HIP_vector_typeIjLj3EEjjjS8_jjjS8_jjjj, .Lfunc_end181-_ZL13mul_mat_vec_qIL9ggml_type22ELi1ELb1ELb1EEvPKvS2_PKi31ggml_cuda_mm_fusion_args_devicePfj15HIP_vector_typeIjLj3EEjjjS8_jjjS8_jjjj
                                        ; -- End function
	.set _ZL13mul_mat_vec_qIL9ggml_type22ELi1ELb1ELb1EEvPKvS2_PKi31ggml_cuda_mm_fusion_args_devicePfj15HIP_vector_typeIjLj3EEjjjS8_jjjS8_jjjj.num_vgpr, 111
	.set _ZL13mul_mat_vec_qIL9ggml_type22ELi1ELb1ELb1EEvPKvS2_PKi31ggml_cuda_mm_fusion_args_devicePfj15HIP_vector_typeIjLj3EEjjjS8_jjjS8_jjjj.num_agpr, 0
	.set _ZL13mul_mat_vec_qIL9ggml_type22ELi1ELb1ELb1EEvPKvS2_PKi31ggml_cuda_mm_fusion_args_devicePfj15HIP_vector_typeIjLj3EEjjjS8_jjjS8_jjjj.numbered_sgpr, 96
	.set _ZL13mul_mat_vec_qIL9ggml_type22ELi1ELb1ELb1EEvPKvS2_PKi31ggml_cuda_mm_fusion_args_devicePfj15HIP_vector_typeIjLj3EEjjjS8_jjjS8_jjjj.num_named_barrier, 0
	.set _ZL13mul_mat_vec_qIL9ggml_type22ELi1ELb1ELb1EEvPKvS2_PKi31ggml_cuda_mm_fusion_args_devicePfj15HIP_vector_typeIjLj3EEjjjS8_jjjS8_jjjj.private_seg_size, 0
	.set _ZL13mul_mat_vec_qIL9ggml_type22ELi1ELb1ELb1EEvPKvS2_PKi31ggml_cuda_mm_fusion_args_devicePfj15HIP_vector_typeIjLj3EEjjjS8_jjjS8_jjjj.uses_vcc, 1
	.set _ZL13mul_mat_vec_qIL9ggml_type22ELi1ELb1ELb1EEvPKvS2_PKi31ggml_cuda_mm_fusion_args_devicePfj15HIP_vector_typeIjLj3EEjjjS8_jjjS8_jjjj.uses_flat_scratch, 0
	.set _ZL13mul_mat_vec_qIL9ggml_type22ELi1ELb1ELb1EEvPKvS2_PKi31ggml_cuda_mm_fusion_args_devicePfj15HIP_vector_typeIjLj3EEjjjS8_jjjS8_jjjj.has_dyn_sized_stack, 0
	.set _ZL13mul_mat_vec_qIL9ggml_type22ELi1ELb1ELb1EEvPKvS2_PKi31ggml_cuda_mm_fusion_args_devicePfj15HIP_vector_typeIjLj3EEjjjS8_jjjS8_jjjj.has_recursion, 0
	.set _ZL13mul_mat_vec_qIL9ggml_type22ELi1ELb1ELb1EEvPKvS2_PKi31ggml_cuda_mm_fusion_args_devicePfj15HIP_vector_typeIjLj3EEjjjS8_jjjS8_jjjj.has_indirect_call, 0
	.section	.AMDGPU.csdata,"",@progbits
; Kernel info:
; codeLenInByte = 10652
; TotalNumSgprs: 100
; NumVgprs: 111
; ScratchSize: 0
; MemoryBound: 0
; FloatMode: 240
; IeeeMode: 1
; LDSByteSize: 1024 bytes/workgroup (compile time only)
; SGPRBlocks: 12
; VGPRBlocks: 27
; NumSGPRsForWavesPerEU: 100
; NumVGPRsForWavesPerEU: 111
; Occupancy: 2
; WaveLimiterHint : 0
; COMPUTE_PGM_RSRC2:SCRATCH_EN: 0
; COMPUTE_PGM_RSRC2:USER_SGPR: 6
; COMPUTE_PGM_RSRC2:TRAP_HANDLER: 0
; COMPUTE_PGM_RSRC2:TGID_X_EN: 1
; COMPUTE_PGM_RSRC2:TGID_Y_EN: 1
; COMPUTE_PGM_RSRC2:TGID_Z_EN: 1
; COMPUTE_PGM_RSRC2:TIDIG_COMP_CNT: 1
	.section	.text._ZL13mul_mat_vec_qIL9ggml_type22ELi1ELb0ELb1EEvPKvS2_PKi31ggml_cuda_mm_fusion_args_devicePfj15HIP_vector_typeIjLj3EEjjjS8_jjjS8_jjjj,"axG",@progbits,_ZL13mul_mat_vec_qIL9ggml_type22ELi1ELb0ELb1EEvPKvS2_PKi31ggml_cuda_mm_fusion_args_devicePfj15HIP_vector_typeIjLj3EEjjjS8_jjjS8_jjjj,comdat
	.globl	_ZL13mul_mat_vec_qIL9ggml_type22ELi1ELb0ELb1EEvPKvS2_PKi31ggml_cuda_mm_fusion_args_devicePfj15HIP_vector_typeIjLj3EEjjjS8_jjjS8_jjjj ; -- Begin function _ZL13mul_mat_vec_qIL9ggml_type22ELi1ELb0ELb1EEvPKvS2_PKi31ggml_cuda_mm_fusion_args_devicePfj15HIP_vector_typeIjLj3EEjjjS8_jjjS8_jjjj
	.p2align	8
	.type	_ZL13mul_mat_vec_qIL9ggml_type22ELi1ELb0ELb1EEvPKvS2_PKi31ggml_cuda_mm_fusion_args_devicePfj15HIP_vector_typeIjLj3EEjjjS8_jjjS8_jjjj,@function
_ZL13mul_mat_vec_qIL9ggml_type22ELi1ELb0ELb1EEvPKvS2_PKi31ggml_cuda_mm_fusion_args_devicePfj15HIP_vector_typeIjLj3EEjjjS8_jjjS8_jjjj: ; @_ZL13mul_mat_vec_qIL9ggml_type22ELi1ELb0ELb1EEvPKvS2_PKi31ggml_cuda_mm_fusion_args_devicePfj15HIP_vector_typeIjLj3EEjjjS8_jjjS8_jjjj
; %bb.0:
	s_load_dwordx2 s[0:1], s[4:5], 0x10
	s_load_dwordx4 s[16:19], s[4:5], 0x40
	s_mov_b32 s10, s7
	s_mov_b64 s[14:15], 0
	s_waitcnt lgkmcnt(0)
	s_cmp_lg_u64 s[0:1], 0
	s_cselect_b64 s[12:13], -1, 0
	s_cmp_eq_u64 s[0:1], 0
	s_cbranch_scc1 .LBB182_5
; %bb.1:
	s_mov_b32 s11, 0
	s_lshl_b64 s[2:3], s[10:11], 2
	s_add_u32 s0, s0, s2
	s_addc_u32 s1, s1, s3
	s_load_dword s21, s[0:1], 0x0
	s_nop 0
	s_load_dwordx4 s[0:3], s[4:5], 0x68
	s_load_dword s20, s[4:5], 0x50
	s_andn2_b64 vcc, exec, s[14:15]
	s_cbranch_vccnz .LBB182_3
.LBB182_2:
	s_load_dwordx2 s[14:15], s[4:5], 0x5c
	s_waitcnt lgkmcnt(0)
	s_mul_hi_u32 s7, s14, s10
	s_add_i32 s7, s10, s7
	s_lshr_b32 s21, s7, s15
.LBB182_3:
	s_load_dword s22, s[4:5], 0x78
	s_andn2_b64 vcc, exec, s[12:13]
	s_cbranch_vccnz .LBB182_6
; %bb.4:
	s_mul_hi_u32 s7, s17, s10
	s_add_i32 s7, s10, s7
	s_lshr_b32 s7, s7, s18
	s_mul_i32 s7, s7, s19
	s_sub_i32 s23, s10, s7
	s_branch .LBB182_7
.LBB182_5:
                                        ; implicit-def: $sgpr21
	s_load_dwordx4 s[0:3], s[4:5], 0x68
	s_load_dword s20, s[4:5], 0x50
	s_branch .LBB182_2
.LBB182_6:
	s_mov_b32 s23, s10
.LBB182_7:
	s_load_dwordx4 s[12:15], s[4:5], 0x80
	v_lshl_add_u32 v2, v1, 6, v0
	s_lshr_b32 s11, s16, 8
	v_lshrrev_b32_e32 v18, 3, v2
	s_lshl_b32 s9, s6, 1
	v_cmp_gt_u32_e32 vcc, s11, v18
	v_mov_b32_e32 v16, 0
	v_mov_b32_e32 v17, 0
	s_and_saveexec_b64 s[6:7], vcc
	s_cbranch_execz .LBB182_11
; %bb.8:
	s_waitcnt lgkmcnt(0)
	s_mul_hi_u32 s3, s3, s8
	s_add_i32 s3, s8, s3
	s_lshr_b32 s3, s3, s22
	s_mul_i32 s0, s21, s0
	s_mul_i32 s3, s3, s12
	;; [unrolled: 1-line block ×3, first 2 shown]
	s_add_i32 s15, s0, s3
	s_mul_hi_u32 s0, s1, 36
	s_mul_i32 s1, s1, 36
	v_lshrrev_b32_e32 v5, 3, v2
	v_mov_b32_e32 v2, s1
	v_mov_b32_e32 v3, s0
	s_movk_i32 s0, 0x120
	v_mad_u64_u32 v[2:3], s[0:1], v5, s0, v[2:3]
	s_mul_i32 s12, s13, s8
	s_mul_i32 s0, s9, s20
	s_add_i32 s3, s15, s0
	v_mad_u64_u32 v[2:3], s[0:1], s12, 36, v[2:3]
	s_load_dwordx4 s[16:19], s[4:5], 0x0
	v_and_b32_e32 v19, 7, v0
	s_add_i32 s0, s9, 1
	s_mul_i32 s20, s20, s0
	v_mad_u64_u32 v[2:3], s[0:1], v19, 36, v[2:3]
	s_waitcnt lgkmcnt(0)
	v_mov_b32_e32 v5, s19
	v_lshlrev_b32_e32 v4, 1, v19
	v_add_co_u32_e32 v2, vcc, s18, v2
	v_addc_co_u32_e32 v3, vcc, v5, v3, vcc
	v_add_co_u32_e32 v10, vcc, 32, v2
	v_mov_b32_e32 v12, s16
	v_mov_b32_e32 v20, 0
	s_add_i32 s15, s15, s20
	v_addc_co_u32_e32 v11, vcc, 0, v3, vcc
	s_mov_b64 s[0:1], 0
	s_movk_i32 s18, 0x52
	v_mov_b32_e32 v13, s17
	v_lshlrev_b32_e32 v21, 1, v4
	s_movk_i32 s16, 0x300
	s_movk_i32 s17, 0xff00
	s_mov_b32 s19, 0xc0c0105
	v_mov_b32_e32 v22, 8
	v_mov_b32_e32 v17, 0
	;; [unrolled: 1-line block ×3, first 2 shown]
.LBB182_9:                              ; =>This Inner Loop Header: Depth=1
	v_add_u32_e32 v14, s3, v18
	v_mad_i64_i32 v[14:15], s[12:13], v14, s18, v[12:13]
	global_load_dword v23, v[10:11], off
	global_load_dwordx4 v[2:5], v[10:11], off offset:-16
	global_load_dwordx4 v[6:9], v[10:11], off offset:-32
	s_getpc_b64 s[12:13]
	s_add_u32 s12, s12, _ZL9iq2s_grid@rel32@lo+4
	s_addc_u32 s13, s13, _ZL9iq2s_grid@rel32@hi+12
	v_add_co_u32_e32 v24, vcc, v14, v21
	v_addc_co_u32_e32 v25, vcc, 0, v15, vcc
	v_add_co_u32_e32 v26, vcc, v14, v19
	global_load_dword v28, v[24:25], off offset:2
	v_addc_co_u32_e32 v27, vcc, 0, v15, vcc
	global_load_ubyte v30, v[26:27], off offset:66
	global_load_dword v31, v[24:25], off offset:34
	s_waitcnt vmcnt(3)
	v_cvt_f32_f16_e32 v6, v6
	global_load_ubyte v26, v[26:27], off offset:74
	s_waitcnt vmcnt(3)
	v_and_b32_e32 v24, 0xff, v28
	global_load_ushort v14, v[14:15], off
	s_waitcnt vmcnt(3)
	v_lshlrev_b32_e32 v25, 8, v30
	v_and_or_b32 v24, v25, s16, v24
	s_waitcnt vmcnt(2)
	v_and_b32_e32 v25, 0xff, v31
	v_lshlrev_b32_e32 v27, 21, v31
	v_lshl_or_b32 v27, v25, 7, v27
	v_and_b32_e32 v33, 0x1800180, v27
	v_bfe_u32 v27, v27, 24, 1
	v_cmp_ne_u16_e32 vcc, 0, v27
	v_cmp_ne_u16_sdwa s[20:21], v33, v20 src0_sel:BYTE_1 src1_sel:DWORD
	v_lshrrev_b16_e32 v27, 7, v33
	v_lshrrev_b32_e32 v33, 2, v31
	v_cndmask_b32_e64 v34, 0, -1, s[20:21]
	v_cndmask_b32_e64 v36, 0, -1, vcc
	v_bfe_i32 v27, v27, 0, 1
	v_lshlrev_b16_e32 v34, 8, v34
	v_lshlrev_b16_e32 v36, 8, v36
	v_bfe_i32 v33, v33, 0, 1
	v_or_b32_sdwa v35, v27, v34 dst_sel:DWORD dst_unused:UNUSED_PAD src0_sel:BYTE_0 src1_sel:DWORD
	v_or_b32_sdwa v37, v33, v36 dst_sel:WORD_1 dst_unused:UNUSED_PAD src0_sel:BYTE_0 src1_sel:DWORD
	v_or_b32_sdwa v35, v35, v37 dst_sel:DWORD dst_unused:UNUSED_PAD src0_sel:WORD_0 src1_sel:DWORD
	v_lshlrev_b32_e32 v37, 17, v31
	v_lshl_or_b32 v25, v25, 3, v37
	v_and_b32_e32 v37, 0x1800180, v25
	v_bfe_u32 v25, v25, 24, 1
	v_cmp_ne_u16_e32 vcc, 0, v25
	v_cmp_ne_u16_sdwa s[20:21], v37, v20 src0_sel:BYTE_1 src1_sel:DWORD
	v_lshrrev_b16_e32 v25, 7, v37
	v_lshrrev_b32_e32 v37, 6, v31
	v_bfe_i32 v38, v25, 0, 1
	v_cndmask_b32_e64 v25, 0, -1, s[20:21]
	v_cndmask_b32_e64 v40, 0, -1, vcc
	v_lshlrev_b16_e32 v39, 8, v25
	v_lshlrev_b16_e32 v40, 8, v40
	v_bfe_i32 v37, v37, 0, 1
	v_lshlrev_b32_e32 v24, 3, v24
	v_or_b32_sdwa v25, v38, v39 dst_sel:DWORD dst_unused:UNUSED_PAD src0_sel:BYTE_0 src1_sel:DWORD
	v_or_b32_sdwa v41, v37, v40 dst_sel:WORD_1 dst_unused:UNUSED_PAD src0_sel:BYTE_0 src1_sel:DWORD
	v_or_b32_sdwa v41, v25, v41 dst_sel:DWORD dst_unused:UNUSED_PAD src0_sel:WORD_0 src1_sel:DWORD
	global_load_dwordx2 v[24:25], v24, s[12:13]
	v_lshlrev_b16_e32 v27, 8, v27
	v_lshlrev_b16_e32 v33, 8, v33
	v_lshrrev_b32_e32 v32, 16, v31
	v_lshrrev_b32_e32 v29, 24, v28
	s_waitcnt vmcnt(1)
	v_cvt_f32_f16_e32 v14, v14
	v_mul_f32_e32 v14, v14, v6
	s_waitcnt vmcnt(0)
	v_xor_b32_e32 v24, v24, v35
	v_and_b32_e32 v35, 0xffffff00, v24
	v_sub_i16 v34, v35, v34 clamp
	v_lshlrev_b16_e32 v35, 8, v24
	v_sub_i16 v27, v35, v27 clamp
	v_perm_b32 v27, v27, v34, s19
	v_and_b32_sdwa v34, v24, s17 dst_sel:DWORD dst_unused:UNUSED_PAD src0_sel:WORD_1 src1_sel:DWORD
	v_lshlrev_b16_sdwa v24, v22, v24 dst_sel:DWORD dst_unused:UNUSED_PAD src0_sel:DWORD src1_sel:WORD_1
	v_sub_i16 v34, v34, v36 clamp
	v_sub_i16 v24, v24, v33 clamp
	v_perm_b32 v24, v24, v34, s19
	v_xor_b32_e32 v25, v25, v41
	v_lshl_or_b32 v24, v24, 16, v27
	v_and_b32_e32 v27, 0xffffff00, v25
	v_lshlrev_b16_e32 v33, 8, v25
	v_lshlrev_b16_e32 v34, 8, v38
	v_sub_i16 v27, v27, v39 clamp
	v_sub_i16 v33, v33, v34 clamp
	v_perm_b32 v27, v33, v27, s19
	v_and_b32_sdwa v33, v25, s17 dst_sel:DWORD dst_unused:UNUSED_PAD src0_sel:WORD_1 src1_sel:DWORD
	v_lshlrev_b16_sdwa v25, v22, v25 dst_sel:DWORD dst_unused:UNUSED_PAD src0_sel:DWORD src1_sel:WORD_1
	v_lshlrev_b16_e32 v34, 8, v37
	v_sub_i16 v33, v33, v40 clamp
	v_sub_i16 v25, v25, v34 clamp
	v_perm_b32 v25, v25, v33, s19
	v_lshl_or_b32 v25, v25, 16, v27
	v_dot4_i32_i8 v24, v24, v7, 0
	v_dot4_i32_i8 v27, v25, v8, v24
	v_bfe_u32 v24, v28, 8, 8
	v_lshlrev_b32_e32 v25, 6, v30
	v_and_or_b32 v24, v25, s16, v24
	v_lshrrev_b32_e32 v25, 1, v31
	v_and_b32_e32 v25, 0x180, v25
	v_lshrrev_b32_e32 v33, 11, v31
	v_cmp_ne_u16_sdwa s[20:21], v25, v20 src0_sel:BYTE_1 src1_sel:DWORD
	v_lshrrev_b16_e32 v25, 7, v25
	v_lshrrev_b32_e32 v34, 10, v31
	v_bfe_i32 v35, v25, 0, 1
	v_cndmask_b32_e64 v25, 0, -1, s[20:21]
	v_bfe_i32 v33, v33, 0, 1
	v_lshlrev_b16_e32 v36, 8, v25
	v_lshlrev_b16_e32 v33, 8, v33
	v_bfe_i32 v34, v34, 0, 1
	v_or_b32_sdwa v25, v35, v36 dst_sel:DWORD dst_unused:UNUSED_PAD src0_sel:BYTE_0 src1_sel:DWORD
	v_or_b32_sdwa v37, v34, v33 dst_sel:WORD_1 dst_unused:UNUSED_PAD src0_sel:BYTE_0 src1_sel:DWORD
	v_or_b32_sdwa v37, v25, v37 dst_sel:DWORD dst_unused:UNUSED_PAD src0_sel:WORD_0 src1_sel:DWORD
	v_lshrrev_b32_e32 v25, 5, v31
	v_and_b32_e32 v25, 0x180, v25
	v_lshrrev_b32_e32 v38, 15, v31
	v_cmp_ne_u16_sdwa s[20:21], v25, v20 src0_sel:BYTE_1 src1_sel:DWORD
	v_lshrrev_b16_e32 v25, 7, v25
	v_lshrrev_b32_e32 v39, 14, v31
	v_bfe_i32 v40, v25, 0, 1
	v_cndmask_b32_e64 v25, 0, -1, s[20:21]
	v_bfe_i32 v38, v38, 0, 1
	v_lshlrev_b16_e32 v41, 8, v25
	v_lshlrev_b16_e32 v38, 8, v38
	v_bfe_i32 v39, v39, 0, 1
	v_lshlrev_b32_e32 v24, 3, v24
	v_or_b32_sdwa v25, v40, v41 dst_sel:DWORD dst_unused:UNUSED_PAD src0_sel:BYTE_0 src1_sel:DWORD
	v_or_b32_sdwa v42, v39, v38 dst_sel:WORD_1 dst_unused:UNUSED_PAD src0_sel:BYTE_0 src1_sel:DWORD
	v_or_b32_sdwa v42, v25, v42 dst_sel:DWORD dst_unused:UNUSED_PAD src0_sel:WORD_0 src1_sel:DWORD
	global_load_dwordx2 v[24:25], v24, s[12:13]
	v_lshlrev_b16_e32 v35, 8, v35
	v_lshlrev_b16_e32 v34, 8, v34
	s_waitcnt vmcnt(0)
	v_xor_b32_e32 v24, v24, v37
	v_and_b32_e32 v37, 0xffffff00, v24
	v_sub_i16 v36, v37, v36 clamp
	v_lshlrev_b16_e32 v37, 8, v24
	v_sub_i16 v35, v37, v35 clamp
	v_perm_b32 v35, v35, v36, s19
	v_and_b32_sdwa v36, v24, s17 dst_sel:DWORD dst_unused:UNUSED_PAD src0_sel:WORD_1 src1_sel:DWORD
	v_lshlrev_b16_sdwa v24, v22, v24 dst_sel:DWORD dst_unused:UNUSED_PAD src0_sel:DWORD src1_sel:WORD_1
	v_sub_i16 v33, v36, v33 clamp
	v_sub_i16 v24, v24, v34 clamp
	v_perm_b32 v24, v24, v33, s19
	v_xor_b32_e32 v25, v25, v42
	v_lshl_or_b32 v24, v24, 16, v35
	v_and_b32_e32 v33, 0xffffff00, v25
	v_lshlrev_b16_e32 v34, 8, v25
	v_lshlrev_b16_e32 v35, 8, v40
	v_sub_i16 v33, v33, v41 clamp
	v_sub_i16 v34, v34, v35 clamp
	v_perm_b32 v33, v34, v33, s19
	v_and_b32_sdwa v34, v25, s17 dst_sel:DWORD dst_unused:UNUSED_PAD src0_sel:WORD_1 src1_sel:DWORD
	v_lshlrev_b16_sdwa v25, v22, v25 dst_sel:DWORD dst_unused:UNUSED_PAD src0_sel:DWORD src1_sel:WORD_1
	v_lshlrev_b16_e32 v35, 8, v39
	v_sub_i16 v34, v34, v38 clamp
	v_sub_i16 v25, v25, v35 clamp
	v_perm_b32 v25, v25, v34, s19
	v_lshl_or_b32 v25, v25, 16, v33
	v_dot4_i32_i8 v24, v24, v9, v27
	v_dot4_i32_i8 v27, v25, v2, v24
	v_bfe_u32 v24, v28, 16, 8
	v_lshlrev_b32_e32 v25, 4, v30
	v_and_or_b32 v24, v25, s16, v24
	v_lshrrev_b32_e32 v25, 9, v31
	v_lshl_or_b32 v25, v32, 21, v25
	v_and_b32_e32 v28, 0x1800180, v25
	v_bfe_u32 v25, v25, 24, 1
	v_cmp_ne_u16_e32 vcc, 0, v25
	v_cmp_ne_u16_sdwa s[20:21], v28, v20 src0_sel:BYTE_1 src1_sel:DWORD
	v_lshrrev_b16_e32 v25, 7, v28
	v_lshrrev_b32_e32 v28, 18, v31
	v_bfe_i32 v33, v25, 0, 1
	v_cndmask_b32_e64 v25, 0, -1, s[20:21]
	v_cndmask_b32_e64 v35, 0, -1, vcc
	v_lshlrev_b16_e32 v34, 8, v25
	v_lshlrev_b16_e32 v35, 8, v35
	v_bfe_i32 v28, v28, 0, 1
	v_or_b32_sdwa v25, v33, v34 dst_sel:DWORD dst_unused:UNUSED_PAD src0_sel:BYTE_0 src1_sel:DWORD
	v_or_b32_sdwa v36, v28, v35 dst_sel:WORD_1 dst_unused:UNUSED_PAD src0_sel:BYTE_0 src1_sel:DWORD
	v_or_b32_sdwa v36, v25, v36 dst_sel:DWORD dst_unused:UNUSED_PAD src0_sel:WORD_0 src1_sel:DWORD
	v_lshrrev_b32_e32 v25, 13, v31
	v_lshl_or_b32 v25, v32, 17, v25
	v_and_b32_e32 v32, 0x1800180, v25
	v_bfe_u32 v25, v25, 24, 1
	v_cmp_ne_u16_e32 vcc, 0, v25
	v_cmp_ne_u16_sdwa s[20:21], v32, v20 src0_sel:BYTE_1 src1_sel:DWORD
	v_lshrrev_b16_e32 v25, 7, v32
	v_lshrrev_b32_e32 v32, 22, v31
	v_bfe_i32 v37, v25, 0, 1
	v_cndmask_b32_e64 v25, 0, -1, s[20:21]
	v_cndmask_b32_e64 v39, 0, -1, vcc
	v_lshlrev_b16_e32 v38, 8, v25
	v_lshlrev_b16_e32 v39, 8, v39
	v_bfe_i32 v32, v32, 0, 1
	v_lshlrev_b32_e32 v24, 3, v24
	v_or_b32_sdwa v25, v37, v38 dst_sel:DWORD dst_unused:UNUSED_PAD src0_sel:BYTE_0 src1_sel:DWORD
	v_or_b32_sdwa v40, v32, v39 dst_sel:WORD_1 dst_unused:UNUSED_PAD src0_sel:BYTE_0 src1_sel:DWORD
	v_or_b32_sdwa v40, v25, v40 dst_sel:DWORD dst_unused:UNUSED_PAD src0_sel:WORD_0 src1_sel:DWORD
	global_load_dwordx2 v[24:25], v24, s[12:13]
	v_lshlrev_b16_e32 v33, 8, v33
	v_lshlrev_b16_e32 v28, 8, v28
	;; [unrolled: 1-line block ×3, first 2 shown]
	s_waitcnt vmcnt(0)
	v_xor_b32_e32 v24, v24, v36
	v_and_b32_e32 v36, 0xffffff00, v24
	v_sub_i16 v34, v36, v34 clamp
	v_lshlrev_b16_e32 v36, 8, v24
	v_sub_i16 v33, v36, v33 clamp
	v_perm_b32 v33, v33, v34, s19
	v_and_b32_sdwa v34, v24, s17 dst_sel:DWORD dst_unused:UNUSED_PAD src0_sel:WORD_1 src1_sel:DWORD
	v_lshlrev_b16_sdwa v24, v22, v24 dst_sel:DWORD dst_unused:UNUSED_PAD src0_sel:DWORD src1_sel:WORD_1
	v_sub_i16 v34, v34, v35 clamp
	v_sub_i16 v24, v24, v28 clamp
	v_perm_b32 v24, v24, v34, s19
	v_xor_b32_e32 v25, v25, v40
	v_lshl_or_b32 v24, v24, 16, v33
	v_and_b32_e32 v28, 0xffffff00, v25
	v_lshlrev_b16_e32 v33, 8, v25
	v_lshlrev_b16_e32 v34, 8, v37
	v_sub_i16 v28, v28, v38 clamp
	v_sub_i16 v33, v33, v34 clamp
	v_perm_b32 v28, v33, v28, s19
	v_and_b32_sdwa v33, v25, s17 dst_sel:DWORD dst_unused:UNUSED_PAD src0_sel:WORD_1 src1_sel:DWORD
	v_lshlrev_b16_sdwa v25, v22, v25 dst_sel:DWORD dst_unused:UNUSED_PAD src0_sel:DWORD src1_sel:WORD_1
	v_sub_i16 v33, v33, v39 clamp
	v_sub_i16 v25, v25, v32 clamp
	v_perm_b32 v25, v25, v33, s19
	v_lshl_or_b32 v25, v25, 16, v28
	v_dot4_i32_i8 v24, v24, v3, 0
	v_dot4_i32_i8 v28, v25, v4, v24
	v_lshlrev_b32_e32 v24, 2, v30
	v_and_or_b32 v24, v24, s16, v29
	v_lshrrev_b32_e32 v25, 17, v31
	v_lshrrev_b32_e32 v29, 24, v31
	v_lshl_or_b32 v25, v29, 21, v25
	v_and_b32_e32 v29, 0x1800180, v25
	v_bfe_u32 v25, v25, 24, 1
	v_cmp_ne_u16_e32 vcc, 0, v25
	v_cmp_ne_u16_sdwa s[20:21], v29, v20 src0_sel:BYTE_1 src1_sel:DWORD
	v_lshrrev_b16_e32 v25, 7, v29
	v_lshrrev_b32_e32 v29, 26, v31
	v_bfe_i32 v30, v25, 0, 1
	v_cndmask_b32_e64 v25, 0, -1, s[20:21]
	v_cndmask_b32_e64 v33, 0, -1, vcc
	v_lshlrev_b16_e32 v32, 8, v25
	v_lshlrev_b16_e32 v33, 8, v33
	v_bfe_i32 v29, v29, 0, 1
	v_or_b32_sdwa v25, v30, v32 dst_sel:DWORD dst_unused:UNUSED_PAD src0_sel:BYTE_0 src1_sel:DWORD
	v_or_b32_sdwa v34, v29, v33 dst_sel:WORD_1 dst_unused:UNUSED_PAD src0_sel:BYTE_0 src1_sel:DWORD
	v_or_b32_sdwa v34, v25, v34 dst_sel:DWORD dst_unused:UNUSED_PAD src0_sel:WORD_0 src1_sel:DWORD
	v_lshrrev_b32_e32 v25, 21, v31
	v_lshrrev_b32_e32 v36, 31, v31
	v_lshrrev_b16_e32 v35, 8, v25
	v_cmp_ne_u16_e32 vcc, 0, v36
	v_lshrrev_b32_e32 v31, 30, v31
	v_lshrrev_b16_e32 v25, 7, v25
	v_bfe_i32 v35, v35, 0, 1
	v_cndmask_b32_e64 v37, 0, -1, vcc
	v_lshlrev_b16_e32 v35, 8, v35
	v_bfe_i32 v36, v25, 0, 1
	v_bfe_i32 v31, v31, 0, 1
	v_lshlrev_b16_e32 v37, 8, v37
	v_lshlrev_b32_e32 v24, 3, v24
	v_or_b32_sdwa v25, v36, v35 dst_sel:DWORD dst_unused:UNUSED_PAD src0_sel:BYTE_0 src1_sel:DWORD
	v_or_b32_sdwa v38, v31, v37 dst_sel:WORD_1 dst_unused:UNUSED_PAD src0_sel:BYTE_0 src1_sel:DWORD
	v_or_b32_sdwa v38, v25, v38 dst_sel:DWORD dst_unused:UNUSED_PAD src0_sel:WORD_0 src1_sel:DWORD
	global_load_dwordx2 v[24:25], v24, s[12:13]
	v_lshlrev_b16_e32 v30, 8, v30
	v_lshlrev_b16_e32 v29, 8, v29
	;; [unrolled: 1-line block ×3, first 2 shown]
	s_waitcnt vmcnt(0)
	v_xor_b32_e32 v24, v24, v34
	v_and_b32_e32 v34, 0xffffff00, v24
	v_sub_i16 v32, v34, v32 clamp
	v_lshlrev_b16_e32 v34, 8, v24
	v_sub_i16 v30, v34, v30 clamp
	v_perm_b32 v30, v30, v32, s19
	v_and_b32_sdwa v32, v24, s17 dst_sel:DWORD dst_unused:UNUSED_PAD src0_sel:WORD_1 src1_sel:DWORD
	v_lshlrev_b16_sdwa v24, v22, v24 dst_sel:DWORD dst_unused:UNUSED_PAD src0_sel:DWORD src1_sel:WORD_1
	v_sub_i16 v32, v32, v33 clamp
	v_sub_i16 v24, v24, v29 clamp
	v_perm_b32 v24, v24, v32, s19
	v_xor_b32_e32 v25, v25, v38
	v_lshl_or_b32 v24, v24, 16, v30
	v_and_b32_e32 v29, 0xffffff00, v25
	v_lshlrev_b16_e32 v30, 8, v25
	v_lshlrev_b16_e32 v32, 8, v36
	v_sub_i16 v29, v29, v35 clamp
	v_sub_i16 v30, v30, v32 clamp
	v_perm_b32 v29, v30, v29, s19
	v_and_b32_sdwa v30, v25, s17 dst_sel:DWORD dst_unused:UNUSED_PAD src0_sel:WORD_1 src1_sel:DWORD
	v_lshlrev_b16_sdwa v25, v22, v25 dst_sel:DWORD dst_unused:UNUSED_PAD src0_sel:DWORD src1_sel:WORD_1
	v_sub_i16 v30, v30, v37 clamp
	v_sub_i16 v25, v25, v31 clamp
	v_perm_b32 v25, v25, v30, s19
	v_lshl_or_b32 v25, v25, 16, v29
	v_dot4_i32_i8 v24, v24, v5, v28
	v_dot4_i32_i8 v24, v25, v23, v24
	v_lshrrev_b32_e32 v25, 4, v26
	v_and_b32_e32 v26, 15, v26
	v_mul_lo_u32 v26, v27, v26
	v_mul_lo_u32 v25, v24, v25
	v_add_u32_e32 v24, v24, v27
	v_lshrrev_b32_e32 v27, 31, v24
	v_add_u32_e32 v24, v24, v27
	v_ashrrev_i32_e32 v24, 1, v24
	v_add3_u32 v24, v25, v26, v24
	v_ashrrev_i32_e32 v25, 31, v24
	v_lshrrev_b32_e32 v25, 30, v25
	v_add_u32_e32 v24, v24, v25
	v_ashrrev_i32_e32 v24, 2, v24
	v_cvt_f32_i32_e32 v15, v24
	v_fmac_f32_e32 v17, v14, v15
	v_add_u32_e32 v14, s15, v18
	v_mad_i64_i32 v[14:15], s[20:21], v14, s18, v[12:13]
	v_add_u32_e32 v18, 16, v18
	v_add_co_u32_e32 v24, vcc, v14, v21
	v_addc_co_u32_e32 v25, vcc, 0, v15, vcc
	v_add_co_u32_e32 v26, vcc, v14, v19
	global_load_dword v28, v[24:25], off offset:2
	v_addc_co_u32_e32 v27, vcc, 0, v15, vcc
	global_load_ubyte v30, v[26:27], off offset:66
	global_load_dword v31, v[24:25], off offset:34
	s_waitcnt vmcnt(2)
	v_and_b32_e32 v24, 0xff, v28
	global_load_ubyte v26, v[26:27], off offset:74
	s_waitcnt vmcnt(2)
	v_lshlrev_b32_e32 v25, 8, v30
	v_and_or_b32 v24, v25, s16, v24
	s_waitcnt vmcnt(1)
	v_and_b32_e32 v25, 0xff, v31
	v_lshlrev_b32_e32 v27, 21, v31
	v_lshl_or_b32 v27, v25, 7, v27
	v_and_b32_e32 v33, 0x1800180, v27
	v_bfe_u32 v27, v27, 24, 1
	v_cmp_ne_u16_e32 vcc, 0, v27
	v_cmp_ne_u16_sdwa s[20:21], v33, v20 src0_sel:BYTE_1 src1_sel:DWORD
	v_lshrrev_b16_e32 v27, 7, v33
	v_lshrrev_b32_e32 v33, 2, v31
	v_cndmask_b32_e64 v34, 0, -1, s[20:21]
	v_cndmask_b32_e64 v36, 0, -1, vcc
	v_bfe_i32 v27, v27, 0, 1
	v_lshlrev_b16_e32 v34, 8, v34
	v_lshlrev_b16_e32 v36, 8, v36
	v_bfe_i32 v33, v33, 0, 1
	v_or_b32_sdwa v35, v27, v34 dst_sel:DWORD dst_unused:UNUSED_PAD src0_sel:BYTE_0 src1_sel:DWORD
	v_or_b32_sdwa v37, v33, v36 dst_sel:WORD_1 dst_unused:UNUSED_PAD src0_sel:BYTE_0 src1_sel:DWORD
	v_or_b32_sdwa v35, v35, v37 dst_sel:DWORD dst_unused:UNUSED_PAD src0_sel:WORD_0 src1_sel:DWORD
	v_lshlrev_b32_e32 v37, 17, v31
	v_lshl_or_b32 v25, v25, 3, v37
	v_and_b32_e32 v37, 0x1800180, v25
	v_bfe_u32 v25, v25, 24, 1
	v_cmp_ne_u16_e32 vcc, 0, v25
	v_cmp_ne_u16_sdwa s[20:21], v37, v20 src0_sel:BYTE_1 src1_sel:DWORD
	v_lshrrev_b16_e32 v25, 7, v37
	v_lshrrev_b32_e32 v37, 6, v31
	v_bfe_i32 v38, v25, 0, 1
	v_cndmask_b32_e64 v25, 0, -1, s[20:21]
	v_cndmask_b32_e64 v40, 0, -1, vcc
	v_lshlrev_b16_e32 v39, 8, v25
	v_lshlrev_b16_e32 v40, 8, v40
	v_bfe_i32 v37, v37, 0, 1
	v_lshlrev_b32_e32 v24, 3, v24
	v_or_b32_sdwa v25, v38, v39 dst_sel:DWORD dst_unused:UNUSED_PAD src0_sel:BYTE_0 src1_sel:DWORD
	v_or_b32_sdwa v41, v37, v40 dst_sel:WORD_1 dst_unused:UNUSED_PAD src0_sel:BYTE_0 src1_sel:DWORD
	v_or_b32_sdwa v41, v25, v41 dst_sel:DWORD dst_unused:UNUSED_PAD src0_sel:WORD_0 src1_sel:DWORD
	global_load_dwordx2 v[24:25], v24, s[12:13]
	v_lshlrev_b16_e32 v27, 8, v27
	v_lshlrev_b16_e32 v33, 8, v33
	v_lshrrev_b32_e32 v32, 16, v31
	v_lshrrev_b32_e32 v29, 24, v28
	s_waitcnt vmcnt(0)
	v_xor_b32_e32 v24, v24, v35
	v_and_b32_e32 v35, 0xffffff00, v24
	v_sub_i16 v34, v35, v34 clamp
	v_lshlrev_b16_e32 v35, 8, v24
	v_sub_i16 v27, v35, v27 clamp
	v_perm_b32 v27, v27, v34, s19
	v_and_b32_sdwa v34, v24, s17 dst_sel:DWORD dst_unused:UNUSED_PAD src0_sel:WORD_1 src1_sel:DWORD
	v_lshlrev_b16_sdwa v24, v22, v24 dst_sel:DWORD dst_unused:UNUSED_PAD src0_sel:DWORD src1_sel:WORD_1
	v_sub_i16 v34, v34, v36 clamp
	v_sub_i16 v24, v24, v33 clamp
	v_perm_b32 v24, v24, v34, s19
	v_xor_b32_e32 v25, v25, v41
	v_lshl_or_b32 v24, v24, 16, v27
	v_and_b32_e32 v27, 0xffffff00, v25
	v_lshlrev_b16_e32 v33, 8, v25
	v_lshlrev_b16_e32 v34, 8, v38
	v_sub_i16 v27, v27, v39 clamp
	v_sub_i16 v33, v33, v34 clamp
	v_perm_b32 v27, v33, v27, s19
	v_and_b32_sdwa v33, v25, s17 dst_sel:DWORD dst_unused:UNUSED_PAD src0_sel:WORD_1 src1_sel:DWORD
	v_lshlrev_b16_sdwa v25, v22, v25 dst_sel:DWORD dst_unused:UNUSED_PAD src0_sel:DWORD src1_sel:WORD_1
	v_lshlrev_b16_e32 v34, 8, v37
	v_sub_i16 v33, v33, v40 clamp
	v_sub_i16 v25, v25, v34 clamp
	v_perm_b32 v25, v25, v33, s19
	v_lshl_or_b32 v25, v25, 16, v27
	v_dot4_i32_i8 v7, v24, v7, 0
	v_dot4_i32_i8 v24, v25, v8, v7
	v_bfe_u32 v7, v28, 8, 8
	v_lshlrev_b32_e32 v8, 6, v30
	v_and_or_b32 v7, v8, s16, v7
	v_lshrrev_b32_e32 v8, 1, v31
	v_and_b32_e32 v8, 0x180, v8
	v_lshrrev_b32_e32 v25, 11, v31
	v_cmp_ne_u16_sdwa s[20:21], v8, v20 src0_sel:BYTE_1 src1_sel:DWORD
	v_lshrrev_b16_e32 v8, 7, v8
	v_lshrrev_b32_e32 v27, 10, v31
	v_bfe_i32 v33, v8, 0, 1
	v_cndmask_b32_e64 v8, 0, -1, s[20:21]
	v_bfe_i32 v25, v25, 0, 1
	v_lshlrev_b16_e32 v34, 8, v8
	v_lshlrev_b16_e32 v25, 8, v25
	v_bfe_i32 v27, v27, 0, 1
	v_or_b32_sdwa v8, v33, v34 dst_sel:DWORD dst_unused:UNUSED_PAD src0_sel:BYTE_0 src1_sel:DWORD
	v_or_b32_sdwa v35, v27, v25 dst_sel:WORD_1 dst_unused:UNUSED_PAD src0_sel:BYTE_0 src1_sel:DWORD
	v_or_b32_sdwa v35, v8, v35 dst_sel:DWORD dst_unused:UNUSED_PAD src0_sel:WORD_0 src1_sel:DWORD
	v_lshrrev_b32_e32 v8, 5, v31
	v_and_b32_e32 v8, 0x180, v8
	v_lshrrev_b32_e32 v36, 15, v31
	v_cmp_ne_u16_sdwa s[20:21], v8, v20 src0_sel:BYTE_1 src1_sel:DWORD
	v_lshrrev_b16_e32 v8, 7, v8
	v_lshrrev_b32_e32 v37, 14, v31
	v_bfe_i32 v38, v8, 0, 1
	v_cndmask_b32_e64 v8, 0, -1, s[20:21]
	v_bfe_i32 v36, v36, 0, 1
	v_lshlrev_b16_e32 v39, 8, v8
	v_lshlrev_b16_e32 v36, 8, v36
	v_bfe_i32 v37, v37, 0, 1
	v_lshlrev_b32_e32 v7, 3, v7
	v_or_b32_sdwa v8, v38, v39 dst_sel:DWORD dst_unused:UNUSED_PAD src0_sel:BYTE_0 src1_sel:DWORD
	v_or_b32_sdwa v40, v37, v36 dst_sel:WORD_1 dst_unused:UNUSED_PAD src0_sel:BYTE_0 src1_sel:DWORD
	v_or_b32_sdwa v40, v8, v40 dst_sel:DWORD dst_unused:UNUSED_PAD src0_sel:WORD_0 src1_sel:DWORD
	global_load_dwordx2 v[7:8], v7, s[12:13]
	v_lshlrev_b16_e32 v33, 8, v33
	v_lshlrev_b16_e32 v27, 8, v27
	s_waitcnt vmcnt(0)
	v_xor_b32_e32 v7, v7, v35
	v_and_b32_e32 v35, 0xffffff00, v7
	v_sub_i16 v34, v35, v34 clamp
	v_lshlrev_b16_e32 v35, 8, v7
	v_sub_i16 v33, v35, v33 clamp
	v_perm_b32 v33, v33, v34, s19
	v_and_b32_sdwa v34, v7, s17 dst_sel:DWORD dst_unused:UNUSED_PAD src0_sel:WORD_1 src1_sel:DWORD
	v_lshlrev_b16_sdwa v7, v22, v7 dst_sel:DWORD dst_unused:UNUSED_PAD src0_sel:DWORD src1_sel:WORD_1
	v_sub_i16 v25, v34, v25 clamp
	v_sub_i16 v7, v7, v27 clamp
	v_perm_b32 v7, v7, v25, s19
	v_xor_b32_e32 v8, v8, v40
	v_lshl_or_b32 v7, v7, 16, v33
	v_and_b32_e32 v25, 0xffffff00, v8
	v_lshlrev_b16_e32 v27, 8, v8
	v_lshlrev_b16_e32 v33, 8, v38
	v_sub_i16 v25, v25, v39 clamp
	v_sub_i16 v27, v27, v33 clamp
	v_perm_b32 v25, v27, v25, s19
	v_and_b32_sdwa v27, v8, s17 dst_sel:DWORD dst_unused:UNUSED_PAD src0_sel:WORD_1 src1_sel:DWORD
	v_lshlrev_b16_sdwa v8, v22, v8 dst_sel:DWORD dst_unused:UNUSED_PAD src0_sel:DWORD src1_sel:WORD_1
	v_lshlrev_b16_e32 v33, 8, v37
	v_sub_i16 v27, v27, v36 clamp
	v_sub_i16 v8, v8, v33 clamp
	v_perm_b32 v8, v8, v27, s19
	v_lshl_or_b32 v8, v8, 16, v25
	v_dot4_i32_i8 v7, v7, v9, v24
	v_dot4_i32_i8 v9, v8, v2, v7
	v_bfe_u32 v2, v28, 16, 8
	v_lshlrev_b32_e32 v7, 4, v30
	v_and_or_b32 v2, v7, s16, v2
	v_lshrrev_b32_e32 v7, 9, v31
	v_lshl_or_b32 v7, v32, 21, v7
	v_and_b32_e32 v8, 0x1800180, v7
	v_bfe_u32 v7, v7, 24, 1
	v_cmp_ne_u16_e32 vcc, 0, v7
	v_cmp_ne_u16_sdwa s[20:21], v8, v20 src0_sel:BYTE_1 src1_sel:DWORD
	v_lshrrev_b16_e32 v7, 7, v8
	v_lshrrev_b32_e32 v8, 18, v31
	v_bfe_i32 v24, v7, 0, 1
	v_cndmask_b32_e64 v7, 0, -1, s[20:21]
	v_cndmask_b32_e64 v27, 0, -1, vcc
	v_lshlrev_b16_e32 v25, 8, v7
	v_lshlrev_b16_e32 v27, 8, v27
	v_bfe_i32 v28, v8, 0, 1
	v_or_b32_sdwa v7, v24, v25 dst_sel:DWORD dst_unused:UNUSED_PAD src0_sel:BYTE_0 src1_sel:DWORD
	v_or_b32_sdwa v8, v28, v27 dst_sel:WORD_1 dst_unused:UNUSED_PAD src0_sel:BYTE_0 src1_sel:DWORD
	v_or_b32_sdwa v33, v7, v8 dst_sel:DWORD dst_unused:UNUSED_PAD src0_sel:WORD_0 src1_sel:DWORD
	v_lshrrev_b32_e32 v7, 13, v31
	v_lshl_or_b32 v7, v32, 17, v7
	v_and_b32_e32 v8, 0x1800180, v7
	v_bfe_u32 v7, v7, 24, 1
	v_cmp_ne_u16_e32 vcc, 0, v7
	v_cmp_ne_u16_sdwa s[20:21], v8, v20 src0_sel:BYTE_1 src1_sel:DWORD
	v_lshrrev_b16_e32 v7, 7, v8
	v_lshrrev_b32_e32 v8, 22, v31
	v_bfe_i32 v32, v7, 0, 1
	v_cndmask_b32_e64 v7, 0, -1, s[20:21]
	v_cndmask_b32_e64 v35, 0, -1, vcc
	v_lshlrev_b16_e32 v34, 8, v7
	v_lshlrev_b16_e32 v35, 8, v35
	v_bfe_i32 v36, v8, 0, 1
	v_lshlrev_b32_e32 v2, 3, v2
	v_or_b32_sdwa v7, v32, v34 dst_sel:DWORD dst_unused:UNUSED_PAD src0_sel:BYTE_0 src1_sel:DWORD
	v_or_b32_sdwa v8, v36, v35 dst_sel:WORD_1 dst_unused:UNUSED_PAD src0_sel:BYTE_0 src1_sel:DWORD
	v_or_b32_sdwa v37, v7, v8 dst_sel:DWORD dst_unused:UNUSED_PAD src0_sel:WORD_0 src1_sel:DWORD
	global_load_dwordx2 v[7:8], v2, s[12:13]
	v_lshlrev_b16_e32 v24, 8, v24
	s_waitcnt vmcnt(0)
	v_xor_b32_e32 v2, v7, v33
	v_and_b32_e32 v7, 0xffffff00, v2
	v_sub_i16 v7, v7, v25 clamp
	v_lshlrev_b16_e32 v25, 8, v2
	v_sub_i16 v24, v25, v24 clamp
	v_perm_b32 v7, v24, v7, s19
	v_and_b32_sdwa v24, v2, s17 dst_sel:DWORD dst_unused:UNUSED_PAD src0_sel:WORD_1 src1_sel:DWORD
	v_lshlrev_b16_sdwa v2, v22, v2 dst_sel:DWORD dst_unused:UNUSED_PAD src0_sel:DWORD src1_sel:WORD_1
	v_lshlrev_b16_e32 v25, 8, v28
	v_sub_i16 v24, v24, v27 clamp
	v_sub_i16 v2, v2, v25 clamp
	v_perm_b32 v2, v2, v24, s19
	v_lshl_or_b32 v2, v2, 16, v7
	v_xor_b32_e32 v7, v8, v37
	v_and_b32_e32 v8, 0xffffff00, v7
	v_lshlrev_b16_e32 v24, 8, v7
	v_lshlrev_b16_e32 v25, 8, v32
	v_sub_i16 v8, v8, v34 clamp
	v_sub_i16 v24, v24, v25 clamp
	v_perm_b32 v8, v24, v8, s19
	v_and_b32_sdwa v24, v7, s17 dst_sel:DWORD dst_unused:UNUSED_PAD src0_sel:WORD_1 src1_sel:DWORD
	v_lshlrev_b16_sdwa v7, v22, v7 dst_sel:DWORD dst_unused:UNUSED_PAD src0_sel:DWORD src1_sel:WORD_1
	v_lshlrev_b16_e32 v25, 8, v36
	v_sub_i16 v24, v24, v35 clamp
	v_sub_i16 v7, v7, v25 clamp
	v_perm_b32 v7, v7, v24, s19
	v_lshl_or_b32 v7, v7, 16, v8
	v_dot4_i32_i8 v2, v2, v3, 0
	v_dot4_i32_i8 v4, v7, v4, v2
	v_lshrrev_b32_e32 v3, 17, v31
	v_lshrrev_b32_e32 v7, 24, v31
	v_lshl_or_b32 v3, v7, 21, v3
	v_and_b32_e32 v7, 0x1800180, v3
	v_bfe_u32 v3, v3, 24, 1
	v_cmp_ne_u16_e32 vcc, 0, v3
	v_cmp_ne_u16_sdwa s[20:21], v7, v20 src0_sel:BYTE_1 src1_sel:DWORD
	v_lshrrev_b16_e32 v3, 7, v7
	v_lshrrev_b32_e32 v7, 26, v31
	v_bfe_i32 v8, v3, 0, 1
	v_cndmask_b32_e64 v3, 0, -1, s[20:21]
	v_cndmask_b32_e64 v25, 0, -1, vcc
	v_lshlrev_b16_e32 v24, 8, v3
	v_lshlrev_b16_e32 v25, 8, v25
	v_bfe_i32 v7, v7, 0, 1
	v_lshlrev_b32_e32 v2, 2, v30
	v_or_b32_sdwa v3, v8, v24 dst_sel:DWORD dst_unused:UNUSED_PAD src0_sel:BYTE_0 src1_sel:DWORD
	v_or_b32_sdwa v27, v7, v25 dst_sel:WORD_1 dst_unused:UNUSED_PAD src0_sel:BYTE_0 src1_sel:DWORD
	v_and_or_b32 v2, v2, s16, v29
	v_or_b32_sdwa v27, v3, v27 dst_sel:DWORD dst_unused:UNUSED_PAD src0_sel:WORD_0 src1_sel:DWORD
	v_lshrrev_b32_e32 v3, 21, v31
	v_lshrrev_b32_e32 v29, 31, v31
	v_lshrrev_b16_e32 v28, 8, v3
	v_cmp_ne_u16_e32 vcc, 0, v29
	v_lshrrev_b32_e32 v29, 30, v31
	v_lshrrev_b16_e32 v3, 7, v3
	v_bfe_i32 v28, v28, 0, 1
	v_cndmask_b32_e64 v31, 0, -1, vcc
	v_lshlrev_b16_e32 v28, 8, v28
	v_bfe_i32 v30, v3, 0, 1
	v_bfe_i32 v29, v29, 0, 1
	v_lshlrev_b16_e32 v31, 8, v31
	v_lshlrev_b32_e32 v2, 3, v2
	v_or_b32_sdwa v3, v30, v28 dst_sel:DWORD dst_unused:UNUSED_PAD src0_sel:BYTE_0 src1_sel:DWORD
	v_or_b32_sdwa v32, v29, v31 dst_sel:WORD_1 dst_unused:UNUSED_PAD src0_sel:BYTE_0 src1_sel:DWORD
	v_or_b32_sdwa v32, v3, v32 dst_sel:DWORD dst_unused:UNUSED_PAD src0_sel:WORD_0 src1_sel:DWORD
	global_load_dwordx2 v[2:3], v2, s[12:13]
	v_lshlrev_b16_e32 v8, 8, v8
	v_lshlrev_b16_e32 v7, 8, v7
	v_add_co_u32_e32 v10, vcc, 0x1200, v10
	v_addc_co_u32_e32 v11, vcc, 0, v11, vcc
	v_cmp_le_u32_e32 vcc, s11, v18
	s_or_b64 s[0:1], vcc, s[0:1]
	s_waitcnt vmcnt(0)
	v_xor_b32_e32 v2, v2, v27
	v_and_b32_e32 v27, 0xffffff00, v2
	v_sub_i16 v24, v27, v24 clamp
	v_lshlrev_b16_e32 v27, 8, v2
	v_sub_i16 v8, v27, v8 clamp
	v_perm_b32 v8, v8, v24, s19
	v_and_b32_sdwa v24, v2, s17 dst_sel:DWORD dst_unused:UNUSED_PAD src0_sel:WORD_1 src1_sel:DWORD
	v_lshlrev_b16_sdwa v2, v22, v2 dst_sel:DWORD dst_unused:UNUSED_PAD src0_sel:DWORD src1_sel:WORD_1
	v_sub_i16 v24, v24, v25 clamp
	v_sub_i16 v2, v2, v7 clamp
	v_perm_b32 v2, v2, v24, s19
	v_xor_b32_e32 v3, v3, v32
	v_lshl_or_b32 v2, v2, 16, v8
	v_and_b32_e32 v7, 0xffffff00, v3
	v_lshlrev_b16_e32 v8, 8, v3
	v_lshlrev_b16_e32 v24, 8, v30
	v_sub_i16 v7, v7, v28 clamp
	v_sub_i16 v8, v8, v24 clamp
	v_perm_b32 v7, v8, v7, s19
	v_and_b32_sdwa v8, v3, s17 dst_sel:DWORD dst_unused:UNUSED_PAD src0_sel:WORD_1 src1_sel:DWORD
	v_lshlrev_b16_sdwa v3, v22, v3 dst_sel:DWORD dst_unused:UNUSED_PAD src0_sel:DWORD src1_sel:WORD_1
	v_lshlrev_b16_e32 v24, 8, v29
	v_sub_i16 v8, v8, v31 clamp
	v_sub_i16 v3, v3, v24 clamp
	v_perm_b32 v3, v3, v8, s19
	v_lshl_or_b32 v3, v3, 16, v7
	v_dot4_i32_i8 v2, v2, v5, v4
	v_dot4_i32_i8 v2, v3, v23, v2
	v_lshrrev_b32_e32 v3, 4, v26
	v_and_b32_e32 v4, 15, v26
	v_mul_lo_u32 v4, v9, v4
	v_mul_lo_u32 v3, v2, v3
	v_add_u32_e32 v2, v2, v9
	v_lshrrev_b32_e32 v5, 31, v2
	v_add_u32_e32 v2, v2, v5
	v_ashrrev_i32_e32 v2, 1, v2
	v_add3_u32 v2, v3, v4, v2
	v_ashrrev_i32_e32 v3, 31, v2
	v_lshrrev_b32_e32 v3, 30, v3
	v_add_u32_e32 v2, v2, v3
	global_load_ushort v3, v[14:15], off
	v_ashrrev_i32_e32 v2, 2, v2
	v_cvt_f32_i32_e32 v2, v2
	s_waitcnt vmcnt(0)
	v_cvt_f32_f16_e32 v3, v3
	v_mul_f32_e32 v3, v3, v6
	v_fmac_f32_e32 v16, v3, v2
	s_andn2_b64 exec, exec, s[0:1]
	s_cbranch_execnz .LBB182_9
; %bb.10:
	s_or_b64 exec, exec, s[0:1]
.LBB182_11:
	s_or_b64 exec, exec, s[6:7]
	v_cmp_eq_u32_e32 vcc, 0, v1
	s_waitcnt lgkmcnt(0)
	v_cmp_ne_u32_e64 s[0:1], 0, v1
	v_lshlrev_b32_e32 v2, 2, v0
	s_and_saveexec_b64 s[6:7], s[0:1]
; %bb.12:
	v_lshl_or_b32 v1, v1, 9, v2
	v_add_u32_e32 v1, 0xfffffe00, v1
	ds_write2st64_b32 v1, v17, v16 offset1:1
; %bb.13:
	s_or_b64 exec, exec, s[6:7]
	s_waitcnt lgkmcnt(0)
	s_barrier
	s_and_saveexec_b64 s[0:1], vcc
	s_cbranch_execz .LBB182_16
; %bb.14:
	v_mbcnt_lo_u32_b32 v1, -1, 0
	v_mbcnt_hi_u32_b32 v1, -1, v1
	v_and_b32_e32 v3, 64, v1
	v_add_u32_e32 v5, 64, v3
	v_xor_b32_e32 v3, 32, v1
	v_cmp_lt_i32_e32 vcc, v3, v5
	v_cndmask_b32_e32 v3, v1, v3, vcc
	v_lshlrev_b32_e32 v6, 2, v3
	v_xor_b32_e32 v3, 16, v1
	v_cmp_lt_i32_e32 vcc, v3, v5
	v_cndmask_b32_e32 v3, v1, v3, vcc
	v_lshlrev_b32_e32 v7, 2, v3
	ds_read2st64_b32 v[3:4], v2 offset1:1
	v_xor_b32_e32 v8, 8, v1
	v_cmp_lt_i32_e32 vcc, v8, v5
	v_cndmask_b32_e32 v8, v1, v8, vcc
	v_lshlrev_b32_e32 v8, 2, v8
	s_waitcnt lgkmcnt(0)
	v_add_f32_e32 v3, v17, v3
	v_add_f32_e32 v4, v16, v4
	ds_bpermute_b32 v10, v6, v3
	ds_bpermute_b32 v6, v6, v4
	v_xor_b32_e32 v9, 4, v1
	v_cmp_lt_i32_e32 vcc, v9, v5
	v_cndmask_b32_e32 v9, v1, v9, vcc
	s_waitcnt lgkmcnt(1)
	v_add_f32_e32 v3, v3, v10
	s_waitcnt lgkmcnt(0)
	v_add_f32_e32 v4, v4, v6
	ds_bpermute_b32 v10, v7, v3
	ds_bpermute_b32 v6, v7, v4
	v_lshlrev_b32_e32 v7, 2, v9
	v_xor_b32_e32 v9, 2, v1
	v_cmp_lt_i32_e32 vcc, v9, v5
	s_waitcnt lgkmcnt(1)
	v_add_f32_e32 v3, v3, v10
	s_waitcnt lgkmcnt(0)
	v_add_f32_e32 v4, v4, v6
	ds_bpermute_b32 v10, v8, v3
	ds_bpermute_b32 v6, v8, v4
	v_cndmask_b32_e32 v8, v1, v9, vcc
	s_load_dword s0, s[4:5], 0x58
	s_mov_b32 s3, 0
	s_waitcnt lgkmcnt(0)
	v_add_f32_e32 v3, v3, v10
	v_add_f32_e32 v4, v4, v6
	ds_bpermute_b32 v9, v7, v3
	ds_bpermute_b32 v6, v7, v4
	v_lshlrev_b32_e32 v7, 2, v8
	v_xor_b32_e32 v8, 1, v1
	v_cmp_lt_i32_e32 vcc, v8, v5
	s_waitcnt lgkmcnt(1)
	v_add_f32_e32 v3, v3, v9
	s_waitcnt lgkmcnt(0)
	v_add_f32_e32 v4, v4, v6
	ds_bpermute_b32 v9, v7, v3
	ds_bpermute_b32 v6, v7, v4
	v_cndmask_b32_e32 v1, v1, v8, vcc
	v_lshlrev_b32_e32 v5, 2, v1
	s_waitcnt lgkmcnt(1)
	v_add_f32_e32 v1, v3, v9
	s_waitcnt lgkmcnt(0)
	v_add_f32_e32 v4, v4, v6
	ds_bpermute_b32 v3, v5, v1
	ds_bpermute_b32 v5, v5, v4
	v_or_b32_e32 v6, s9, v0
	v_cmp_gt_u32_e32 vcc, s0, v6
	v_cmp_gt_u32_e64 s[0:1], 2, v0
	s_and_b64 s[0:1], s[0:1], vcc
	s_and_b64 exec, exec, s[0:1]
	s_cbranch_execz .LBB182_16
; %bb.15:
	s_load_dwordx2 s[0:1], s[4:5], 0x38
	s_mul_i32 s2, s2, s10
	s_add_i32 s2, s2, s9
	s_mul_i32 s4, s14, s8
	s_add_i32 s2, s2, s4
	s_lshl_b64 s[2:3], s[2:3], 2
	s_waitcnt lgkmcnt(0)
	s_add_u32 s0, s0, s2
	v_add_f32_e32 v4, v4, v5
	v_add_f32_e32 v1, v1, v3
	v_cmp_eq_u32_e32 vcc, 1, v0
	s_addc_u32 s1, s1, s3
	v_cndmask_b32_e32 v0, v1, v4, vcc
	global_store_dword v2, v0, s[0:1]
.LBB182_16:
	s_endpgm
	.section	.rodata,"a",@progbits
	.p2align	6, 0x0
	.amdhsa_kernel _ZL13mul_mat_vec_qIL9ggml_type22ELi1ELb0ELb1EEvPKvS2_PKi31ggml_cuda_mm_fusion_args_devicePfj15HIP_vector_typeIjLj3EEjjjS8_jjjS8_jjjj
		.amdhsa_group_segment_fixed_size 512
		.amdhsa_private_segment_fixed_size 0
		.amdhsa_kernarg_size 144
		.amdhsa_user_sgpr_count 6
		.amdhsa_user_sgpr_private_segment_buffer 1
		.amdhsa_user_sgpr_dispatch_ptr 0
		.amdhsa_user_sgpr_queue_ptr 0
		.amdhsa_user_sgpr_kernarg_segment_ptr 1
		.amdhsa_user_sgpr_dispatch_id 0
		.amdhsa_user_sgpr_flat_scratch_init 0
		.amdhsa_user_sgpr_private_segment_size 0
		.amdhsa_uses_dynamic_stack 0
		.amdhsa_system_sgpr_private_segment_wavefront_offset 0
		.amdhsa_system_sgpr_workgroup_id_x 1
		.amdhsa_system_sgpr_workgroup_id_y 1
		.amdhsa_system_sgpr_workgroup_id_z 1
		.amdhsa_system_sgpr_workgroup_info 0
		.amdhsa_system_vgpr_workitem_id 1
		.amdhsa_next_free_vgpr 43
		.amdhsa_next_free_sgpr 24
		.amdhsa_reserve_vcc 1
		.amdhsa_reserve_flat_scratch 0
		.amdhsa_float_round_mode_32 0
		.amdhsa_float_round_mode_16_64 0
		.amdhsa_float_denorm_mode_32 3
		.amdhsa_float_denorm_mode_16_64 3
		.amdhsa_dx10_clamp 1
		.amdhsa_ieee_mode 1
		.amdhsa_fp16_overflow 0
		.amdhsa_exception_fp_ieee_invalid_op 0
		.amdhsa_exception_fp_denorm_src 0
		.amdhsa_exception_fp_ieee_div_zero 0
		.amdhsa_exception_fp_ieee_overflow 0
		.amdhsa_exception_fp_ieee_underflow 0
		.amdhsa_exception_fp_ieee_inexact 0
		.amdhsa_exception_int_div_zero 0
	.end_amdhsa_kernel
	.section	.text._ZL13mul_mat_vec_qIL9ggml_type22ELi1ELb0ELb1EEvPKvS2_PKi31ggml_cuda_mm_fusion_args_devicePfj15HIP_vector_typeIjLj3EEjjjS8_jjjS8_jjjj,"axG",@progbits,_ZL13mul_mat_vec_qIL9ggml_type22ELi1ELb0ELb1EEvPKvS2_PKi31ggml_cuda_mm_fusion_args_devicePfj15HIP_vector_typeIjLj3EEjjjS8_jjjS8_jjjj,comdat
.Lfunc_end182:
	.size	_ZL13mul_mat_vec_qIL9ggml_type22ELi1ELb0ELb1EEvPKvS2_PKi31ggml_cuda_mm_fusion_args_devicePfj15HIP_vector_typeIjLj3EEjjjS8_jjjS8_jjjj, .Lfunc_end182-_ZL13mul_mat_vec_qIL9ggml_type22ELi1ELb0ELb1EEvPKvS2_PKi31ggml_cuda_mm_fusion_args_devicePfj15HIP_vector_typeIjLj3EEjjjS8_jjjS8_jjjj
                                        ; -- End function
	.set _ZL13mul_mat_vec_qIL9ggml_type22ELi1ELb0ELb1EEvPKvS2_PKi31ggml_cuda_mm_fusion_args_devicePfj15HIP_vector_typeIjLj3EEjjjS8_jjjS8_jjjj.num_vgpr, 43
	.set _ZL13mul_mat_vec_qIL9ggml_type22ELi1ELb0ELb1EEvPKvS2_PKi31ggml_cuda_mm_fusion_args_devicePfj15HIP_vector_typeIjLj3EEjjjS8_jjjS8_jjjj.num_agpr, 0
	.set _ZL13mul_mat_vec_qIL9ggml_type22ELi1ELb0ELb1EEvPKvS2_PKi31ggml_cuda_mm_fusion_args_devicePfj15HIP_vector_typeIjLj3EEjjjS8_jjjS8_jjjj.numbered_sgpr, 24
	.set _ZL13mul_mat_vec_qIL9ggml_type22ELi1ELb0ELb1EEvPKvS2_PKi31ggml_cuda_mm_fusion_args_devicePfj15HIP_vector_typeIjLj3EEjjjS8_jjjS8_jjjj.num_named_barrier, 0
	.set _ZL13mul_mat_vec_qIL9ggml_type22ELi1ELb0ELb1EEvPKvS2_PKi31ggml_cuda_mm_fusion_args_devicePfj15HIP_vector_typeIjLj3EEjjjS8_jjjS8_jjjj.private_seg_size, 0
	.set _ZL13mul_mat_vec_qIL9ggml_type22ELi1ELb0ELb1EEvPKvS2_PKi31ggml_cuda_mm_fusion_args_devicePfj15HIP_vector_typeIjLj3EEjjjS8_jjjS8_jjjj.uses_vcc, 1
	.set _ZL13mul_mat_vec_qIL9ggml_type22ELi1ELb0ELb1EEvPKvS2_PKi31ggml_cuda_mm_fusion_args_devicePfj15HIP_vector_typeIjLj3EEjjjS8_jjjS8_jjjj.uses_flat_scratch, 0
	.set _ZL13mul_mat_vec_qIL9ggml_type22ELi1ELb0ELb1EEvPKvS2_PKi31ggml_cuda_mm_fusion_args_devicePfj15HIP_vector_typeIjLj3EEjjjS8_jjjS8_jjjj.has_dyn_sized_stack, 0
	.set _ZL13mul_mat_vec_qIL9ggml_type22ELi1ELb0ELb1EEvPKvS2_PKi31ggml_cuda_mm_fusion_args_devicePfj15HIP_vector_typeIjLj3EEjjjS8_jjjS8_jjjj.has_recursion, 0
	.set _ZL13mul_mat_vec_qIL9ggml_type22ELi1ELb0ELb1EEvPKvS2_PKi31ggml_cuda_mm_fusion_args_devicePfj15HIP_vector_typeIjLj3EEjjjS8_jjjS8_jjjj.has_indirect_call, 0
	.section	.AMDGPU.csdata,"",@progbits
; Kernel info:
; codeLenInByte = 4992
; TotalNumSgprs: 28
; NumVgprs: 43
; ScratchSize: 0
; MemoryBound: 0
; FloatMode: 240
; IeeeMode: 1
; LDSByteSize: 512 bytes/workgroup (compile time only)
; SGPRBlocks: 3
; VGPRBlocks: 10
; NumSGPRsForWavesPerEU: 28
; NumVGPRsForWavesPerEU: 43
; Occupancy: 5
; WaveLimiterHint : 0
; COMPUTE_PGM_RSRC2:SCRATCH_EN: 0
; COMPUTE_PGM_RSRC2:USER_SGPR: 6
; COMPUTE_PGM_RSRC2:TRAP_HANDLER: 0
; COMPUTE_PGM_RSRC2:TGID_X_EN: 1
; COMPUTE_PGM_RSRC2:TGID_Y_EN: 1
; COMPUTE_PGM_RSRC2:TGID_Z_EN: 1
; COMPUTE_PGM_RSRC2:TIDIG_COMP_CNT: 1
	.section	.text._ZL13mul_mat_vec_qIL9ggml_type22ELi1ELb1ELb0EEvPKvS2_PKi31ggml_cuda_mm_fusion_args_devicePfj15HIP_vector_typeIjLj3EEjjjS8_jjjS8_jjjj,"axG",@progbits,_ZL13mul_mat_vec_qIL9ggml_type22ELi1ELb1ELb0EEvPKvS2_PKi31ggml_cuda_mm_fusion_args_devicePfj15HIP_vector_typeIjLj3EEjjjS8_jjjS8_jjjj,comdat
	.globl	_ZL13mul_mat_vec_qIL9ggml_type22ELi1ELb1ELb0EEvPKvS2_PKi31ggml_cuda_mm_fusion_args_devicePfj15HIP_vector_typeIjLj3EEjjjS8_jjjS8_jjjj ; -- Begin function _ZL13mul_mat_vec_qIL9ggml_type22ELi1ELb1ELb0EEvPKvS2_PKi31ggml_cuda_mm_fusion_args_devicePfj15HIP_vector_typeIjLj3EEjjjS8_jjjS8_jjjj
	.p2align	8
	.type	_ZL13mul_mat_vec_qIL9ggml_type22ELi1ELb1ELb0EEvPKvS2_PKi31ggml_cuda_mm_fusion_args_devicePfj15HIP_vector_typeIjLj3EEjjjS8_jjjS8_jjjj,@function
_ZL13mul_mat_vec_qIL9ggml_type22ELi1ELb1ELb0EEvPKvS2_PKi31ggml_cuda_mm_fusion_args_devicePfj15HIP_vector_typeIjLj3EEjjjS8_jjjS8_jjjj: ; @_ZL13mul_mat_vec_qIL9ggml_type22ELi1ELb1ELb0EEvPKvS2_PKi31ggml_cuda_mm_fusion_args_devicePfj15HIP_vector_typeIjLj3EEjjjS8_jjjS8_jjjj
; %bb.0:
	s_load_dwordx8 s[12:19], s[4:5], 0x0
	s_load_dwordx4 s[28:31], s[4:5], 0x20
	s_load_dwordx4 s[36:39], s[4:5], 0x40
	;; [unrolled: 1-line block ×3, first 2 shown]
	s_mov_b32 s34, s7
	s_waitcnt lgkmcnt(0)
	s_cmp_lg_u64 s[16:17], 0
	s_cselect_b64 s[0:1], -1, 0
	s_cmp_eq_u64 s[16:17], 0
	s_mov_b64 s[2:3], 0
	s_cbranch_scc1 .LBB183_5
; %bb.1:
	s_mov_b32 s35, 0
	s_lshl_b64 s[10:11], s[34:35], 2
	s_add_u32 s10, s16, s10
	s_addc_u32 s11, s17, s11
	s_load_dword s9, s[10:11], 0x0
	s_load_dword s33, s[4:5], 0x50
	;; [unrolled: 1-line block ×3, first 2 shown]
	s_andn2_b64 vcc, exec, s[2:3]
	s_cbranch_vccnz .LBB183_3
.LBB183_2:
	s_load_dwordx2 s[2:3], s[4:5], 0x5c
	s_waitcnt lgkmcnt(0)
	s_mul_hi_u32 s2, s2, s34
	s_add_i32 s2, s34, s2
	s_lshr_b32 s9, s2, s3
.LBB183_3:
	s_andn2_b64 vcc, exec, s[0:1]
	s_cbranch_vccnz .LBB183_6
; %bb.4:
	s_mul_hi_u32 s0, s37, s34
	s_add_i32 s0, s34, s0
	s_lshr_b32 s0, s0, s38
	s_mul_i32 s0, s0, s39
	s_sub_i32 s37, s34, s0
	s_waitcnt lgkmcnt(0)
	s_mov_b32 s2, s9
	s_branch .LBB183_7
.LBB183_5:
                                        ; implicit-def: $sgpr9
	s_load_dword s33, s[4:5], 0x50
	s_load_dword s35, s[4:5], 0x78
	s_branch .LBB183_2
.LBB183_6:
	s_mov_b32 s2, s34
	s_mov_b32 s37, s34
.LBB183_7:
	s_load_dwordx4 s[24:27], s[4:5], 0x80
	s_cmp_lg_u64 s[18:19], 0
	v_or_b32_e32 v2, v0, v1
	s_cselect_b64 s[0:1], -1, 0
	v_cmp_eq_u32_e32 vcc, 0, v2
	s_mov_b32 s17, 0
	s_and_b64 s[38:39], s[0:1], vcc
	v_mov_b32_e32 v25, 0
	s_mul_i32 s10, s2, s22
	v_lshlrev_b32_e32 v24, 2, v0
	v_mov_b32_e32 v26, 0
	s_and_saveexec_b64 s[2:3], s[38:39]
	s_cbranch_execz .LBB183_9
; %bb.8:
	s_waitcnt lgkmcnt(0)
	s_mul_i32 s16, s26, s8
	s_lshl_b64 s[38:39], s[16:17], 2
	s_add_u32 s7, s18, s38
	s_mov_b32 s11, s17
	s_addc_u32 s18, s19, s39
	s_lshl_b64 s[16:17], s[10:11], 2
	s_add_u32 s11, s7, s16
	s_addc_u32 s18, s18, s17
	s_ashr_i32 s7, s6, 31
	s_lshl_b64 s[16:17], s[6:7], 2
	s_add_u32 s16, s11, s16
	s_addc_u32 s17, s18, s17
	global_load_dword v26, v24, s[16:17]
.LBB183_9:
	s_or_b64 exec, exec, s[2:3]
	s_cmp_lg_u64 s[28:29], 0
	s_cselect_b64 s[16:17], -1, 0
	s_cmp_lg_u64 s[30:31], 0
	s_cselect_b64 s[2:3], -1, 0
	s_and_b64 s[18:19], s[2:3], s[16:17]
	s_and_b64 s[38:39], s[18:19], vcc
	s_and_saveexec_b64 s[18:19], s[38:39]
	s_cbranch_execz .LBB183_11
; %bb.10:
	s_waitcnt lgkmcnt(0)
	s_mul_i32 s38, s26, s8
	s_mov_b32 s39, 0
	s_lshl_b64 s[40:41], s[38:39], 2
	s_add_u32 s7, s30, s40
	s_mov_b32 s11, s39
	s_addc_u32 s27, s31, s41
	s_lshl_b64 s[10:11], s[10:11], 2
	s_add_u32 s30, s7, s10
	s_addc_u32 s27, s27, s11
	s_ashr_i32 s7, s6, 31
	s_lshl_b64 s[10:11], s[6:7], 2
	s_add_u32 s10, s30, s10
	s_addc_u32 s11, s27, s11
	global_load_dword v25, v24, s[10:11]
.LBB183_11:
	s_or_b64 exec, exec, s[18:19]
	v_lshl_add_u32 v2, v1, 6, v0
	s_lshr_b32 s7, s36, 8
	v_lshrrev_b32_e32 v30, 3, v2
	v_cmp_gt_u32_e32 vcc, s7, v30
	v_mov_b32_e32 v29, 0
	v_cndmask_b32_e64 v28, 0, 1, s[16:17]
	v_mov_b32_e32 v27, 0
	s_and_saveexec_b64 s[18:19], vcc
	s_cbranch_execz .LBB183_17
; %bb.12:
	s_mul_hi_u32 s10, s23, s8
	s_add_i32 s10, s8, s10
	s_waitcnt lgkmcnt(0)
	s_lshr_b32 s10, s10, s35
	s_mul_i32 s9, s9, s20
	s_mul_i32 s20, s10, s24
	;; [unrolled: 1-line block ×3, first 2 shown]
	s_mul_hi_u32 s11, s10, 36
	s_mul_i32 s10, s10, 36
	v_lshrrev_b32_e32 v4, 3, v2
	v_mov_b32_e32 v2, s10
	v_mov_b32_e32 v3, s11
	s_movk_i32 s10, 0x120
	v_mad_u64_u32 v[2:3], s[10:11], v4, s10, v[2:3]
	s_mul_i32 s23, s25, s8
	v_and_b32_e32 v31, 7, v0
	v_mad_u64_u32 v[2:3], s[10:11], s23, 36, v[2:3]
	v_mov_b32_e32 v5, s15
	s_mul_i32 s33, s33, s6
	v_mad_u64_u32 v[2:3], s[10:11], v31, 36, v[2:3]
	s_add_i32 s20, s20, s33
	v_lshlrev_b32_e32 v4, 1, v31
	v_add_co_u32_e32 v2, vcc, s14, v2
	v_addc_co_u32_e32 v3, vcc, v5, v3, vcc
	v_add_co_u32_e32 v10, vcc, 32, v2
	v_mov_b32_e32 v12, s12
	s_add_i32 s9, s9, s20
	v_mov_b32_e32 v32, 0
	v_addc_co_u32_e32 v11, vcc, 0, v3, vcc
	s_mov_b64 s[14:15], 0
	s_movk_i32 s20, 0x52
	v_mov_b32_e32 v13, s13
	v_lshlrev_b32_e32 v33, 1, v4
	s_movk_i32 s21, 0x300
	s_movk_i32 s23, 0xff00
	s_mov_b32 s24, 0xc0c0105
	v_cmp_ne_u32_e64 s[10:11], 1, v28
	v_mov_b32_e32 v34, 8
	v_mov_b32_e32 v29, 0
	;; [unrolled: 1-line block ×3, first 2 shown]
	s_branch .LBB183_14
.LBB183_13:                             ;   in Loop: Header=BB183_14 Depth=1
	s_waitcnt vmcnt(6)
	v_and_b32_e32 v23, 0xff, v38
	v_lshlrev_b32_e32 v39, 21, v38
	v_lshl_or_b32 v39, v23, 7, v39
	v_and_b32_e32 v40, 0x1800180, v39
	v_bfe_u32 v39, v39, 24, 1
	v_cmp_ne_u16_sdwa s[12:13], v40, v32 src0_sel:BYTE_1 src1_sel:DWORD
	v_cmp_ne_u16_e32 vcc, 0, v39
	v_lshrrev_b16_e32 v41, 7, v40
	v_lshrrev_b32_e32 v42, 2, v38
	v_cndmask_b32_e64 v40, 0, -1, s[12:13]
	v_cndmask_b32_e64 v39, 0, -1, vcc
	v_bfe_i32 v41, v41, 0, 1
	v_lshlrev_b16_e32 v40, 8, v40
	v_lshlrev_b16_e32 v39, 8, v39
	v_bfe_i32 v42, v42, 0, 1
	v_or_b32_sdwa v43, v41, v40 dst_sel:DWORD dst_unused:UNUSED_PAD src0_sel:BYTE_0 src1_sel:DWORD
	v_or_b32_sdwa v44, v42, v39 dst_sel:WORD_1 dst_unused:UNUSED_PAD src0_sel:BYTE_0 src1_sel:DWORD
	v_or_b32_sdwa v43, v43, v44 dst_sel:DWORD dst_unused:UNUSED_PAD src0_sel:WORD_0 src1_sel:DWORD
	v_lshlrev_b32_e32 v44, 17, v38
	v_lshl_or_b32 v23, v23, 3, v44
	s_waitcnt vmcnt(4)
	v_xor_b32_e32 v20, v20, v43
	v_and_b32_e32 v44, 0x1800180, v23
	v_bfe_u32 v23, v23, 24, 1
	v_and_b32_e32 v43, 0xffffff00, v20
	v_cmp_ne_u16_sdwa s[12:13], v44, v32 src0_sel:BYTE_1 src1_sel:DWORD
	v_cmp_ne_u16_e32 vcc, 0, v23
	v_sub_i16 v40, v43, v40 clamp
	v_lshlrev_b16_e32 v43, 8, v20
	v_lshlrev_b16_e32 v41, 8, v41
	v_lshrrev_b16_e32 v45, 7, v44
	v_lshrrev_b32_e32 v46, 6, v38
	v_cndmask_b32_e64 v44, 0, -1, s[12:13]
	v_cndmask_b32_e64 v23, 0, -1, vcc
	v_sub_i16 v41, v43, v41 clamp
	v_bfe_i32 v45, v45, 0, 1
	v_lshlrev_b16_e32 v44, 8, v44
	v_lshlrev_b16_e32 v23, 8, v23
	v_bfe_i32 v46, v46, 0, 1
	v_perm_b32 v40, v41, v40, s24
	v_and_b32_sdwa v41, v20, s23 dst_sel:DWORD dst_unused:UNUSED_PAD src0_sel:WORD_1 src1_sel:DWORD
	v_or_b32_sdwa v47, v45, v44 dst_sel:DWORD dst_unused:UNUSED_PAD src0_sel:BYTE_0 src1_sel:DWORD
	v_or_b32_sdwa v48, v46, v23 dst_sel:WORD_1 dst_unused:UNUSED_PAD src0_sel:BYTE_0 src1_sel:DWORD
	v_sub_i16 v39, v41, v39 clamp
	v_lshlrev_b16_sdwa v20, v34, v20 dst_sel:DWORD dst_unused:UNUSED_PAD src0_sel:DWORD src1_sel:WORD_1
	v_lshlrev_b16_e32 v41, 8, v42
	v_or_b32_sdwa v47, v47, v48 dst_sel:DWORD dst_unused:UNUSED_PAD src0_sel:WORD_0 src1_sel:DWORD
	v_sub_i16 v20, v20, v41 clamp
	v_perm_b32 v20, v20, v39, s24
	v_xor_b32_e32 v21, v21, v47
	v_lshl_or_b32 v20, v20, 16, v40
	v_and_b32_e32 v39, 0xffffff00, v21
	v_lshlrev_b16_e32 v40, 8, v21
	v_lshlrev_b16_e32 v41, 8, v45
	v_sub_i16 v39, v39, v44 clamp
	v_sub_i16 v40, v40, v41 clamp
	v_perm_b32 v39, v40, v39, s24
	v_and_b32_sdwa v40, v21, s23 dst_sel:DWORD dst_unused:UNUSED_PAD src0_sel:WORD_1 src1_sel:DWORD
	v_sub_i16 v23, v40, v23 clamp
	v_lshlrev_b16_sdwa v21, v34, v21 dst_sel:DWORD dst_unused:UNUSED_PAD src0_sel:DWORD src1_sel:WORD_1
	v_lshlrev_b16_e32 v40, 8, v46
	v_sub_i16 v21, v21, v40 clamp
	v_perm_b32 v21, v21, v23, s24
	v_lshl_or_b32 v21, v21, 16, v39
	v_dot4_i32_i8 v7, v20, v7, 0
	v_dot4_i32_i8 v7, v21, v8, v7
	v_lshrrev_b32_e32 v8, 1, v38
	v_and_b32_e32 v8, 0x180, v8
	v_lshrrev_b32_e32 v20, 11, v38
	v_cmp_ne_u16_sdwa s[12:13], v8, v32 src0_sel:BYTE_1 src1_sel:DWORD
	v_lshrrev_b32_e32 v21, 10, v38
	v_lshrrev_b16_e32 v23, 7, v8
	v_cndmask_b32_e64 v8, 0, -1, s[12:13]
	v_bfe_i32 v20, v20, 0, 1
	v_bfe_i32 v23, v23, 0, 1
	v_lshlrev_b16_e32 v8, 8, v8
	v_lshlrev_b16_e32 v20, 8, v20
	v_bfe_i32 v21, v21, 0, 1
	v_or_b32_sdwa v39, v23, v8 dst_sel:DWORD dst_unused:UNUSED_PAD src0_sel:BYTE_0 src1_sel:DWORD
	v_or_b32_sdwa v40, v21, v20 dst_sel:WORD_1 dst_unused:UNUSED_PAD src0_sel:BYTE_0 src1_sel:DWORD
	v_or_b32_sdwa v39, v39, v40 dst_sel:DWORD dst_unused:UNUSED_PAD src0_sel:WORD_0 src1_sel:DWORD
	v_lshrrev_b32_e32 v40, 5, v38
	s_waitcnt vmcnt(3)
	v_xor_b32_e32 v18, v18, v39
	v_and_b32_e32 v40, 0x180, v40
	v_and_b32_e32 v39, 0xffffff00, v18
	v_lshrrev_b32_e32 v41, 15, v38
	v_cmp_ne_u16_sdwa s[12:13], v40, v32 src0_sel:BYTE_1 src1_sel:DWORD
	v_sub_i16 v8, v39, v8 clamp
	v_lshlrev_b16_e32 v39, 8, v18
	v_lshlrev_b16_e32 v23, 8, v23
	v_lshrrev_b32_e32 v42, 14, v38
	v_lshrrev_b16_e32 v43, 7, v40
	v_cndmask_b32_e64 v40, 0, -1, s[12:13]
	v_bfe_i32 v41, v41, 0, 1
	v_sub_i16 v23, v39, v23 clamp
	v_bfe_i32 v43, v43, 0, 1
	v_lshlrev_b16_e32 v40, 8, v40
	v_lshlrev_b16_e32 v41, 8, v41
	v_bfe_i32 v42, v42, 0, 1
	v_perm_b32 v8, v23, v8, s24
	v_and_b32_sdwa v23, v18, s23 dst_sel:DWORD dst_unused:UNUSED_PAD src0_sel:WORD_1 src1_sel:DWORD
	v_lshlrev_b16_sdwa v18, v34, v18 dst_sel:DWORD dst_unused:UNUSED_PAD src0_sel:DWORD src1_sel:WORD_1
	v_lshlrev_b16_e32 v21, 8, v21
	v_or_b32_sdwa v44, v43, v40 dst_sel:DWORD dst_unused:UNUSED_PAD src0_sel:BYTE_0 src1_sel:DWORD
	v_or_b32_sdwa v45, v42, v41 dst_sel:WORD_1 dst_unused:UNUSED_PAD src0_sel:BYTE_0 src1_sel:DWORD
	v_sub_i16 v20, v23, v20 clamp
	v_sub_i16 v18, v18, v21 clamp
	v_or_b32_sdwa v44, v44, v45 dst_sel:DWORD dst_unused:UNUSED_PAD src0_sel:WORD_0 src1_sel:DWORD
	v_perm_b32 v18, v18, v20, s24
	v_lshl_or_b32 v8, v18, 16, v8
	v_xor_b32_e32 v18, v19, v44
	v_and_b32_e32 v19, 0xffffff00, v18
	v_lshlrev_b16_e32 v20, 8, v18
	v_lshlrev_b16_e32 v21, 8, v43
	v_sub_i16 v19, v19, v40 clamp
	v_sub_i16 v20, v20, v21 clamp
	v_perm_b32 v19, v20, v19, s24
	v_and_b32_sdwa v20, v18, s23 dst_sel:DWORD dst_unused:UNUSED_PAD src0_sel:WORD_1 src1_sel:DWORD
	v_lshlrev_b16_sdwa v18, v34, v18 dst_sel:DWORD dst_unused:UNUSED_PAD src0_sel:DWORD src1_sel:WORD_1
	v_lshlrev_b16_e32 v21, 8, v42
	v_sub_i16 v20, v20, v41 clamp
	v_sub_i16 v18, v18, v21 clamp
	v_perm_b32 v18, v18, v20, s24
	v_lshl_or_b32 v18, v18, 16, v19
	v_dot4_i32_i8 v7, v8, v9, v7
	v_lshrrev_b32_e32 v22, 16, v38
	s_waitcnt vmcnt(0)
	v_dot4_i32_i8 v2, v18, v2, v7
	v_lshrrev_b32_e32 v7, 9, v38
	v_lshl_or_b32 v7, v22, 21, v7
	v_and_b32_e32 v8, 0x1800180, v7
	v_bfe_u32 v7, v7, 24, 1
	v_cmp_ne_u16_sdwa s[12:13], v8, v32 src0_sel:BYTE_1 src1_sel:DWORD
	v_cmp_ne_u16_e32 vcc, 0, v7
	v_lshrrev_b16_e32 v9, 7, v8
	v_lshrrev_b32_e32 v18, 18, v38
	v_cndmask_b32_e64 v8, 0, -1, s[12:13]
	v_cndmask_b32_e64 v7, 0, -1, vcc
	v_bfe_i32 v9, v9, 0, 1
	v_lshlrev_b16_e32 v8, 8, v8
	v_lshlrev_b16_e32 v7, 8, v7
	v_bfe_i32 v18, v18, 0, 1
	v_or_b32_sdwa v19, v9, v8 dst_sel:DWORD dst_unused:UNUSED_PAD src0_sel:BYTE_0 src1_sel:DWORD
	v_or_b32_sdwa v20, v18, v7 dst_sel:WORD_1 dst_unused:UNUSED_PAD src0_sel:BYTE_0 src1_sel:DWORD
	v_or_b32_sdwa v19, v19, v20 dst_sel:DWORD dst_unused:UNUSED_PAD src0_sel:WORD_0 src1_sel:DWORD
	v_lshrrev_b32_e32 v20, 13, v38
	v_xor_b32_e32 v16, v16, v19
	v_lshl_or_b32 v20, v22, 17, v20
	v_and_b32_e32 v19, 0xffffff00, v16
	v_and_b32_e32 v21, 0x1800180, v20
	v_bfe_u32 v20, v20, 24, 1
	v_sub_i16 v8, v19, v8 clamp
	v_lshlrev_b16_e32 v19, 8, v16
	v_lshlrev_b16_e32 v9, 8, v9
	v_cmp_ne_u16_sdwa s[12:13], v21, v32 src0_sel:BYTE_1 src1_sel:DWORD
	v_cmp_ne_u16_e32 vcc, 0, v20
	v_sub_i16 v9, v19, v9 clamp
	v_lshrrev_b16_e32 v22, 7, v21
	v_lshrrev_b32_e32 v23, 22, v38
	v_cndmask_b32_e64 v21, 0, -1, s[12:13]
	v_cndmask_b32_e64 v20, 0, -1, vcc
	v_perm_b32 v8, v9, v8, s24
	v_and_b32_sdwa v9, v16, s23 dst_sel:DWORD dst_unused:UNUSED_PAD src0_sel:WORD_1 src1_sel:DWORD
	v_bfe_i32 v22, v22, 0, 1
	v_lshlrev_b16_e32 v21, 8, v21
	v_lshlrev_b16_e32 v20, 8, v20
	v_bfe_i32 v23, v23, 0, 1
	v_sub_i16 v7, v9, v7 clamp
	v_lshlrev_b16_sdwa v9, v34, v16 dst_sel:DWORD dst_unused:UNUSED_PAD src0_sel:DWORD src1_sel:WORD_1
	v_lshlrev_b16_e32 v16, 8, v18
	v_or_b32_sdwa v39, v22, v21 dst_sel:DWORD dst_unused:UNUSED_PAD src0_sel:BYTE_0 src1_sel:DWORD
	v_or_b32_sdwa v40, v23, v20 dst_sel:WORD_1 dst_unused:UNUSED_PAD src0_sel:BYTE_0 src1_sel:DWORD
	v_sub_i16 v9, v9, v16 clamp
	v_or_b32_sdwa v39, v39, v40 dst_sel:DWORD dst_unused:UNUSED_PAD src0_sel:WORD_0 src1_sel:DWORD
	v_perm_b32 v7, v9, v7, s24
	v_lshl_or_b32 v7, v7, 16, v8
	v_xor_b32_e32 v8, v17, v39
	v_and_b32_e32 v9, 0xffffff00, v8
	v_lshlrev_b16_e32 v16, 8, v8
	v_lshlrev_b16_e32 v17, 8, v22
	v_sub_i16 v9, v9, v21 clamp
	v_sub_i16 v16, v16, v17 clamp
	v_perm_b32 v9, v16, v9, s24
	v_and_b32_sdwa v16, v8, s23 dst_sel:DWORD dst_unused:UNUSED_PAD src0_sel:WORD_1 src1_sel:DWORD
	v_lshlrev_b16_sdwa v8, v34, v8 dst_sel:DWORD dst_unused:UNUSED_PAD src0_sel:DWORD src1_sel:WORD_1
	v_lshlrev_b16_e32 v17, 8, v23
	v_sub_i16 v16, v16, v20 clamp
	v_sub_i16 v8, v8, v17 clamp
	v_perm_b32 v8, v8, v16, s24
	v_lshl_or_b32 v8, v8, 16, v9
	v_dot4_i32_i8 v3, v7, v3, 0
	v_dot4_i32_i8 v3, v8, v4, v3
	v_lshrrev_b32_e32 v4, 17, v38
	v_lshrrev_b32_e32 v7, 24, v38
	v_lshl_or_b32 v4, v7, 21, v4
	v_and_b32_e32 v7, 0x1800180, v4
	v_bfe_u32 v4, v4, 24, 1
	v_cmp_ne_u16_sdwa s[12:13], v7, v32 src0_sel:BYTE_1 src1_sel:DWORD
	v_cmp_ne_u16_e32 vcc, 0, v4
	v_lshrrev_b16_e32 v8, 7, v7
	v_lshrrev_b32_e32 v9, 26, v38
	v_cndmask_b32_e64 v7, 0, -1, s[12:13]
	v_cndmask_b32_e64 v4, 0, -1, vcc
	v_bfe_i32 v8, v8, 0, 1
	v_lshlrev_b16_e32 v7, 8, v7
	v_lshlrev_b16_e32 v4, 8, v4
	v_bfe_i32 v9, v9, 0, 1
	v_or_b32_sdwa v16, v8, v7 dst_sel:DWORD dst_unused:UNUSED_PAD src0_sel:BYTE_0 src1_sel:DWORD
	v_or_b32_sdwa v17, v9, v4 dst_sel:WORD_1 dst_unused:UNUSED_PAD src0_sel:BYTE_0 src1_sel:DWORD
	v_or_b32_sdwa v16, v16, v17 dst_sel:DWORD dst_unused:UNUSED_PAD src0_sel:WORD_0 src1_sel:DWORD
	v_xor_b32_e32 v14, v14, v16
	v_and_b32_e32 v16, 0xffffff00, v14
	v_lshrrev_b32_e32 v17, 21, v38
	v_lshrrev_b32_e32 v19, 31, v38
	v_sub_i16 v7, v16, v7 clamp
	v_lshlrev_b16_e32 v16, 8, v14
	v_lshlrev_b16_e32 v8, 8, v8
	v_lshrrev_b16_e32 v18, 8, v17
	v_cmp_ne_u16_e32 vcc, 0, v19
	v_sub_i16 v8, v16, v8 clamp
	v_lshrrev_b32_e32 v20, 30, v38
	v_lshrrev_b16_e32 v17, 7, v17
	v_bfe_i32 v18, v18, 0, 1
	v_cndmask_b32_e64 v19, 0, -1, vcc
	v_perm_b32 v7, v8, v7, s24
	v_and_b32_sdwa v8, v14, s23 dst_sel:DWORD dst_unused:UNUSED_PAD src0_sel:WORD_1 src1_sel:DWORD
	v_lshlrev_b16_e32 v18, 8, v18
	v_bfe_i32 v17, v17, 0, 1
	v_bfe_i32 v20, v20, 0, 1
	v_lshlrev_b16_e32 v19, 8, v19
	v_sub_i16 v4, v8, v4 clamp
	v_lshlrev_b16_sdwa v8, v34, v14 dst_sel:DWORD dst_unused:UNUSED_PAD src0_sel:DWORD src1_sel:WORD_1
	v_lshlrev_b16_e32 v9, 8, v9
	v_or_b32_sdwa v21, v17, v18 dst_sel:DWORD dst_unused:UNUSED_PAD src0_sel:BYTE_0 src1_sel:DWORD
	v_or_b32_sdwa v22, v20, v19 dst_sel:WORD_1 dst_unused:UNUSED_PAD src0_sel:BYTE_0 src1_sel:DWORD
	v_sub_i16 v8, v8, v9 clamp
	v_or_b32_sdwa v21, v21, v22 dst_sel:DWORD dst_unused:UNUSED_PAD src0_sel:WORD_0 src1_sel:DWORD
	v_perm_b32 v4, v8, v4, s24
	v_lshl_or_b32 v4, v4, 16, v7
	v_xor_b32_e32 v7, v15, v21
	v_and_b32_e32 v8, 0xffffff00, v7
	v_lshlrev_b16_e32 v9, 8, v7
	v_lshlrev_b16_e32 v14, 8, v17
	v_sub_i16 v8, v8, v18 clamp
	v_sub_i16 v9, v9, v14 clamp
	v_perm_b32 v8, v9, v8, s24
	v_and_b32_sdwa v9, v7, s23 dst_sel:DWORD dst_unused:UNUSED_PAD src0_sel:WORD_1 src1_sel:DWORD
	v_lshlrev_b16_sdwa v7, v34, v7 dst_sel:DWORD dst_unused:UNUSED_PAD src0_sel:DWORD src1_sel:WORD_1
	v_lshlrev_b16_e32 v14, 8, v20
	v_sub_i16 v9, v9, v19 clamp
	v_sub_i16 v7, v7, v14 clamp
	v_perm_b32 v7, v7, v9, s24
	v_lshl_or_b32 v7, v7, 16, v8
	v_dot4_i32_i8 v3, v4, v5, v3
	v_dot4_i32_i8 v3, v7, v35, v3
	v_bfe_u32 v4, v37, 4, 4
	v_and_b32_e32 v5, 15, v37
	v_mul_lo_u32 v5, v2, v5
	v_mul_lo_u32 v4, v3, v4
	v_add_u32_e32 v2, v3, v2
	v_lshrrev_b32_e32 v3, 31, v2
	v_add_u32_e32 v2, v2, v3
	v_ashrrev_i32_e32 v2, 1, v2
	v_add3_u32 v2, v4, v5, v2
	v_ashrrev_i32_e32 v3, 31, v2
	v_lshrrev_b32_e32 v3, 30, v3
	v_add_u32_e32 v2, v2, v3
	v_ashrrev_i32_e32 v2, 2, v2
	v_cvt_f32_f16_e32 v3, v36
	v_cvt_f32_i32_e32 v2, v2
	v_add_u32_e32 v30, 16, v30
	v_add_co_u32_e32 v10, vcc, 0x1200, v10
	v_mul_f32_e32 v3, v3, v6
	v_cmp_le_u32_e64 s[12:13], s7, v30
	v_fmac_f32_e32 v29, v3, v2
	s_or_b64 s[14:15], s[12:13], s[14:15]
	v_addc_co_u32_e32 v11, vcc, 0, v11, vcc
	s_andn2_b64 exec, exec, s[14:15]
	s_cbranch_execz .LBB183_16
.LBB183_14:                             ; =>This Inner Loop Header: Depth=1
	v_add_u32_e32 v22, s9, v30
	v_mad_i64_i32 v[2:3], s[12:13], v22, s20, v[12:13]
	s_getpc_b64 s[12:13]
	s_add_u32 s12, s12, _ZL9iq2s_grid@rel32@lo+4
	s_addc_u32 s13, s13, _ZL9iq2s_grid@rel32@hi+12
	v_add_co_u32_e32 v4, vcc, v2, v33
	v_addc_co_u32_e32 v5, vcc, 0, v3, vcc
	v_add_co_u32_e32 v14, vcc, v2, v31
	v_addc_co_u32_e32 v15, vcc, 0, v3, vcc
	global_load_dword v16, v[4:5], off offset:2
	global_load_ubyte v17, v[14:15], off offset:66
	global_load_dword v35, v[10:11], off
	global_load_dwordx4 v[6:9], v[10:11], off offset:-32
	global_load_ubyte v37, v[14:15], off offset:74
	global_load_dword v38, v[4:5], off offset:34
	global_load_ushort v36, v[2:3], off
	s_and_b64 vcc, exec, s[10:11]
	s_waitcnt vmcnt(3)
	v_cvt_f32_f16_e32 v6, v6
	v_and_b32_e32 v3, 0xff, v16
	v_lshlrev_b32_e32 v4, 8, v17
	v_lshrrev_b32_e32 v2, 24, v16
	v_bfe_u32 v5, v16, 8, 8
	v_lshlrev_b32_e32 v14, 6, v17
	v_bfe_u32 v15, v16, 16, 8
	v_lshlrev_b32_e32 v16, 4, v17
	v_lshlrev_b32_e32 v17, 2, v17
	v_and_or_b32 v3, v4, s21, v3
	v_and_or_b32 v4, v14, s21, v5
	;; [unrolled: 1-line block ×4, first 2 shown]
	v_lshlrev_b32_e32 v23, 3, v3
	v_lshlrev_b32_e32 v39, 3, v4
	;; [unrolled: 1-line block ×4, first 2 shown]
	global_load_dwordx2 v[20:21], v23, s[12:13]
	global_load_dwordx2 v[18:19], v39, s[12:13]
	;; [unrolled: 1-line block ×4, first 2 shown]
	global_load_dwordx4 v[2:5], v[10:11], off offset:-16
	s_cbranch_vccnz .LBB183_13
; %bb.15:                               ;   in Loop: Header=BB183_14 Depth=1
	v_mov_b32_e32 v40, s29
	v_mov_b32_e32 v39, s28
	v_mad_i64_i32 v[22:23], s[30:31], v22, s20, v[39:40]
	v_add_co_u32_e32 v39, vcc, v22, v31
	v_addc_co_u32_e32 v40, vcc, 0, v23, vcc
	v_add_co_u32_e32 v41, vcc, v22, v33
	v_addc_co_u32_e32 v42, vcc, 0, v23, vcc
	global_load_dword v43, v[41:42], off offset:2
	global_load_ubyte v45, v[39:40], off offset:66
	global_load_dword v46, v[41:42], off offset:34
	s_waitcnt vmcnt(2)
	v_lshrrev_b32_e32 v44, 24, v43
	global_load_ubyte v42, v[39:40], off offset:74
	s_waitcnt vmcnt(1)
	v_lshlrev_b32_e32 v47, 21, v46
	global_load_ushort v22, v[22:23], off
	v_and_b32_e32 v39, 0xff, v43
	v_lshlrev_b32_e32 v40, 8, v45
	v_and_or_b32 v39, v40, s21, v39
	v_and_b32_e32 v40, 0xff, v46
	v_lshl_or_b32 v47, v40, 7, v47
	v_and_b32_e32 v48, 0x1800180, v47
	v_bfe_u32 v47, v47, 24, 1
	v_cmp_ne_u16_e32 vcc, 0, v47
	v_cmp_ne_u16_sdwa s[30:31], v48, v32 src0_sel:BYTE_1 src1_sel:DWORD
	v_lshrrev_b16_e32 v47, 7, v48
	v_lshrrev_b32_e32 v48, 2, v46
	v_cndmask_b32_e64 v49, 0, -1, s[30:31]
	v_cndmask_b32_e64 v51, 0, -1, vcc
	v_bfe_i32 v47, v47, 0, 1
	v_lshlrev_b16_e32 v49, 8, v49
	v_lshlrev_b16_e32 v51, 8, v51
	v_bfe_i32 v48, v48, 0, 1
	v_or_b32_sdwa v50, v47, v49 dst_sel:DWORD dst_unused:UNUSED_PAD src0_sel:BYTE_0 src1_sel:DWORD
	v_or_b32_sdwa v52, v48, v51 dst_sel:WORD_1 dst_unused:UNUSED_PAD src0_sel:BYTE_0 src1_sel:DWORD
	v_or_b32_sdwa v50, v50, v52 dst_sel:DWORD dst_unused:UNUSED_PAD src0_sel:WORD_0 src1_sel:DWORD
	v_lshlrev_b32_e32 v52, 17, v46
	v_lshl_or_b32 v40, v40, 3, v52
	v_and_b32_e32 v52, 0x1800180, v40
	v_bfe_u32 v40, v40, 24, 1
	v_cmp_ne_u16_e32 vcc, 0, v40
	v_cmp_ne_u16_sdwa s[30:31], v52, v32 src0_sel:BYTE_1 src1_sel:DWORD
	v_lshrrev_b16_e32 v40, 7, v52
	v_lshrrev_b32_e32 v52, 6, v46
	v_bfe_i32 v53, v40, 0, 1
	v_cndmask_b32_e64 v40, 0, -1, s[30:31]
	v_cndmask_b32_e64 v55, 0, -1, vcc
	v_lshlrev_b16_e32 v54, 8, v40
	v_lshlrev_b16_e32 v55, 8, v55
	v_bfe_i32 v52, v52, 0, 1
	v_lshlrev_b32_e32 v39, 3, v39
	v_or_b32_sdwa v40, v53, v54 dst_sel:DWORD dst_unused:UNUSED_PAD src0_sel:BYTE_0 src1_sel:DWORD
	v_or_b32_sdwa v56, v52, v55 dst_sel:WORD_1 dst_unused:UNUSED_PAD src0_sel:BYTE_0 src1_sel:DWORD
	v_or_b32_sdwa v56, v40, v56 dst_sel:DWORD dst_unused:UNUSED_PAD src0_sel:WORD_0 src1_sel:DWORD
	global_load_dwordx2 v[39:40], v39, s[12:13]
	v_lshlrev_b16_e32 v47, 8, v47
	v_lshlrev_b16_e32 v48, 8, v48
	v_lshrrev_b32_e32 v41, 16, v46
	s_waitcnt vmcnt(1)
	v_cvt_f32_f16_e32 v22, v22
	v_mul_f32_e32 v22, v6, v22
	s_waitcnt vmcnt(0)
	v_xor_b32_e32 v39, v39, v50
	v_and_b32_e32 v50, 0xffffff00, v39
	v_sub_i16 v49, v50, v49 clamp
	v_lshlrev_b16_e32 v50, 8, v39
	v_sub_i16 v47, v50, v47 clamp
	v_perm_b32 v47, v47, v49, s24
	v_and_b32_sdwa v49, v39, s23 dst_sel:DWORD dst_unused:UNUSED_PAD src0_sel:WORD_1 src1_sel:DWORD
	v_lshlrev_b16_sdwa v39, v34, v39 dst_sel:DWORD dst_unused:UNUSED_PAD src0_sel:DWORD src1_sel:WORD_1
	v_sub_i16 v49, v49, v51 clamp
	v_sub_i16 v39, v39, v48 clamp
	v_perm_b32 v39, v39, v49, s24
	v_xor_b32_e32 v40, v40, v56
	v_lshl_or_b32 v39, v39, 16, v47
	v_and_b32_e32 v47, 0xffffff00, v40
	v_lshlrev_b16_e32 v48, 8, v40
	v_lshlrev_b16_e32 v49, 8, v53
	v_sub_i16 v47, v47, v54 clamp
	v_sub_i16 v48, v48, v49 clamp
	v_perm_b32 v47, v48, v47, s24
	v_and_b32_sdwa v48, v40, s23 dst_sel:DWORD dst_unused:UNUSED_PAD src0_sel:WORD_1 src1_sel:DWORD
	v_lshlrev_b16_sdwa v40, v34, v40 dst_sel:DWORD dst_unused:UNUSED_PAD src0_sel:DWORD src1_sel:WORD_1
	v_lshlrev_b16_e32 v49, 8, v52
	v_sub_i16 v48, v48, v55 clamp
	v_sub_i16 v40, v40, v49 clamp
	v_perm_b32 v40, v40, v48, s24
	v_lshl_or_b32 v40, v40, 16, v47
	v_dot4_i32_i8 v39, v39, v7, 0
	v_dot4_i32_i8 v47, v40, v8, v39
	v_bfe_u32 v39, v43, 8, 8
	v_lshlrev_b32_e32 v40, 6, v45
	v_and_or_b32 v39, v40, s21, v39
	v_lshrrev_b32_e32 v40, 1, v46
	v_and_b32_e32 v40, 0x180, v40
	v_lshrrev_b32_e32 v48, 11, v46
	v_cmp_ne_u16_sdwa s[30:31], v40, v32 src0_sel:BYTE_1 src1_sel:DWORD
	v_lshrrev_b16_e32 v40, 7, v40
	v_lshrrev_b32_e32 v49, 10, v46
	v_bfe_i32 v50, v40, 0, 1
	v_cndmask_b32_e64 v40, 0, -1, s[30:31]
	v_bfe_i32 v48, v48, 0, 1
	v_lshlrev_b16_e32 v51, 8, v40
	v_lshlrev_b16_e32 v48, 8, v48
	v_bfe_i32 v49, v49, 0, 1
	v_or_b32_sdwa v40, v50, v51 dst_sel:DWORD dst_unused:UNUSED_PAD src0_sel:BYTE_0 src1_sel:DWORD
	v_or_b32_sdwa v52, v49, v48 dst_sel:WORD_1 dst_unused:UNUSED_PAD src0_sel:BYTE_0 src1_sel:DWORD
	v_or_b32_sdwa v52, v40, v52 dst_sel:DWORD dst_unused:UNUSED_PAD src0_sel:WORD_0 src1_sel:DWORD
	v_lshrrev_b32_e32 v40, 5, v46
	v_and_b32_e32 v40, 0x180, v40
	v_lshrrev_b32_e32 v53, 15, v46
	v_cmp_ne_u16_sdwa s[30:31], v40, v32 src0_sel:BYTE_1 src1_sel:DWORD
	v_lshrrev_b16_e32 v40, 7, v40
	v_lshrrev_b32_e32 v54, 14, v46
	v_bfe_i32 v55, v40, 0, 1
	v_cndmask_b32_e64 v40, 0, -1, s[30:31]
	v_bfe_i32 v53, v53, 0, 1
	v_lshlrev_b16_e32 v56, 8, v40
	v_lshlrev_b16_e32 v53, 8, v53
	v_bfe_i32 v54, v54, 0, 1
	v_lshlrev_b32_e32 v39, 3, v39
	v_or_b32_sdwa v40, v55, v56 dst_sel:DWORD dst_unused:UNUSED_PAD src0_sel:BYTE_0 src1_sel:DWORD
	v_or_b32_sdwa v57, v54, v53 dst_sel:WORD_1 dst_unused:UNUSED_PAD src0_sel:BYTE_0 src1_sel:DWORD
	v_or_b32_sdwa v57, v40, v57 dst_sel:DWORD dst_unused:UNUSED_PAD src0_sel:WORD_0 src1_sel:DWORD
	global_load_dwordx2 v[39:40], v39, s[12:13]
	v_lshlrev_b16_e32 v50, 8, v50
	v_lshlrev_b16_e32 v49, 8, v49
	s_waitcnt vmcnt(0)
	v_xor_b32_e32 v39, v39, v52
	v_and_b32_e32 v52, 0xffffff00, v39
	v_sub_i16 v51, v52, v51 clamp
	v_lshlrev_b16_e32 v52, 8, v39
	v_sub_i16 v50, v52, v50 clamp
	v_perm_b32 v50, v50, v51, s24
	v_and_b32_sdwa v51, v39, s23 dst_sel:DWORD dst_unused:UNUSED_PAD src0_sel:WORD_1 src1_sel:DWORD
	v_lshlrev_b16_sdwa v39, v34, v39 dst_sel:DWORD dst_unused:UNUSED_PAD src0_sel:DWORD src1_sel:WORD_1
	v_sub_i16 v48, v51, v48 clamp
	v_sub_i16 v39, v39, v49 clamp
	v_perm_b32 v39, v39, v48, s24
	v_xor_b32_e32 v40, v40, v57
	v_lshl_or_b32 v39, v39, 16, v50
	v_and_b32_e32 v48, 0xffffff00, v40
	v_lshlrev_b16_e32 v49, 8, v40
	v_lshlrev_b16_e32 v50, 8, v55
	v_sub_i16 v48, v48, v56 clamp
	v_sub_i16 v49, v49, v50 clamp
	v_perm_b32 v48, v49, v48, s24
	v_and_b32_sdwa v49, v40, s23 dst_sel:DWORD dst_unused:UNUSED_PAD src0_sel:WORD_1 src1_sel:DWORD
	v_lshlrev_b16_sdwa v40, v34, v40 dst_sel:DWORD dst_unused:UNUSED_PAD src0_sel:DWORD src1_sel:WORD_1
	v_lshlrev_b16_e32 v50, 8, v54
	v_sub_i16 v49, v49, v53 clamp
	v_sub_i16 v40, v40, v50 clamp
	v_perm_b32 v40, v40, v49, s24
	v_lshl_or_b32 v40, v40, 16, v48
	v_dot4_i32_i8 v39, v39, v9, v47
	v_dot4_i32_i8 v47, v40, v2, v39
	v_bfe_u32 v39, v43, 16, 8
	v_lshlrev_b32_e32 v40, 4, v45
	v_and_or_b32 v39, v40, s21, v39
	v_lshrrev_b32_e32 v40, 9, v46
	v_lshl_or_b32 v40, v41, 21, v40
	v_and_b32_e32 v43, 0x1800180, v40
	v_bfe_u32 v40, v40, 24, 1
	v_cmp_ne_u16_e32 vcc, 0, v40
	v_cmp_ne_u16_sdwa s[30:31], v43, v32 src0_sel:BYTE_1 src1_sel:DWORD
	v_lshrrev_b16_e32 v40, 7, v43
	v_lshrrev_b32_e32 v43, 18, v46
	v_bfe_i32 v48, v40, 0, 1
	v_cndmask_b32_e64 v40, 0, -1, s[30:31]
	v_cndmask_b32_e64 v50, 0, -1, vcc
	v_lshlrev_b16_e32 v49, 8, v40
	v_lshlrev_b16_e32 v50, 8, v50
	v_bfe_i32 v43, v43, 0, 1
	v_or_b32_sdwa v40, v48, v49 dst_sel:DWORD dst_unused:UNUSED_PAD src0_sel:BYTE_0 src1_sel:DWORD
	v_or_b32_sdwa v51, v43, v50 dst_sel:WORD_1 dst_unused:UNUSED_PAD src0_sel:BYTE_0 src1_sel:DWORD
	v_or_b32_sdwa v51, v40, v51 dst_sel:DWORD dst_unused:UNUSED_PAD src0_sel:WORD_0 src1_sel:DWORD
	v_lshrrev_b32_e32 v40, 13, v46
	v_lshl_or_b32 v40, v41, 17, v40
	v_and_b32_e32 v41, 0x1800180, v40
	v_bfe_u32 v40, v40, 24, 1
	v_cmp_ne_u16_e32 vcc, 0, v40
	v_cmp_ne_u16_sdwa s[30:31], v41, v32 src0_sel:BYTE_1 src1_sel:DWORD
	v_lshrrev_b16_e32 v40, 7, v41
	v_lshrrev_b32_e32 v41, 22, v46
	v_bfe_i32 v52, v40, 0, 1
	v_cndmask_b32_e64 v40, 0, -1, s[30:31]
	v_cndmask_b32_e64 v54, 0, -1, vcc
	v_lshlrev_b16_e32 v53, 8, v40
	v_lshlrev_b16_e32 v54, 8, v54
	v_bfe_i32 v41, v41, 0, 1
	v_lshlrev_b32_e32 v39, 3, v39
	v_or_b32_sdwa v40, v52, v53 dst_sel:DWORD dst_unused:UNUSED_PAD src0_sel:BYTE_0 src1_sel:DWORD
	v_or_b32_sdwa v55, v41, v54 dst_sel:WORD_1 dst_unused:UNUSED_PAD src0_sel:BYTE_0 src1_sel:DWORD
	v_or_b32_sdwa v55, v40, v55 dst_sel:DWORD dst_unused:UNUSED_PAD src0_sel:WORD_0 src1_sel:DWORD
	global_load_dwordx2 v[39:40], v39, s[12:13]
	v_lshlrev_b16_e32 v48, 8, v48
	v_lshlrev_b16_e32 v43, 8, v43
	;; [unrolled: 1-line block ×3, first 2 shown]
	s_waitcnt vmcnt(0)
	v_xor_b32_e32 v39, v39, v51
	v_and_b32_e32 v51, 0xffffff00, v39
	v_sub_i16 v49, v51, v49 clamp
	v_lshlrev_b16_e32 v51, 8, v39
	v_sub_i16 v48, v51, v48 clamp
	v_perm_b32 v48, v48, v49, s24
	v_and_b32_sdwa v49, v39, s23 dst_sel:DWORD dst_unused:UNUSED_PAD src0_sel:WORD_1 src1_sel:DWORD
	v_lshlrev_b16_sdwa v39, v34, v39 dst_sel:DWORD dst_unused:UNUSED_PAD src0_sel:DWORD src1_sel:WORD_1
	v_sub_i16 v49, v49, v50 clamp
	v_sub_i16 v39, v39, v43 clamp
	v_perm_b32 v39, v39, v49, s24
	v_xor_b32_e32 v40, v40, v55
	v_lshl_or_b32 v39, v39, 16, v48
	v_and_b32_e32 v43, 0xffffff00, v40
	v_lshlrev_b16_e32 v48, 8, v40
	v_lshlrev_b16_e32 v49, 8, v52
	v_sub_i16 v43, v43, v53 clamp
	v_sub_i16 v48, v48, v49 clamp
	v_perm_b32 v43, v48, v43, s24
	v_and_b32_sdwa v48, v40, s23 dst_sel:DWORD dst_unused:UNUSED_PAD src0_sel:WORD_1 src1_sel:DWORD
	v_lshlrev_b16_sdwa v40, v34, v40 dst_sel:DWORD dst_unused:UNUSED_PAD src0_sel:DWORD src1_sel:WORD_1
	v_sub_i16 v48, v48, v54 clamp
	v_sub_i16 v40, v40, v41 clamp
	v_perm_b32 v40, v40, v48, s24
	v_lshl_or_b32 v40, v40, 16, v43
	v_dot4_i32_i8 v39, v39, v3, 0
	v_dot4_i32_i8 v41, v40, v4, v39
	v_lshrrev_b32_e32 v40, 17, v46
	v_lshrrev_b32_e32 v43, 24, v46
	v_lshl_or_b32 v40, v43, 21, v40
	v_and_b32_e32 v43, 0x1800180, v40
	v_bfe_u32 v40, v40, 24, 1
	v_lshlrev_b32_e32 v39, 2, v45
	v_cmp_ne_u16_e32 vcc, 0, v40
	v_cmp_ne_u16_sdwa s[30:31], v43, v32 src0_sel:BYTE_1 src1_sel:DWORD
	v_lshrrev_b16_e32 v40, 7, v43
	v_and_or_b32 v39, v39, s21, v44
	v_lshrrev_b32_e32 v43, 26, v46
	v_bfe_i32 v44, v40, 0, 1
	v_cndmask_b32_e64 v40, 0, -1, s[30:31]
	v_cndmask_b32_e64 v48, 0, -1, vcc
	v_lshlrev_b16_e32 v45, 8, v40
	v_lshlrev_b16_e32 v48, 8, v48
	v_bfe_i32 v43, v43, 0, 1
	v_or_b32_sdwa v40, v44, v45 dst_sel:DWORD dst_unused:UNUSED_PAD src0_sel:BYTE_0 src1_sel:DWORD
	v_or_b32_sdwa v49, v43, v48 dst_sel:WORD_1 dst_unused:UNUSED_PAD src0_sel:BYTE_0 src1_sel:DWORD
	v_or_b32_sdwa v49, v40, v49 dst_sel:DWORD dst_unused:UNUSED_PAD src0_sel:WORD_0 src1_sel:DWORD
	v_lshrrev_b32_e32 v40, 21, v46
	v_lshrrev_b32_e32 v51, 31, v46
	v_lshrrev_b16_e32 v50, 8, v40
	v_cmp_ne_u16_e32 vcc, 0, v51
	v_lshrrev_b32_e32 v46, 30, v46
	v_lshrrev_b16_e32 v40, 7, v40
	v_bfe_i32 v50, v50, 0, 1
	v_cndmask_b32_e64 v52, 0, -1, vcc
	v_lshlrev_b16_e32 v50, 8, v50
	v_bfe_i32 v51, v40, 0, 1
	v_bfe_i32 v46, v46, 0, 1
	v_lshlrev_b16_e32 v52, 8, v52
	v_lshlrev_b32_e32 v39, 3, v39
	v_or_b32_sdwa v40, v51, v50 dst_sel:DWORD dst_unused:UNUSED_PAD src0_sel:BYTE_0 src1_sel:DWORD
	v_or_b32_sdwa v53, v46, v52 dst_sel:WORD_1 dst_unused:UNUSED_PAD src0_sel:BYTE_0 src1_sel:DWORD
	v_or_b32_sdwa v53, v40, v53 dst_sel:DWORD dst_unused:UNUSED_PAD src0_sel:WORD_0 src1_sel:DWORD
	global_load_dwordx2 v[39:40], v39, s[12:13]
	v_lshlrev_b16_e32 v44, 8, v44
	v_lshlrev_b16_e32 v43, 8, v43
	s_waitcnt vmcnt(0)
	v_xor_b32_e32 v39, v39, v49
	v_and_b32_e32 v49, 0xffffff00, v39
	v_sub_i16 v45, v49, v45 clamp
	v_lshlrev_b16_e32 v49, 8, v39
	v_sub_i16 v44, v49, v44 clamp
	v_perm_b32 v44, v44, v45, s24
	v_and_b32_sdwa v45, v39, s23 dst_sel:DWORD dst_unused:UNUSED_PAD src0_sel:WORD_1 src1_sel:DWORD
	v_lshlrev_b16_sdwa v39, v34, v39 dst_sel:DWORD dst_unused:UNUSED_PAD src0_sel:DWORD src1_sel:WORD_1
	v_sub_i16 v45, v45, v48 clamp
	v_sub_i16 v39, v39, v43 clamp
	v_perm_b32 v39, v39, v45, s24
	v_xor_b32_e32 v40, v40, v53
	v_lshl_or_b32 v39, v39, 16, v44
	v_and_b32_e32 v43, 0xffffff00, v40
	v_lshlrev_b16_e32 v44, 8, v40
	v_lshlrev_b16_e32 v45, 8, v51
	v_sub_i16 v43, v43, v50 clamp
	v_sub_i16 v44, v44, v45 clamp
	v_perm_b32 v43, v44, v43, s24
	v_and_b32_sdwa v44, v40, s23 dst_sel:DWORD dst_unused:UNUSED_PAD src0_sel:WORD_1 src1_sel:DWORD
	v_lshlrev_b16_sdwa v40, v34, v40 dst_sel:DWORD dst_unused:UNUSED_PAD src0_sel:DWORD src1_sel:WORD_1
	v_lshlrev_b16_e32 v45, 8, v46
	v_sub_i16 v44, v44, v52 clamp
	v_sub_i16 v40, v40, v45 clamp
	v_perm_b32 v40, v40, v44, s24
	v_lshl_or_b32 v40, v40, 16, v43
	v_dot4_i32_i8 v39, v39, v5, v41
	v_dot4_i32_i8 v39, v40, v35, v39
	v_lshrrev_b32_e32 v40, 4, v42
	v_and_b32_e32 v41, 15, v42
	v_mul_lo_u32 v41, v47, v41
	v_mul_lo_u32 v40, v39, v40
	v_add_u32_e32 v39, v39, v47
	v_lshrrev_b32_e32 v42, 31, v39
	v_add_u32_e32 v39, v39, v42
	v_ashrrev_i32_e32 v39, 1, v39
	v_add3_u32 v39, v40, v41, v39
	v_ashrrev_i32_e32 v40, 31, v39
	v_lshrrev_b32_e32 v40, 30, v40
	v_add_u32_e32 v39, v39, v40
	v_ashrrev_i32_e32 v39, 2, v39
	v_cvt_f32_i32_e32 v23, v39
	v_fmac_f32_e32 v27, v22, v23
	s_branch .LBB183_13
.LBB183_16:
	s_or_b64 exec, exec, s[14:15]
.LBB183_17:
	s_or_b64 exec, exec, s[18:19]
	s_load_dword s7, s[4:5], 0x30
	v_cmp_eq_u32_e64 s[10:11], 0, v1
	v_cmp_ne_u32_e32 vcc, 0, v1
	s_and_saveexec_b64 s[12:13], vcc
	s_cbranch_execz .LBB183_21
; %bb.18:
	s_and_b64 vcc, exec, s[16:17]
	s_cbranch_vccz .LBB183_20
; %bb.19:
	v_lshl_add_u32 v2, v1, 8, v24
	ds_write_b32 v2, v27
.LBB183_20:
	v_lshlrev_b32_e32 v1, 8, v1
	s_waitcnt lgkmcnt(0)
	s_movk_i32 s9, 0xff00
	v_add3_u32 v1, v1, v24, s9
	ds_write_b32 v1, v29
.LBB183_21:
	s_or_b64 exec, exec, s[12:13]
	s_waitcnt vmcnt(0) lgkmcnt(0)
	s_barrier
	s_and_saveexec_b64 s[12:13], s[10:11]
	s_cbranch_execz .LBB183_50
; %bb.22:
	ds_read_b32 v2, v24
	v_cmp_ne_u32_e64 s[10:11], 1, v28
	s_and_b64 vcc, exec, s[10:11]
	s_cbranch_vccnz .LBB183_24
; %bb.23:
	ds_read_b32 v1, v24 offset:256
	s_waitcnt lgkmcnt(0)
	v_add_f32_e32 v27, v27, v1
.LBB183_24:
	v_mbcnt_lo_u32_b32 v1, -1, 0
	v_mbcnt_hi_u32_b32 v3, -1, v1
	v_and_b32_e32 v1, 64, v3
	v_add_u32_e32 v4, 64, v1
	v_xor_b32_e32 v1, 32, v3
	v_cmp_lt_i32_e32 vcc, v1, v4
	v_cndmask_b32_e32 v1, v3, v1, vcc
	v_lshlrev_b32_e32 v1, 2, v1
	s_waitcnt lgkmcnt(0)
	v_add_f32_e32 v5, v29, v2
	ds_bpermute_b32 v6, v1, v5
	v_xor_b32_e32 v2, 16, v3
	v_cmp_lt_i32_e32 vcc, v2, v4
	v_cndmask_b32_e32 v2, v3, v2, vcc
	v_lshlrev_b32_e32 v2, 2, v2
	s_waitcnt lgkmcnt(0)
	v_add_f32_e32 v6, v5, v6
	ds_bpermute_b32 v7, v2, v6
	v_xor_b32_e32 v5, 8, v3
	v_cmp_lt_i32_e32 vcc, v5, v4
	v_cndmask_b32_e32 v5, v3, v5, vcc
	v_lshlrev_b32_e32 v5, 2, v5
	s_waitcnt lgkmcnt(0)
	v_add_f32_e32 v7, v6, v7
	ds_bpermute_b32 v8, v5, v7
	v_xor_b32_e32 v6, 4, v3
	v_cmp_lt_i32_e32 vcc, v6, v4
	v_cndmask_b32_e32 v6, v3, v6, vcc
	v_lshlrev_b32_e32 v6, 2, v6
	s_waitcnt lgkmcnt(0)
	v_add_f32_e32 v8, v7, v8
	ds_bpermute_b32 v9, v6, v8
	v_xor_b32_e32 v7, 2, v3
	v_cmp_lt_i32_e32 vcc, v7, v4
	v_cndmask_b32_e32 v7, v3, v7, vcc
	v_lshlrev_b32_e32 v7, 2, v7
	s_waitcnt lgkmcnt(0)
	v_add_f32_e32 v9, v8, v9
	ds_bpermute_b32 v10, v7, v9
	v_xor_b32_e32 v8, 1, v3
	v_cmp_lt_i32_e32 vcc, v8, v4
	v_cndmask_b32_e32 v3, v3, v8, vcc
	v_lshlrev_b32_e32 v8, 2, v3
	s_waitcnt lgkmcnt(0)
	v_add_f32_e32 v3, v9, v10
	ds_bpermute_b32 v4, v8, v3
	s_and_b64 vcc, exec, s[10:11]
	s_cbranch_vccnz .LBB183_26
; %bb.25:
	ds_bpermute_b32 v1, v1, v27
	s_waitcnt lgkmcnt(0)
	v_add_f32_e32 v1, v27, v1
	ds_bpermute_b32 v2, v2, v1
	s_waitcnt lgkmcnt(0)
	v_add_f32_e32 v1, v1, v2
	ds_bpermute_b32 v2, v5, v1
	s_waitcnt lgkmcnt(0)
	v_add_f32_e32 v1, v1, v2
	ds_bpermute_b32 v2, v6, v1
	s_waitcnt lgkmcnt(0)
	v_add_f32_e32 v1, v1, v2
	ds_bpermute_b32 v2, v7, v1
	s_waitcnt lgkmcnt(0)
	v_add_f32_e32 v1, v1, v2
	ds_bpermute_b32 v2, v8, v1
	s_waitcnt lgkmcnt(0)
	v_add_f32_e32 v27, v1, v2
.LBB183_26:
	v_cmp_eq_u32_e32 vcc, 0, v0
	s_and_b64 exec, exec, vcc
	s_cbranch_execz .LBB183_50
; %bb.27:
	s_waitcnt lgkmcnt(0)
	v_add_f32_e32 v0, v3, v4
	v_add_f32_e32 v1, v26, v0
	s_and_b64 vcc, exec, s[10:11]
	v_cndmask_b32_e64 v0, v0, v1, s[0:1]
	s_cbranch_vccnz .LBB183_49
; %bb.28:
	v_add_f32_e32 v1, v25, v27
	v_cndmask_b32_e64 v1, v27, v1, s[2:3]
	s_cmp_lt_i32 s7, 2
	s_mov_b64 s[0:1], 0
	s_cbranch_scc1 .LBB183_32
; %bb.29:
	s_cmp_gt_i32 s7, 2
	s_cbranch_scc0 .LBB183_33
; %bb.30:
	s_cmp_eq_u32 s7, 3
	s_cbranch_scc0 .LBB183_34
; %bb.31:
	v_max_f32_e32 v2, v1, v1
	v_min_f32_e32 v2, 0x40e00000, v2
	v_mul_f32_e32 v3, 0xbfd9db23, v2
	s_mov_b32 s2, 0x3fb8aa3b
	v_mul_f32_e32 v4, 0x3fb8aa3b, v3
	v_fma_f32 v5, v3, s2, -v4
	v_rndne_f32_e32 v6, v4
	v_fmac_f32_e32 v5, 0x32a5705f, v3
	v_sub_f32_e32 v4, v4, v6
	v_add_f32_e32 v4, v4, v5
	v_exp_f32_e32 v4, v4
	v_cvt_i32_f32_e32 v5, v6
	s_mov_b32 s2, 0xc2ce8ed0
	v_cmp_ngt_f32_e32 vcc, s2, v3
	s_mov_b32 s2, 0x42b17218
	v_ldexp_f32 v4, v4, v5
	v_cndmask_b32_e32 v4, 0, v4, vcc
	v_mov_b32_e32 v5, 0x7f800000
	v_cmp_nlt_f32_e32 vcc, s2, v3
	v_cndmask_b32_e32 v3, v5, v4, vcc
	v_add_f32_e32 v3, 1.0, v3
	v_div_scale_f32 v4, s[2:3], v3, v3, v2
	v_div_scale_f32 v5, vcc, v2, v3, v2
	s_mov_b64 s[2:3], 0
	v_rcp_f32_e32 v6, v4
	v_fma_f32 v7, -v4, v6, 1.0
	v_fmac_f32_e32 v6, v7, v6
	v_mul_f32_e32 v7, v5, v6
	v_fma_f32 v8, -v4, v7, v5
	v_fmac_f32_e32 v7, v8, v6
	v_fma_f32 v4, -v4, v7, v5
	v_div_fmas_f32 v4, v4, v6, v7
	v_max_f32_e32 v5, v0, v0
	v_min_f32_e32 v5, 0x40e00000, v5
	v_max_f32_e32 v5, 0xc0e00000, v5
	v_add_f32_e32 v5, 1.0, v5
	v_div_fixup_f32 v2, v4, v3, v2
	v_mul_f32_e32 v2, v5, v2
	s_branch .LBB183_35
.LBB183_32:
                                        ; implicit-def: $vgpr2
	s_mov_b64 s[2:3], 0
	s_cbranch_execnz .LBB183_39
	s_branch .LBB183_40
.LBB183_33:
	s_mov_b64 s[10:11], -1
	s_mov_b64 s[2:3], 0
                                        ; implicit-def: $vgpr2
	s_branch .LBB183_36
.LBB183_34:
	s_mov_b64 s[2:3], -1
                                        ; implicit-def: $vgpr2
.LBB183_35:
	s_mov_b64 s[10:11], 0
.LBB183_36:
	s_and_b64 vcc, exec, s[10:11]
	s_cbranch_vccz .LBB183_38
; %bb.37:
	v_mul_f32_e32 v2, 0xbfb8aa3b, v1
	s_mov_b32 s9, 0xbfb8aa3b
	v_rndne_f32_e32 v3, v2
	v_sub_f32_e32 v4, v2, v3
	v_fma_f32 v2, v1, s9, -v2
	v_fmac_f32_e32 v2, 0xb2a5705f, v1
	v_add_f32_e32 v2, v4, v2
	v_exp_f32_e32 v2, v2
	v_cvt_i32_f32_e32 v3, v3
	s_mov_b32 s9, 0x42ce8ed0
	v_cmp_nlt_f32_e32 vcc, s9, v1
	s_mov_b32 s9, 0xc2b17218
	v_ldexp_f32 v2, v2, v3
	v_cndmask_b32_e32 v2, 0, v2, vcc
	v_mov_b32_e32 v3, 0x7f800000
	v_cmp_ngt_f32_e32 vcc, s9, v1
	v_cndmask_b32_e32 v2, v3, v2, vcc
	v_add_f32_e32 v2, 1.0, v2
	v_div_scale_f32 v3, s[10:11], v2, v2, v1
	v_div_scale_f32 v4, vcc, v1, v2, v1
	v_rcp_f32_e32 v5, v3
	v_fma_f32 v6, -v3, v5, 1.0
	v_fmac_f32_e32 v5, v6, v5
	v_mul_f32_e32 v6, v4, v5
	v_fma_f32 v7, -v3, v6, v4
	v_fmac_f32_e32 v6, v7, v5
	v_fma_f32 v3, -v3, v6, v4
	v_div_fmas_f32 v3, v3, v5, v6
	v_div_fixup_f32 v2, v3, v2, v1
	v_mul_f32_e32 v2, v0, v2
.LBB183_38:
	s_branch .LBB183_40
.LBB183_39:
	s_cmp_lg_u32 s7, 1
	s_mov_b64 s[0:1], -1
	s_cselect_b64 s[2:3], -1, 0
.LBB183_40:
	s_andn2_b64 vcc, exec, s[2:3]
	s_cbranch_vccz .LBB183_42
; %bb.41:
	s_andn2_b64 vcc, exec, s[0:1]
	s_cbranch_vccz .LBB183_43
	s_branch .LBB183_48
.LBB183_42:
	v_mul_f32_e32 v2, v1, v0
	s_cbranch_execnz .LBB183_48
.LBB183_43:
	v_mul_f32_e32 v3, 0x3d372713, v1
	v_mul_f32_e32 v2, 0x3f4c422a, v1
	v_fma_f32 v3, v1, v3, 1.0
	v_mul_f32_e32 v2, v2, v3
	s_mov_b32 s0, 0x3f200000
	v_cmp_nlt_f32_e64 s[0:1], |v2|, s0
                                        ; implicit-def: $vgpr3
	s_and_saveexec_b64 s[2:3], s[0:1]
	s_xor_b64 s[0:1], exec, s[2:3]
	s_cbranch_execz .LBB183_45
; %bb.44:
	v_add_f32_e64 v3, |v2|, |v2|
	v_mul_f32_e32 v4, 0x3fb8aa3b, v3
	s_mov_b32 s2, 0x3fb8aa3b
	v_rndne_f32_e32 v5, v4
	v_sub_f32_e32 v6, v4, v5
	v_fma_f32 v4, v3, s2, -v4
	v_fmac_f32_e32 v4, 0x32a5705f, v3
	v_add_f32_e32 v4, v6, v4
	v_exp_f32_e32 v4, v4
	v_cvt_i32_f32_e32 v5, v5
	s_mov_b32 s2, 0xc2ce8ed0
	v_cmp_ngt_f32_e32 vcc, s2, v3
	s_mov_b32 s2, 0x42b17218
	v_ldexp_f32 v4, v4, v5
	v_cndmask_b32_e32 v4, 0, v4, vcc
	v_mov_b32_e32 v5, 0x7f800000
	v_cmp_nlt_f32_e32 vcc, s2, v3
	v_cndmask_b32_e32 v3, v5, v4, vcc
	v_add_f32_e32 v3, 1.0, v3
	v_rcp_f32_e32 v3, v3
	v_fma_f32 v3, v3, -2.0, 1.0
.LBB183_45:
	s_andn2_saveexec_b64 s[0:1], s[0:1]
	s_cbranch_execz .LBB183_47
; %bb.46:
	v_mul_f32_e32 v3, v2, v2
	v_mov_b32_e32 v4, 0x3ca908c9
	v_fmac_f32_e32 v4, 0xbbbac73d, v3
	v_mov_b32_e32 v5, 0xbd5c1c4e
	v_fmac_f32_e32 v5, v3, v4
	;; [unrolled: 2-line block ×4, first 2 shown]
	v_mul_f32_e64 v4, |v2|, v5
	v_fma_f32 v3, v3, v4, |v2|
.LBB183_47:
	s_or_b64 exec, exec, s[0:1]
	s_brev_b32 s0, -2
	v_bfi_b32 v2, s0, v3, v2
	v_mul_f32_e32 v1, 0.5, v1
	v_add_f32_e32 v2, 1.0, v2
	v_mul_f32_e32 v1, v1, v2
	v_mul_f32_e32 v2, v0, v1
.LBB183_48:
	v_mov_b32_e32 v0, v2
.LBB183_49:
	s_load_dwordx2 s[0:1], s[4:5], 0x38
	s_mul_i32 s3, s22, s34
	s_mul_i32 s2, s26, s8
	s_add_i32 s3, s3, s6
	s_add_i32 s2, s3, s2
	s_mov_b32 s3, 0
	s_lshl_b64 s[2:3], s[2:3], 2
	s_waitcnt lgkmcnt(0)
	s_add_u32 s0, s0, s2
	s_addc_u32 s1, s1, s3
	global_store_dword v24, v0, s[0:1]
.LBB183_50:
	s_endpgm
	.section	.rodata,"a",@progbits
	.p2align	6, 0x0
	.amdhsa_kernel _ZL13mul_mat_vec_qIL9ggml_type22ELi1ELb1ELb0EEvPKvS2_PKi31ggml_cuda_mm_fusion_args_devicePfj15HIP_vector_typeIjLj3EEjjjS8_jjjS8_jjjj
		.amdhsa_group_segment_fixed_size 512
		.amdhsa_private_segment_fixed_size 0
		.amdhsa_kernarg_size 144
		.amdhsa_user_sgpr_count 6
		.amdhsa_user_sgpr_private_segment_buffer 1
		.amdhsa_user_sgpr_dispatch_ptr 0
		.amdhsa_user_sgpr_queue_ptr 0
		.amdhsa_user_sgpr_kernarg_segment_ptr 1
		.amdhsa_user_sgpr_dispatch_id 0
		.amdhsa_user_sgpr_flat_scratch_init 0
		.amdhsa_user_sgpr_private_segment_size 0
		.amdhsa_uses_dynamic_stack 0
		.amdhsa_system_sgpr_private_segment_wavefront_offset 0
		.amdhsa_system_sgpr_workgroup_id_x 1
		.amdhsa_system_sgpr_workgroup_id_y 1
		.amdhsa_system_sgpr_workgroup_id_z 1
		.amdhsa_system_sgpr_workgroup_info 0
		.amdhsa_system_vgpr_workitem_id 1
		.amdhsa_next_free_vgpr 58
		.amdhsa_next_free_sgpr 42
		.amdhsa_reserve_vcc 1
		.amdhsa_reserve_flat_scratch 0
		.amdhsa_float_round_mode_32 0
		.amdhsa_float_round_mode_16_64 0
		.amdhsa_float_denorm_mode_32 3
		.amdhsa_float_denorm_mode_16_64 3
		.amdhsa_dx10_clamp 1
		.amdhsa_ieee_mode 1
		.amdhsa_fp16_overflow 0
		.amdhsa_exception_fp_ieee_invalid_op 0
		.amdhsa_exception_fp_denorm_src 0
		.amdhsa_exception_fp_ieee_div_zero 0
		.amdhsa_exception_fp_ieee_overflow 0
		.amdhsa_exception_fp_ieee_underflow 0
		.amdhsa_exception_fp_ieee_inexact 0
		.amdhsa_exception_int_div_zero 0
	.end_amdhsa_kernel
	.section	.text._ZL13mul_mat_vec_qIL9ggml_type22ELi1ELb1ELb0EEvPKvS2_PKi31ggml_cuda_mm_fusion_args_devicePfj15HIP_vector_typeIjLj3EEjjjS8_jjjS8_jjjj,"axG",@progbits,_ZL13mul_mat_vec_qIL9ggml_type22ELi1ELb1ELb0EEvPKvS2_PKi31ggml_cuda_mm_fusion_args_devicePfj15HIP_vector_typeIjLj3EEjjjS8_jjjS8_jjjj,comdat
.Lfunc_end183:
	.size	_ZL13mul_mat_vec_qIL9ggml_type22ELi1ELb1ELb0EEvPKvS2_PKi31ggml_cuda_mm_fusion_args_devicePfj15HIP_vector_typeIjLj3EEjjjS8_jjjS8_jjjj, .Lfunc_end183-_ZL13mul_mat_vec_qIL9ggml_type22ELi1ELb1ELb0EEvPKvS2_PKi31ggml_cuda_mm_fusion_args_devicePfj15HIP_vector_typeIjLj3EEjjjS8_jjjS8_jjjj
                                        ; -- End function
	.set _ZL13mul_mat_vec_qIL9ggml_type22ELi1ELb1ELb0EEvPKvS2_PKi31ggml_cuda_mm_fusion_args_devicePfj15HIP_vector_typeIjLj3EEjjjS8_jjjS8_jjjj.num_vgpr, 58
	.set _ZL13mul_mat_vec_qIL9ggml_type22ELi1ELb1ELb0EEvPKvS2_PKi31ggml_cuda_mm_fusion_args_devicePfj15HIP_vector_typeIjLj3EEjjjS8_jjjS8_jjjj.num_agpr, 0
	.set _ZL13mul_mat_vec_qIL9ggml_type22ELi1ELb1ELb0EEvPKvS2_PKi31ggml_cuda_mm_fusion_args_devicePfj15HIP_vector_typeIjLj3EEjjjS8_jjjS8_jjjj.numbered_sgpr, 42
	.set _ZL13mul_mat_vec_qIL9ggml_type22ELi1ELb1ELb0EEvPKvS2_PKi31ggml_cuda_mm_fusion_args_devicePfj15HIP_vector_typeIjLj3EEjjjS8_jjjS8_jjjj.num_named_barrier, 0
	.set _ZL13mul_mat_vec_qIL9ggml_type22ELi1ELb1ELb0EEvPKvS2_PKi31ggml_cuda_mm_fusion_args_devicePfj15HIP_vector_typeIjLj3EEjjjS8_jjjS8_jjjj.private_seg_size, 0
	.set _ZL13mul_mat_vec_qIL9ggml_type22ELi1ELb1ELb0EEvPKvS2_PKi31ggml_cuda_mm_fusion_args_devicePfj15HIP_vector_typeIjLj3EEjjjS8_jjjS8_jjjj.uses_vcc, 1
	.set _ZL13mul_mat_vec_qIL9ggml_type22ELi1ELb1ELb0EEvPKvS2_PKi31ggml_cuda_mm_fusion_args_devicePfj15HIP_vector_typeIjLj3EEjjjS8_jjjS8_jjjj.uses_flat_scratch, 0
	.set _ZL13mul_mat_vec_qIL9ggml_type22ELi1ELb1ELb0EEvPKvS2_PKi31ggml_cuda_mm_fusion_args_devicePfj15HIP_vector_typeIjLj3EEjjjS8_jjjS8_jjjj.has_dyn_sized_stack, 0
	.set _ZL13mul_mat_vec_qIL9ggml_type22ELi1ELb1ELb0EEvPKvS2_PKi31ggml_cuda_mm_fusion_args_devicePfj15HIP_vector_typeIjLj3EEjjjS8_jjjS8_jjjj.has_recursion, 0
	.set _ZL13mul_mat_vec_qIL9ggml_type22ELi1ELb1ELb0EEvPKvS2_PKi31ggml_cuda_mm_fusion_args_devicePfj15HIP_vector_typeIjLj3EEjjjS8_jjjS8_jjjj.has_indirect_call, 0
	.section	.AMDGPU.csdata,"",@progbits
; Kernel info:
; codeLenInByte = 6116
; TotalNumSgprs: 46
; NumVgprs: 58
; ScratchSize: 0
; MemoryBound: 0
; FloatMode: 240
; IeeeMode: 1
; LDSByteSize: 512 bytes/workgroup (compile time only)
; SGPRBlocks: 5
; VGPRBlocks: 14
; NumSGPRsForWavesPerEU: 46
; NumVGPRsForWavesPerEU: 58
; Occupancy: 4
; WaveLimiterHint : 0
; COMPUTE_PGM_RSRC2:SCRATCH_EN: 0
; COMPUTE_PGM_RSRC2:USER_SGPR: 6
; COMPUTE_PGM_RSRC2:TRAP_HANDLER: 0
; COMPUTE_PGM_RSRC2:TGID_X_EN: 1
; COMPUTE_PGM_RSRC2:TGID_Y_EN: 1
; COMPUTE_PGM_RSRC2:TGID_Z_EN: 1
; COMPUTE_PGM_RSRC2:TIDIG_COMP_CNT: 1
	.section	.text._ZL13mul_mat_vec_qIL9ggml_type22ELi1ELb0ELb0EEvPKvS2_PKi31ggml_cuda_mm_fusion_args_devicePfj15HIP_vector_typeIjLj3EEjjjS8_jjjS8_jjjj,"axG",@progbits,_ZL13mul_mat_vec_qIL9ggml_type22ELi1ELb0ELb0EEvPKvS2_PKi31ggml_cuda_mm_fusion_args_devicePfj15HIP_vector_typeIjLj3EEjjjS8_jjjS8_jjjj,comdat
	.globl	_ZL13mul_mat_vec_qIL9ggml_type22ELi1ELb0ELb0EEvPKvS2_PKi31ggml_cuda_mm_fusion_args_devicePfj15HIP_vector_typeIjLj3EEjjjS8_jjjS8_jjjj ; -- Begin function _ZL13mul_mat_vec_qIL9ggml_type22ELi1ELb0ELb0EEvPKvS2_PKi31ggml_cuda_mm_fusion_args_devicePfj15HIP_vector_typeIjLj3EEjjjS8_jjjS8_jjjj
	.p2align	8
	.type	_ZL13mul_mat_vec_qIL9ggml_type22ELi1ELb0ELb0EEvPKvS2_PKi31ggml_cuda_mm_fusion_args_devicePfj15HIP_vector_typeIjLj3EEjjjS8_jjjS8_jjjj,@function
_ZL13mul_mat_vec_qIL9ggml_type22ELi1ELb0ELb0EEvPKvS2_PKi31ggml_cuda_mm_fusion_args_devicePfj15HIP_vector_typeIjLj3EEjjjS8_jjjS8_jjjj: ; @_ZL13mul_mat_vec_qIL9ggml_type22ELi1ELb0ELb0EEvPKvS2_PKi31ggml_cuda_mm_fusion_args_devicePfj15HIP_vector_typeIjLj3EEjjjS8_jjjS8_jjjj
; %bb.0:
	s_load_dwordx2 s[0:1], s[4:5], 0x10
	s_load_dwordx4 s[16:19], s[4:5], 0x40
	s_mov_b32 s10, s7
	s_mov_b64 s[14:15], 0
	s_waitcnt lgkmcnt(0)
	s_cmp_lg_u64 s[0:1], 0
	s_cselect_b64 s[12:13], -1, 0
	s_cmp_eq_u64 s[0:1], 0
	s_cbranch_scc1 .LBB184_5
; %bb.1:
	s_mov_b32 s11, 0
	s_lshl_b64 s[2:3], s[10:11], 2
	s_add_u32 s0, s0, s2
	s_addc_u32 s1, s1, s3
	s_load_dword s9, s[0:1], 0x0
	s_nop 0
	s_load_dwordx4 s[0:3], s[4:5], 0x68
	s_load_dword s11, s[4:5], 0x50
	s_andn2_b64 vcc, exec, s[14:15]
	s_cbranch_vccnz .LBB184_3
.LBB184_2:
	s_load_dwordx2 s[14:15], s[4:5], 0x5c
	s_waitcnt lgkmcnt(0)
	s_mul_hi_u32 s7, s14, s10
	s_add_i32 s7, s10, s7
	s_lshr_b32 s9, s7, s15
.LBB184_3:
	s_load_dword s20, s[4:5], 0x78
	s_andn2_b64 vcc, exec, s[12:13]
	s_cbranch_vccnz .LBB184_6
; %bb.4:
	s_mul_hi_u32 s7, s17, s10
	s_add_i32 s7, s10, s7
	s_lshr_b32 s7, s7, s18
	s_mul_i32 s7, s7, s19
	s_sub_i32 s18, s10, s7
	s_branch .LBB184_7
.LBB184_5:
                                        ; implicit-def: $sgpr9
	s_load_dwordx4 s[0:3], s[4:5], 0x68
	s_load_dword s11, s[4:5], 0x50
	s_branch .LBB184_2
.LBB184_6:
	s_mov_b32 s18, s10
.LBB184_7:
	s_load_dwordx4 s[12:15], s[4:5], 0x80
	v_lshl_add_u32 v2, v1, 6, v0
	s_lshr_b32 s7, s16, 8
	v_lshrrev_b32_e32 v13, 3, v2
	v_cmp_gt_u32_e32 vcc, s7, v13
	v_mov_b32_e32 v12, 0
	s_and_saveexec_b64 s[16:17], vcc
	s_cbranch_execz .LBB184_11
; %bb.8:
	s_waitcnt lgkmcnt(0)
	s_mul_i32 s9, s9, s0
	s_mul_hi_u32 s0, s3, s8
	s_add_i32 s0, s8, s0
	s_lshr_b32 s0, s0, s20
	s_mul_i32 s3, s0, s12
	s_mul_i32 s0, s18, s1
	s_mul_hi_u32 s1, s0, 36
	s_mul_i32 s0, s0, 36
	v_lshrrev_b32_e32 v4, 3, v2
	v_mov_b32_e32 v2, s0
	v_mov_b32_e32 v3, s1
	s_movk_i32 s0, 0x120
	v_mad_u64_u32 v[2:3], s[0:1], v4, s0, v[2:3]
	s_mul_i32 s12, s13, s8
	s_load_dwordx4 s[24:27], s[4:5], 0x0
	v_mad_u64_u32 v[2:3], s[0:1], s12, 36, v[2:3]
	v_and_b32_e32 v14, 7, v0
	s_mul_i32 s11, s11, s6
	v_mad_u64_u32 v[2:3], s[0:1], v14, 36, v[2:3]
	s_waitcnt lgkmcnt(0)
	v_mov_b32_e32 v5, s27
	s_add_i32 s3, s3, s11
	v_add_co_u32_e32 v2, vcc, s26, v2
	v_addc_co_u32_e32 v3, vcc, v5, v3, vcc
	v_lshlrev_b32_e32 v4, 1, v14
	v_add_co_u32_e32 v6, vcc, 32, v2
	v_mov_b32_e32 v8, s24
	s_add_i32 s3, s9, s3
	v_mov_b32_e32 v15, 0
	v_addc_co_u32_e32 v7, vcc, 0, v3, vcc
	s_mov_b64 s[0:1], 0
	s_movk_i32 s9, 0x52
	v_mov_b32_e32 v9, s25
	v_lshlrev_b32_e32 v16, 1, v4
	s_movk_i32 s11, 0x300
	s_movk_i32 s15, 0xff00
	s_mov_b32 s18, 0xc0c0105
	v_mov_b32_e32 v17, 8
	v_mov_b32_e32 v12, 0
.LBB184_9:                              ; =>This Inner Loop Header: Depth=1
	v_add_u32_e32 v2, s3, v13
	v_mad_i64_i32 v[10:11], s[12:13], v2, s9, v[8:9]
	s_getpc_b64 s[12:13]
	s_add_u32 s12, s12, _ZL9iq2s_grid@rel32@lo+4
	s_addc_u32 s13, s13, _ZL9iq2s_grid@rel32@hi+12
	v_add_u32_e32 v13, 16, v13
	v_add_co_u32_e32 v2, vcc, v10, v16
	v_addc_co_u32_e32 v3, vcc, 0, v11, vcc
	v_add_co_u32_e32 v4, vcc, v10, v14
	global_load_dword v22, v[2:3], off offset:2
	v_addc_co_u32_e32 v5, vcc, 0, v11, vcc
	global_load_ubyte v24, v[4:5], off offset:66
	global_load_dword v25, v[2:3], off offset:34
	global_load_ubyte v27, v[4:5], off offset:74
	s_waitcnt vmcnt(3)
	v_and_b32_e32 v2, 0xff, v22
	v_lshrrev_b32_e32 v23, 24, v22
	s_waitcnt vmcnt(2)
	v_lshlrev_b32_e32 v3, 8, v24
	v_and_or_b32 v2, v3, s11, v2
	s_waitcnt vmcnt(1)
	v_and_b32_e32 v3, 0xff, v25
	v_lshlrev_b32_e32 v4, 21, v25
	v_lshl_or_b32 v4, v3, 7, v4
	v_and_b32_e32 v5, 0x1800180, v4
	v_bfe_u32 v4, v4, 24, 1
	v_cmp_ne_u16_e32 vcc, 0, v4
	v_cmp_ne_u16_sdwa s[20:21], v5, v15 src0_sel:BYTE_1 src1_sel:DWORD
	v_lshrrev_b16_e32 v4, 7, v5
	v_lshrrev_b32_e32 v5, 2, v25
	v_cndmask_b32_e64 v18, 0, -1, s[20:21]
	v_cndmask_b32_e64 v20, 0, -1, vcc
	v_bfe_i32 v4, v4, 0, 1
	v_lshlrev_b16_e32 v18, 8, v18
	v_lshlrev_b16_e32 v20, 8, v20
	v_bfe_i32 v5, v5, 0, 1
	v_or_b32_sdwa v19, v4, v18 dst_sel:DWORD dst_unused:UNUSED_PAD src0_sel:BYTE_0 src1_sel:DWORD
	v_or_b32_sdwa v21, v5, v20 dst_sel:WORD_1 dst_unused:UNUSED_PAD src0_sel:BYTE_0 src1_sel:DWORD
	v_or_b32_sdwa v19, v19, v21 dst_sel:DWORD dst_unused:UNUSED_PAD src0_sel:WORD_0 src1_sel:DWORD
	v_lshlrev_b32_e32 v21, 17, v25
	v_lshl_or_b32 v3, v3, 3, v21
	v_and_b32_e32 v21, 0x1800180, v3
	v_bfe_u32 v3, v3, 24, 1
	v_cmp_ne_u16_e32 vcc, 0, v3
	v_cmp_ne_u16_sdwa s[20:21], v21, v15 src0_sel:BYTE_1 src1_sel:DWORD
	v_lshrrev_b16_e32 v3, 7, v21
	v_lshrrev_b32_e32 v21, 6, v25
	v_bfe_i32 v28, v3, 0, 1
	v_cndmask_b32_e64 v3, 0, -1, s[20:21]
	v_cndmask_b32_e64 v30, 0, -1, vcc
	v_lshlrev_b16_e32 v29, 8, v3
	v_lshlrev_b16_e32 v30, 8, v30
	v_bfe_i32 v21, v21, 0, 1
	v_lshlrev_b32_e32 v2, 3, v2
	v_or_b32_sdwa v3, v28, v29 dst_sel:DWORD dst_unused:UNUSED_PAD src0_sel:BYTE_0 src1_sel:DWORD
	v_or_b32_sdwa v31, v21, v30 dst_sel:WORD_1 dst_unused:UNUSED_PAD src0_sel:BYTE_0 src1_sel:DWORD
	v_or_b32_sdwa v31, v3, v31 dst_sel:DWORD dst_unused:UNUSED_PAD src0_sel:WORD_0 src1_sel:DWORD
	global_load_dwordx2 v[2:3], v2, s[12:13]
	v_lshlrev_b16_e32 v4, 8, v4
	v_lshlrev_b16_e32 v5, 8, v5
	v_lshrrev_b32_e32 v35, 15, v25
	v_lshrrev_b32_e32 v36, 14, v25
	v_bfe_i32 v35, v35, 0, 1
	v_lshlrev_b16_e32 v35, 8, v35
	v_bfe_i32 v36, v36, 0, 1
	v_or_b32_sdwa v39, v36, v35 dst_sel:WORD_1 dst_unused:UNUSED_PAD src0_sel:BYTE_0 src1_sel:DWORD
	v_lshrrev_b32_e32 v26, 16, v25
	s_waitcnt vmcnt(0)
	v_xor_b32_e32 v2, v2, v19
	v_and_b32_e32 v19, 0xffffff00, v2
	v_sub_i16 v18, v19, v18 clamp
	v_lshlrev_b16_e32 v19, 8, v2
	v_sub_i16 v4, v19, v4 clamp
	v_perm_b32 v4, v4, v18, s18
	v_and_b32_sdwa v18, v2, s15 dst_sel:DWORD dst_unused:UNUSED_PAD src0_sel:WORD_1 src1_sel:DWORD
	v_lshlrev_b16_sdwa v2, v17, v2 dst_sel:DWORD dst_unused:UNUSED_PAD src0_sel:DWORD src1_sel:WORD_1
	v_sub_i16 v18, v18, v20 clamp
	v_sub_i16 v2, v2, v5 clamp
	v_perm_b32 v2, v2, v18, s18
	v_lshl_or_b32 v32, v2, 16, v4
	v_xor_b32_e32 v2, v3, v31
	v_and_b32_e32 v3, 0xffffff00, v2
	v_lshlrev_b16_e32 v4, 8, v2
	v_lshlrev_b16_e32 v5, 8, v28
	v_sub_i16 v3, v3, v29 clamp
	v_sub_i16 v4, v4, v5 clamp
	v_perm_b32 v3, v4, v3, s18
	v_and_b32_sdwa v4, v2, s15 dst_sel:DWORD dst_unused:UNUSED_PAD src0_sel:WORD_1 src1_sel:DWORD
	v_lshlrev_b16_sdwa v2, v17, v2 dst_sel:DWORD dst_unused:UNUSED_PAD src0_sel:DWORD src1_sel:WORD_1
	v_lshlrev_b16_e32 v5, 8, v21
	v_sub_i16 v4, v4, v30 clamp
	v_sub_i16 v2, v2, v5 clamp
	v_perm_b32 v2, v2, v4, s18
	v_lshl_or_b32 v28, v2, 16, v3
	global_load_dwordx4 v[2:5], v[6:7], off offset:-32
	global_load_dword v29, v[6:7], off
	global_load_dwordx4 v[18:21], v[6:7], off offset:-16
	v_lshrrev_b32_e32 v30, 11, v25
	v_lshrrev_b32_e32 v31, 10, v25
	v_bfe_i32 v30, v30, 0, 1
	v_lshlrev_b16_e32 v30, 8, v30
	v_bfe_i32 v31, v31, 0, 1
	v_or_b32_sdwa v34, v31, v30 dst_sel:WORD_1 dst_unused:UNUSED_PAD src0_sel:BYTE_0 src1_sel:DWORD
	v_lshlrev_b16_e32 v31, 8, v31
	s_waitcnt vmcnt(2)
	v_dot4_i32_i8 v3, v32, v3, 0
	v_dot4_i32_i8 v28, v28, v4, v3
	v_bfe_u32 v3, v22, 8, 8
	v_lshlrev_b32_e32 v4, 6, v24
	v_and_or_b32 v3, v4, s11, v3
	v_lshrrev_b32_e32 v4, 1, v25
	v_and_b32_e32 v4, 0x180, v4
	v_cmp_ne_u16_sdwa s[20:21], v4, v15 src0_sel:BYTE_1 src1_sel:DWORD
	v_lshrrev_b16_e32 v4, 7, v4
	v_bfe_i32 v32, v4, 0, 1
	v_cndmask_b32_e64 v4, 0, -1, s[20:21]
	v_lshlrev_b16_e32 v33, 8, v4
	v_or_b32_sdwa v4, v32, v33 dst_sel:DWORD dst_unused:UNUSED_PAD src0_sel:BYTE_0 src1_sel:DWORD
	v_or_b32_sdwa v34, v4, v34 dst_sel:DWORD dst_unused:UNUSED_PAD src0_sel:WORD_0 src1_sel:DWORD
	v_lshrrev_b32_e32 v4, 5, v25
	v_and_b32_e32 v4, 0x180, v4
	v_cmp_ne_u16_sdwa s[20:21], v4, v15 src0_sel:BYTE_1 src1_sel:DWORD
	v_lshrrev_b16_e32 v4, 7, v4
	v_bfe_i32 v37, v4, 0, 1
	v_cndmask_b32_e64 v4, 0, -1, s[20:21]
	v_lshlrev_b16_e32 v38, 8, v4
	v_lshlrev_b32_e32 v3, 3, v3
	v_or_b32_sdwa v4, v37, v38 dst_sel:DWORD dst_unused:UNUSED_PAD src0_sel:BYTE_0 src1_sel:DWORD
	v_or_b32_sdwa v39, v4, v39 dst_sel:DWORD dst_unused:UNUSED_PAD src0_sel:WORD_0 src1_sel:DWORD
	global_load_dwordx2 v[3:4], v3, s[12:13]
	v_lshlrev_b16_e32 v32, 8, v32
	v_cvt_f32_f16_e32 v2, v2
	s_waitcnt vmcnt(0)
	v_xor_b32_e32 v3, v3, v34
	v_and_b32_e32 v34, 0xffffff00, v3
	v_sub_i16 v33, v34, v33 clamp
	v_lshlrev_b16_e32 v34, 8, v3
	v_sub_i16 v32, v34, v32 clamp
	v_perm_b32 v32, v32, v33, s18
	v_and_b32_sdwa v33, v3, s15 dst_sel:DWORD dst_unused:UNUSED_PAD src0_sel:WORD_1 src1_sel:DWORD
	v_lshlrev_b16_sdwa v3, v17, v3 dst_sel:DWORD dst_unused:UNUSED_PAD src0_sel:DWORD src1_sel:WORD_1
	v_sub_i16 v30, v33, v30 clamp
	v_sub_i16 v3, v3, v31 clamp
	v_perm_b32 v3, v3, v30, s18
	v_xor_b32_e32 v4, v4, v39
	v_lshl_or_b32 v3, v3, 16, v32
	v_and_b32_e32 v30, 0xffffff00, v4
	v_lshlrev_b16_e32 v31, 8, v4
	v_lshlrev_b16_e32 v32, 8, v37
	v_sub_i16 v30, v30, v38 clamp
	v_sub_i16 v31, v31, v32 clamp
	v_perm_b32 v30, v31, v30, s18
	v_and_b32_sdwa v31, v4, s15 dst_sel:DWORD dst_unused:UNUSED_PAD src0_sel:WORD_1 src1_sel:DWORD
	v_lshlrev_b16_sdwa v4, v17, v4 dst_sel:DWORD dst_unused:UNUSED_PAD src0_sel:DWORD src1_sel:WORD_1
	v_lshlrev_b16_e32 v32, 8, v36
	v_sub_i16 v31, v31, v35 clamp
	v_sub_i16 v4, v4, v32 clamp
	v_perm_b32 v4, v4, v31, s18
	v_lshl_or_b32 v4, v4, 16, v30
	v_dot4_i32_i8 v3, v3, v5, v28
	v_dot4_i32_i8 v5, v4, v18, v3
	v_bfe_u32 v3, v22, 16, 8
	v_lshlrev_b32_e32 v4, 4, v24
	v_and_or_b32 v3, v4, s11, v3
	v_lshrrev_b32_e32 v4, 9, v25
	v_lshl_or_b32 v4, v26, 21, v4
	v_and_b32_e32 v18, 0x1800180, v4
	v_bfe_u32 v4, v4, 24, 1
	v_cmp_ne_u16_e32 vcc, 0, v4
	v_cmp_ne_u16_sdwa s[20:21], v18, v15 src0_sel:BYTE_1 src1_sel:DWORD
	v_lshrrev_b16_e32 v4, 7, v18
	v_lshrrev_b32_e32 v18, 18, v25
	v_bfe_i32 v22, v4, 0, 1
	v_cndmask_b32_e64 v4, 0, -1, s[20:21]
	v_cndmask_b32_e64 v30, 0, -1, vcc
	v_lshlrev_b16_e32 v28, 8, v4
	v_lshlrev_b16_e32 v30, 8, v30
	v_bfe_i32 v18, v18, 0, 1
	v_or_b32_sdwa v4, v22, v28 dst_sel:DWORD dst_unused:UNUSED_PAD src0_sel:BYTE_0 src1_sel:DWORD
	v_or_b32_sdwa v31, v18, v30 dst_sel:WORD_1 dst_unused:UNUSED_PAD src0_sel:BYTE_0 src1_sel:DWORD
	v_or_b32_sdwa v31, v4, v31 dst_sel:DWORD dst_unused:UNUSED_PAD src0_sel:WORD_0 src1_sel:DWORD
	v_lshrrev_b32_e32 v4, 13, v25
	v_lshl_or_b32 v4, v26, 17, v4
	v_and_b32_e32 v26, 0x1800180, v4
	v_bfe_u32 v4, v4, 24, 1
	v_cmp_ne_u16_e32 vcc, 0, v4
	v_cmp_ne_u16_sdwa s[20:21], v26, v15 src0_sel:BYTE_1 src1_sel:DWORD
	v_lshrrev_b16_e32 v4, 7, v26
	v_lshrrev_b32_e32 v26, 22, v25
	v_bfe_i32 v32, v4, 0, 1
	v_cndmask_b32_e64 v4, 0, -1, s[20:21]
	v_cndmask_b32_e64 v34, 0, -1, vcc
	v_lshlrev_b16_e32 v33, 8, v4
	v_lshlrev_b16_e32 v34, 8, v34
	v_bfe_i32 v26, v26, 0, 1
	v_lshlrev_b32_e32 v3, 3, v3
	v_or_b32_sdwa v4, v32, v33 dst_sel:DWORD dst_unused:UNUSED_PAD src0_sel:BYTE_0 src1_sel:DWORD
	v_or_b32_sdwa v35, v26, v34 dst_sel:WORD_1 dst_unused:UNUSED_PAD src0_sel:BYTE_0 src1_sel:DWORD
	v_or_b32_sdwa v35, v4, v35 dst_sel:DWORD dst_unused:UNUSED_PAD src0_sel:WORD_0 src1_sel:DWORD
	global_load_dwordx2 v[3:4], v3, s[12:13]
	v_lshlrev_b16_e32 v22, 8, v22
	v_lshlrev_b16_e32 v18, 8, v18
	;; [unrolled: 1-line block ×3, first 2 shown]
	s_waitcnt vmcnt(0)
	v_xor_b32_e32 v3, v3, v31
	v_and_b32_e32 v31, 0xffffff00, v3
	v_sub_i16 v28, v31, v28 clamp
	v_lshlrev_b16_e32 v31, 8, v3
	v_sub_i16 v22, v31, v22 clamp
	v_perm_b32 v22, v22, v28, s18
	v_and_b32_sdwa v28, v3, s15 dst_sel:DWORD dst_unused:UNUSED_PAD src0_sel:WORD_1 src1_sel:DWORD
	v_lshlrev_b16_sdwa v3, v17, v3 dst_sel:DWORD dst_unused:UNUSED_PAD src0_sel:DWORD src1_sel:WORD_1
	v_sub_i16 v28, v28, v30 clamp
	v_sub_i16 v3, v3, v18 clamp
	v_perm_b32 v3, v3, v28, s18
	v_xor_b32_e32 v4, v4, v35
	v_lshl_or_b32 v3, v3, 16, v22
	v_and_b32_e32 v18, 0xffffff00, v4
	v_lshlrev_b16_e32 v22, 8, v4
	v_lshlrev_b16_e32 v28, 8, v32
	v_sub_i16 v18, v18, v33 clamp
	v_sub_i16 v22, v22, v28 clamp
	v_perm_b32 v18, v22, v18, s18
	v_and_b32_sdwa v22, v4, s15 dst_sel:DWORD dst_unused:UNUSED_PAD src0_sel:WORD_1 src1_sel:DWORD
	v_lshlrev_b16_sdwa v4, v17, v4 dst_sel:DWORD dst_unused:UNUSED_PAD src0_sel:DWORD src1_sel:WORD_1
	v_sub_i16 v22, v22, v34 clamp
	v_sub_i16 v4, v4, v26 clamp
	v_perm_b32 v4, v4, v22, s18
	v_lshl_or_b32 v4, v4, 16, v18
	v_dot4_i32_i8 v3, v3, v19, 0
	v_dot4_i32_i8 v18, v4, v20, v3
	v_lshrrev_b32_e32 v4, 17, v25
	v_lshrrev_b32_e32 v19, 24, v25
	v_lshl_or_b32 v4, v19, 21, v4
	v_and_b32_e32 v19, 0x1800180, v4
	v_bfe_u32 v4, v4, 24, 1
	v_lshlrev_b32_e32 v3, 2, v24
	v_cmp_ne_u16_e32 vcc, 0, v4
	v_cmp_ne_u16_sdwa s[20:21], v19, v15 src0_sel:BYTE_1 src1_sel:DWORD
	v_lshrrev_b16_e32 v4, 7, v19
	v_and_or_b32 v3, v3, s11, v23
	v_lshrrev_b32_e32 v19, 26, v25
	v_bfe_i32 v20, v4, 0, 1
	v_cndmask_b32_e64 v4, 0, -1, s[20:21]
	v_cndmask_b32_e64 v23, 0, -1, vcc
	v_lshlrev_b16_e32 v22, 8, v4
	v_lshlrev_b16_e32 v23, 8, v23
	v_bfe_i32 v19, v19, 0, 1
	v_or_b32_sdwa v4, v20, v22 dst_sel:DWORD dst_unused:UNUSED_PAD src0_sel:BYTE_0 src1_sel:DWORD
	v_or_b32_sdwa v24, v19, v23 dst_sel:WORD_1 dst_unused:UNUSED_PAD src0_sel:BYTE_0 src1_sel:DWORD
	v_or_b32_sdwa v24, v4, v24 dst_sel:DWORD dst_unused:UNUSED_PAD src0_sel:WORD_0 src1_sel:DWORD
	v_lshrrev_b32_e32 v4, 21, v25
	v_lshrrev_b32_e32 v28, 31, v25
	v_lshrrev_b16_e32 v26, 8, v4
	v_cmp_ne_u16_e32 vcc, 0, v28
	v_lshrrev_b32_e32 v25, 30, v25
	v_lshrrev_b16_e32 v4, 7, v4
	v_bfe_i32 v26, v26, 0, 1
	v_cndmask_b32_e64 v30, 0, -1, vcc
	v_lshlrev_b16_e32 v26, 8, v26
	v_bfe_i32 v28, v4, 0, 1
	v_bfe_i32 v25, v25, 0, 1
	v_lshlrev_b16_e32 v30, 8, v30
	v_lshlrev_b32_e32 v3, 3, v3
	v_or_b32_sdwa v4, v28, v26 dst_sel:DWORD dst_unused:UNUSED_PAD src0_sel:BYTE_0 src1_sel:DWORD
	v_or_b32_sdwa v31, v25, v30 dst_sel:WORD_1 dst_unused:UNUSED_PAD src0_sel:BYTE_0 src1_sel:DWORD
	v_or_b32_sdwa v31, v4, v31 dst_sel:DWORD dst_unused:UNUSED_PAD src0_sel:WORD_0 src1_sel:DWORD
	global_load_dwordx2 v[3:4], v3, s[12:13]
	v_lshlrev_b16_e32 v20, 8, v20
	v_lshlrev_b16_e32 v19, 8, v19
	v_add_co_u32_e32 v6, vcc, 0x1200, v6
	v_addc_co_u32_e32 v7, vcc, 0, v7, vcc
	v_cmp_le_u32_e32 vcc, s7, v13
	s_or_b64 s[0:1], vcc, s[0:1]
	s_waitcnt vmcnt(0)
	v_xor_b32_e32 v3, v3, v24
	v_and_b32_e32 v24, 0xffffff00, v3
	v_sub_i16 v22, v24, v22 clamp
	v_lshlrev_b16_e32 v24, 8, v3
	v_sub_i16 v20, v24, v20 clamp
	v_perm_b32 v20, v20, v22, s18
	v_and_b32_sdwa v22, v3, s15 dst_sel:DWORD dst_unused:UNUSED_PAD src0_sel:WORD_1 src1_sel:DWORD
	v_lshlrev_b16_sdwa v3, v17, v3 dst_sel:DWORD dst_unused:UNUSED_PAD src0_sel:DWORD src1_sel:WORD_1
	v_sub_i16 v22, v22, v23 clamp
	v_sub_i16 v3, v3, v19 clamp
	v_perm_b32 v3, v3, v22, s18
	v_xor_b32_e32 v4, v4, v31
	v_lshl_or_b32 v3, v3, 16, v20
	v_and_b32_e32 v19, 0xffffff00, v4
	v_lshlrev_b16_e32 v20, 8, v4
	v_lshlrev_b16_e32 v22, 8, v28
	v_sub_i16 v19, v19, v26 clamp
	v_sub_i16 v20, v20, v22 clamp
	v_perm_b32 v19, v20, v19, s18
	v_and_b32_sdwa v20, v4, s15 dst_sel:DWORD dst_unused:UNUSED_PAD src0_sel:WORD_1 src1_sel:DWORD
	v_lshlrev_b16_sdwa v4, v17, v4 dst_sel:DWORD dst_unused:UNUSED_PAD src0_sel:DWORD src1_sel:WORD_1
	v_lshlrev_b16_e32 v22, 8, v25
	v_sub_i16 v20, v20, v30 clamp
	v_sub_i16 v4, v4, v22 clamp
	v_perm_b32 v4, v4, v20, s18
	v_lshl_or_b32 v4, v4, 16, v19
	v_dot4_i32_i8 v3, v3, v21, v18
	v_dot4_i32_i8 v3, v4, v29, v3
	v_lshrrev_b32_e32 v4, 4, v27
	v_and_b32_e32 v18, 15, v27
	v_mul_lo_u32 v18, v5, v18
	v_mul_lo_u32 v4, v3, v4
	v_add_u32_e32 v3, v3, v5
	v_lshrrev_b32_e32 v5, 31, v3
	v_add_u32_e32 v3, v3, v5
	v_ashrrev_i32_e32 v3, 1, v3
	v_add3_u32 v3, v4, v18, v3
	v_ashrrev_i32_e32 v4, 31, v3
	v_lshrrev_b32_e32 v4, 30, v4
	v_add_u32_e32 v3, v3, v4
	global_load_ushort v4, v[10:11], off
	v_ashrrev_i32_e32 v3, 2, v3
	v_cvt_f32_i32_e32 v3, v3
	s_waitcnt vmcnt(0)
	v_cvt_f32_f16_e32 v4, v4
	v_mul_f32_e32 v2, v4, v2
	v_fmac_f32_e32 v12, v2, v3
	s_andn2_b64 exec, exec, s[0:1]
	s_cbranch_execnz .LBB184_9
; %bb.10:
	s_or_b64 exec, exec, s[0:1]
.LBB184_11:
	s_or_b64 exec, exec, s[16:17]
	v_cmp_eq_u32_e32 vcc, 0, v1
	s_waitcnt lgkmcnt(0)
	v_cmp_ne_u32_e64 s[0:1], 0, v1
	v_lshlrev_b32_e32 v2, 2, v0
	s_and_saveexec_b64 s[12:13], s[0:1]
; %bb.12:
	v_lshlrev_b32_e32 v1, 8, v1
	s_movk_i32 s0, 0xff00
	v_add3_u32 v1, v1, v2, s0
	ds_write_b32 v1, v12
; %bb.13:
	s_or_b64 exec, exec, s[12:13]
	s_waitcnt lgkmcnt(0)
	s_barrier
	s_and_saveexec_b64 s[0:1], vcc
	s_cbranch_execz .LBB184_16
; %bb.14:
	ds_read_b32 v1, v2
	v_mbcnt_lo_u32_b32 v2, -1, 0
	v_mbcnt_hi_u32_b32 v2, -1, v2
	v_and_b32_e32 v3, 64, v2
	v_add_u32_e32 v3, 64, v3
	v_xor_b32_e32 v4, 32, v2
	v_cmp_lt_i32_e32 vcc, v4, v3
	v_cndmask_b32_e32 v4, v2, v4, vcc
	v_lshlrev_b32_e32 v4, 2, v4
	s_waitcnt lgkmcnt(0)
	v_add_f32_e32 v1, v12, v1
	ds_bpermute_b32 v4, v4, v1
	v_xor_b32_e32 v5, 16, v2
	v_cmp_lt_i32_e32 vcc, v5, v3
	v_cndmask_b32_e32 v5, v2, v5, vcc
	v_lshlrev_b32_e32 v5, 2, v5
	s_waitcnt lgkmcnt(0)
	v_add_f32_e32 v1, v1, v4
	ds_bpermute_b32 v4, v5, v1
	;; [unrolled: 7-line block ×6, first 2 shown]
	s_mov_b32 s1, 0
	v_cmp_eq_u32_e32 vcc, 0, v0
	s_and_b64 exec, exec, vcc
	s_cbranch_execz .LBB184_16
; %bb.15:
	s_load_dwordx2 s[4:5], s[4:5], 0x38
	s_mul_i32 s0, s2, s10
	s_add_i32 s0, s0, s6
	s_mul_i32 s2, s14, s8
	s_add_i32 s0, s0, s2
	s_lshl_b64 s[0:1], s[0:1], 2
	s_waitcnt lgkmcnt(0)
	s_add_u32 s0, s4, s0
	v_add_f32_e32 v0, v1, v2
	s_addc_u32 s1, s5, s1
	v_mov_b32_e32 v1, 0
	global_store_dword v1, v0, s[0:1]
.LBB184_16:
	s_endpgm
	.section	.rodata,"a",@progbits
	.p2align	6, 0x0
	.amdhsa_kernel _ZL13mul_mat_vec_qIL9ggml_type22ELi1ELb0ELb0EEvPKvS2_PKi31ggml_cuda_mm_fusion_args_devicePfj15HIP_vector_typeIjLj3EEjjjS8_jjjS8_jjjj
		.amdhsa_group_segment_fixed_size 256
		.amdhsa_private_segment_fixed_size 0
		.amdhsa_kernarg_size 144
		.amdhsa_user_sgpr_count 6
		.amdhsa_user_sgpr_private_segment_buffer 1
		.amdhsa_user_sgpr_dispatch_ptr 0
		.amdhsa_user_sgpr_queue_ptr 0
		.amdhsa_user_sgpr_kernarg_segment_ptr 1
		.amdhsa_user_sgpr_dispatch_id 0
		.amdhsa_user_sgpr_flat_scratch_init 0
		.amdhsa_user_sgpr_private_segment_size 0
		.amdhsa_uses_dynamic_stack 0
		.amdhsa_system_sgpr_private_segment_wavefront_offset 0
		.amdhsa_system_sgpr_workgroup_id_x 1
		.amdhsa_system_sgpr_workgroup_id_y 1
		.amdhsa_system_sgpr_workgroup_id_z 1
		.amdhsa_system_sgpr_workgroup_info 0
		.amdhsa_system_vgpr_workitem_id 1
		.amdhsa_next_free_vgpr 40
		.amdhsa_next_free_sgpr 28
		.amdhsa_reserve_vcc 1
		.amdhsa_reserve_flat_scratch 0
		.amdhsa_float_round_mode_32 0
		.amdhsa_float_round_mode_16_64 0
		.amdhsa_float_denorm_mode_32 3
		.amdhsa_float_denorm_mode_16_64 3
		.amdhsa_dx10_clamp 1
		.amdhsa_ieee_mode 1
		.amdhsa_fp16_overflow 0
		.amdhsa_exception_fp_ieee_invalid_op 0
		.amdhsa_exception_fp_denorm_src 0
		.amdhsa_exception_fp_ieee_div_zero 0
		.amdhsa_exception_fp_ieee_overflow 0
		.amdhsa_exception_fp_ieee_underflow 0
		.amdhsa_exception_fp_ieee_inexact 0
		.amdhsa_exception_int_div_zero 0
	.end_amdhsa_kernel
	.section	.text._ZL13mul_mat_vec_qIL9ggml_type22ELi1ELb0ELb0EEvPKvS2_PKi31ggml_cuda_mm_fusion_args_devicePfj15HIP_vector_typeIjLj3EEjjjS8_jjjS8_jjjj,"axG",@progbits,_ZL13mul_mat_vec_qIL9ggml_type22ELi1ELb0ELb0EEvPKvS2_PKi31ggml_cuda_mm_fusion_args_devicePfj15HIP_vector_typeIjLj3EEjjjS8_jjjS8_jjjj,comdat
.Lfunc_end184:
	.size	_ZL13mul_mat_vec_qIL9ggml_type22ELi1ELb0ELb0EEvPKvS2_PKi31ggml_cuda_mm_fusion_args_devicePfj15HIP_vector_typeIjLj3EEjjjS8_jjjS8_jjjj, .Lfunc_end184-_ZL13mul_mat_vec_qIL9ggml_type22ELi1ELb0ELb0EEvPKvS2_PKi31ggml_cuda_mm_fusion_args_devicePfj15HIP_vector_typeIjLj3EEjjjS8_jjjS8_jjjj
                                        ; -- End function
	.set _ZL13mul_mat_vec_qIL9ggml_type22ELi1ELb0ELb0EEvPKvS2_PKi31ggml_cuda_mm_fusion_args_devicePfj15HIP_vector_typeIjLj3EEjjjS8_jjjS8_jjjj.num_vgpr, 40
	.set _ZL13mul_mat_vec_qIL9ggml_type22ELi1ELb0ELb0EEvPKvS2_PKi31ggml_cuda_mm_fusion_args_devicePfj15HIP_vector_typeIjLj3EEjjjS8_jjjS8_jjjj.num_agpr, 0
	.set _ZL13mul_mat_vec_qIL9ggml_type22ELi1ELb0ELb0EEvPKvS2_PKi31ggml_cuda_mm_fusion_args_devicePfj15HIP_vector_typeIjLj3EEjjjS8_jjjS8_jjjj.numbered_sgpr, 28
	.set _ZL13mul_mat_vec_qIL9ggml_type22ELi1ELb0ELb0EEvPKvS2_PKi31ggml_cuda_mm_fusion_args_devicePfj15HIP_vector_typeIjLj3EEjjjS8_jjjS8_jjjj.num_named_barrier, 0
	.set _ZL13mul_mat_vec_qIL9ggml_type22ELi1ELb0ELb0EEvPKvS2_PKi31ggml_cuda_mm_fusion_args_devicePfj15HIP_vector_typeIjLj3EEjjjS8_jjjS8_jjjj.private_seg_size, 0
	.set _ZL13mul_mat_vec_qIL9ggml_type22ELi1ELb0ELb0EEvPKvS2_PKi31ggml_cuda_mm_fusion_args_devicePfj15HIP_vector_typeIjLj3EEjjjS8_jjjS8_jjjj.uses_vcc, 1
	.set _ZL13mul_mat_vec_qIL9ggml_type22ELi1ELb0ELb0EEvPKvS2_PKi31ggml_cuda_mm_fusion_args_devicePfj15HIP_vector_typeIjLj3EEjjjS8_jjjS8_jjjj.uses_flat_scratch, 0
	.set _ZL13mul_mat_vec_qIL9ggml_type22ELi1ELb0ELb0EEvPKvS2_PKi31ggml_cuda_mm_fusion_args_devicePfj15HIP_vector_typeIjLj3EEjjjS8_jjjS8_jjjj.has_dyn_sized_stack, 0
	.set _ZL13mul_mat_vec_qIL9ggml_type22ELi1ELb0ELb0EEvPKvS2_PKi31ggml_cuda_mm_fusion_args_devicePfj15HIP_vector_typeIjLj3EEjjjS8_jjjS8_jjjj.has_recursion, 0
	.set _ZL13mul_mat_vec_qIL9ggml_type22ELi1ELb0ELb0EEvPKvS2_PKi31ggml_cuda_mm_fusion_args_devicePfj15HIP_vector_typeIjLj3EEjjjS8_jjjS8_jjjj.has_indirect_call, 0
	.section	.AMDGPU.csdata,"",@progbits
; Kernel info:
; codeLenInByte = 2856
; TotalNumSgprs: 32
; NumVgprs: 40
; ScratchSize: 0
; MemoryBound: 0
; FloatMode: 240
; IeeeMode: 1
; LDSByteSize: 256 bytes/workgroup (compile time only)
; SGPRBlocks: 3
; VGPRBlocks: 9
; NumSGPRsForWavesPerEU: 32
; NumVGPRsForWavesPerEU: 40
; Occupancy: 6
; WaveLimiterHint : 0
; COMPUTE_PGM_RSRC2:SCRATCH_EN: 0
; COMPUTE_PGM_RSRC2:USER_SGPR: 6
; COMPUTE_PGM_RSRC2:TRAP_HANDLER: 0
; COMPUTE_PGM_RSRC2:TGID_X_EN: 1
; COMPUTE_PGM_RSRC2:TGID_Y_EN: 1
; COMPUTE_PGM_RSRC2:TGID_Z_EN: 1
; COMPUTE_PGM_RSRC2:TIDIG_COMP_CNT: 1
	.section	.text._ZL13mul_mat_vec_qIL9ggml_type22ELi2ELb0ELb0EEvPKvS2_PKi31ggml_cuda_mm_fusion_args_devicePfj15HIP_vector_typeIjLj3EEjjjS8_jjjS8_jjjj,"axG",@progbits,_ZL13mul_mat_vec_qIL9ggml_type22ELi2ELb0ELb0EEvPKvS2_PKi31ggml_cuda_mm_fusion_args_devicePfj15HIP_vector_typeIjLj3EEjjjS8_jjjS8_jjjj,comdat
	.globl	_ZL13mul_mat_vec_qIL9ggml_type22ELi2ELb0ELb0EEvPKvS2_PKi31ggml_cuda_mm_fusion_args_devicePfj15HIP_vector_typeIjLj3EEjjjS8_jjjS8_jjjj ; -- Begin function _ZL13mul_mat_vec_qIL9ggml_type22ELi2ELb0ELb0EEvPKvS2_PKi31ggml_cuda_mm_fusion_args_devicePfj15HIP_vector_typeIjLj3EEjjjS8_jjjS8_jjjj
	.p2align	8
	.type	_ZL13mul_mat_vec_qIL9ggml_type22ELi2ELb0ELb0EEvPKvS2_PKi31ggml_cuda_mm_fusion_args_devicePfj15HIP_vector_typeIjLj3EEjjjS8_jjjS8_jjjj,@function
_ZL13mul_mat_vec_qIL9ggml_type22ELi2ELb0ELb0EEvPKvS2_PKi31ggml_cuda_mm_fusion_args_devicePfj15HIP_vector_typeIjLj3EEjjjS8_jjjS8_jjjj: ; @_ZL13mul_mat_vec_qIL9ggml_type22ELi2ELb0ELb0EEvPKvS2_PKi31ggml_cuda_mm_fusion_args_devicePfj15HIP_vector_typeIjLj3EEjjjS8_jjjS8_jjjj
; %bb.0:
	s_load_dword s9, s[4:5], 0x40
	s_load_dwordx4 s[0:3], s[4:5], 0x50
	s_load_dword s25, s[4:5], 0x60
	s_load_dwordx4 s[12:15], s[4:5], 0x68
	s_load_dword s24, s[4:5], 0x78
	s_load_dwordx4 s[16:19], s[4:5], 0x80
	v_lshl_add_u32 v2, v1, 6, v0
	s_waitcnt lgkmcnt(0)
	s_lshr_b32 s9, s9, 8
	v_lshrrev_b32_e32 v22, 3, v2
	s_lshl_b32 s6, s6, 1
	v_cmp_gt_u32_e32 vcc, s9, v22
	v_mov_b32_e32 v19, 0
	v_mov_b32_e32 v20, 0
	;; [unrolled: 1-line block ×4, first 2 shown]
	s_and_saveexec_b64 s[10:11], vcc
	s_cbranch_execz .LBB185_4
; %bb.1:
	s_mul_hi_u32 s3, s3, s7
	s_add_i32 s3, s7, s3
	s_load_dwordx4 s[20:23], s[4:5], 0x0
	s_lshr_b32 s3, s3, s25
	s_mul_i32 s3, s3, s12
	s_mul_hi_u32 s12, s15, s8
	s_add_i32 s12, s8, s12
	s_lshr_b32 s12, s12, s24
	s_mul_i32 s19, s17, s8
	s_mul_i32 s15, s12, s16
	;; [unrolled: 1-line block ×3, first 2 shown]
	s_mul_hi_u32 s12, s19, 36
	s_waitcnt lgkmcnt(0)
	s_add_u32 s16, s22, s16
	s_addc_u32 s17, s23, s12
	s_mul_i32 s12, s13, s7
	s_mul_hi_u32 s13, s12, 36
	s_mul_i32 s12, s12, 36
	s_add_u32 s16, s16, s12
	s_addc_u32 s17, s17, s13
	v_and_b32_e32 v23, 7, v0
	v_mad_u64_u32 v[10:11], s[16:17], v23, 36, s[16:17]
	v_mov_b32_e32 v2, s12
	s_movk_i32 s16, 0x120
	v_mov_b32_e32 v3, s13
	v_mad_u64_u32 v[2:3], s[12:13], v22, s16, v[2:3]
	v_mov_b32_e32 v5, s23
	s_add_i32 s16, s6, 1
	v_mad_u64_u32 v[2:3], s[12:13], s19, 36, v[2:3]
	s_add_i32 s15, s15, s3
	v_lshlrev_b32_e32 v4, 1, v23
	v_mad_u64_u32 v[2:3], s[12:13], v23, 36, v[2:3]
	s_mul_i32 s3, s6, s0
	s_mul_i32 s0, s0, s16
	v_add_co_u32_e32 v2, vcc, s22, v2
	v_addc_co_u32_e32 v3, vcc, v5, v3, vcc
	v_add_co_u32_e32 v12, vcc, 32, v2
	v_mov_b32_e32 v14, s20
	v_mov_b32_e32 v24, 0
	s_add_i32 s3, s15, s3
	s_add_i32 s15, s15, s0
	v_lshl_add_u32 v25, v22, 3, s1
	v_addc_co_u32_e32 v13, vcc, 0, v3, vcc
	s_mov_b64 s[0:1], 0
	s_movk_i32 s16, 0x52
	v_mov_b32_e32 v15, s21
	v_lshlrev_b32_e32 v26, 1, v4
	s_movk_i32 s17, 0x300
	s_movk_i32 s19, 0xff00
	s_mov_b32 s20, 0xc0c0105
	v_mov_b32_e32 v27, 8
	v_mov_b32_e32 v18, 0
	v_mov_b32_e32 v19, 0
	v_mov_b32_e32 v20, 0
	v_mov_b32_e32 v21, 0
.LBB185_2:                              ; =>This Inner Loop Header: Depth=1
	v_add_u32_e32 v16, s3, v22
	v_mad_i64_i32 v[16:17], s[12:13], v16, s16, v[14:15]
	global_load_dword v41, v[12:13], off
	global_load_dwordx4 v[2:5], v[12:13], off offset:-16
	global_load_dwordx4 v[6:9], v[12:13], off offset:-32
	s_getpc_b64 s[12:13]
	s_add_u32 s12, s12, _ZL9iq2s_grid@rel32@lo+4
	s_addc_u32 s13, s13, _ZL9iq2s_grid@rel32@hi+12
	v_add_co_u32_e32 v28, vcc, v16, v26
	v_addc_co_u32_e32 v29, vcc, 0, v17, vcc
	v_add_co_u32_e32 v30, vcc, v16, v23
	global_load_dword v32, v[28:29], off offset:2
	v_addc_co_u32_e32 v31, vcc, 0, v17, vcc
	global_load_ubyte v34, v[30:31], off offset:66
	global_load_dword v35, v[28:29], off offset:34
	global_load_ubyte v37, v[30:31], off offset:74
	s_waitcnt vmcnt(4)
	v_cvt_f32_f16_e32 v38, v6
	global_load_ushort v16, v[16:17], off
	s_waitcnt vmcnt(4)
	v_and_b32_e32 v6, 0xff, v32
	v_lshrrev_b32_e32 v33, 24, v32
	s_waitcnt vmcnt(3)
	v_lshlrev_b32_e32 v28, 8, v34
	v_and_or_b32 v6, v28, s17, v6
	s_waitcnt vmcnt(2)
	v_and_b32_e32 v28, 0xff, v35
	v_lshlrev_b32_e32 v29, 21, v35
	v_lshl_or_b32 v29, v28, 7, v29
	v_and_b32_e32 v30, 0x1800180, v29
	v_bfe_u32 v29, v29, 24, 1
	v_cmp_ne_u16_e32 vcc, 0, v29
	v_cmp_ne_u16_sdwa s[22:23], v30, v24 src0_sel:BYTE_1 src1_sel:DWORD
	v_lshrrev_b16_e32 v29, 7, v30
	v_lshrrev_b32_e32 v30, 2, v35
	v_bfe_i32 v31, v29, 0, 1
	v_cndmask_b32_e64 v29, 0, -1, s[22:23]
	v_cndmask_b32_e64 v40, 0, -1, vcc
	v_lshlrev_b16_e32 v39, 8, v29
	v_lshlrev_b16_e32 v40, 8, v40
	v_bfe_i32 v30, v30, 0, 1
	v_or_b32_sdwa v29, v31, v39 dst_sel:DWORD dst_unused:UNUSED_PAD src0_sel:BYTE_0 src1_sel:DWORD
	v_or_b32_sdwa v42, v30, v40 dst_sel:WORD_1 dst_unused:UNUSED_PAD src0_sel:BYTE_0 src1_sel:DWORD
	v_or_b32_sdwa v42, v29, v42 dst_sel:DWORD dst_unused:UNUSED_PAD src0_sel:WORD_0 src1_sel:DWORD
	v_lshlrev_b32_e32 v29, 17, v35
	v_lshl_or_b32 v28, v28, 3, v29
	v_and_b32_e32 v29, 0x1800180, v28
	v_bfe_u32 v28, v28, 24, 1
	v_cmp_ne_u16_e32 vcc, 0, v28
	v_cmp_ne_u16_sdwa s[22:23], v29, v24 src0_sel:BYTE_1 src1_sel:DWORD
	v_lshrrev_b16_e32 v28, 7, v29
	v_lshrrev_b32_e32 v29, 6, v35
	v_bfe_i32 v43, v28, 0, 1
	v_cndmask_b32_e64 v28, 0, -1, s[22:23]
	v_cndmask_b32_e64 v45, 0, -1, vcc
	v_lshlrev_b16_e32 v44, 8, v28
	v_lshlrev_b16_e32 v45, 8, v45
	v_bfe_i32 v46, v29, 0, 1
	v_lshlrev_b32_e32 v6, 3, v6
	v_or_b32_sdwa v28, v43, v44 dst_sel:DWORD dst_unused:UNUSED_PAD src0_sel:BYTE_0 src1_sel:DWORD
	v_or_b32_sdwa v29, v46, v45 dst_sel:WORD_1 dst_unused:UNUSED_PAD src0_sel:BYTE_0 src1_sel:DWORD
	v_or_b32_sdwa v47, v28, v29 dst_sel:DWORD dst_unused:UNUSED_PAD src0_sel:WORD_0 src1_sel:DWORD
	global_load_dwordx2 v[28:29], v6, s[12:13]
	v_lshlrev_b16_e32 v31, 8, v31
	v_lshlrev_b16_e32 v30, 8, v30
	v_lshrrev_b32_e32 v36, 16, v35
	s_waitcnt vmcnt(0)
	v_xor_b32_e32 v6, v28, v42
	v_and_b32_e32 v28, 0xffffff00, v6
	v_sub_i16 v28, v28, v39 clamp
	v_lshlrev_b16_e32 v39, 8, v6
	v_sub_i16 v31, v39, v31 clamp
	v_perm_b32 v28, v31, v28, s20
	v_and_b32_sdwa v31, v6, s19 dst_sel:DWORD dst_unused:UNUSED_PAD src0_sel:WORD_1 src1_sel:DWORD
	v_lshlrev_b16_sdwa v6, v27, v6 dst_sel:DWORD dst_unused:UNUSED_PAD src0_sel:DWORD src1_sel:WORD_1
	v_sub_i16 v31, v31, v40 clamp
	v_sub_i16 v6, v6, v30 clamp
	v_perm_b32 v6, v6, v31, s20
	v_lshl_or_b32 v6, v6, 16, v28
	v_xor_b32_e32 v28, v29, v47
	v_and_b32_e32 v29, 0xffffff00, v28
	v_lshlrev_b16_e32 v30, 8, v28
	v_lshlrev_b16_e32 v31, 8, v43
	v_sub_i16 v29, v29, v44 clamp
	v_sub_i16 v30, v30, v31 clamp
	v_perm_b32 v29, v30, v29, s20
	v_and_b32_sdwa v30, v28, s19 dst_sel:DWORD dst_unused:UNUSED_PAD src0_sel:WORD_1 src1_sel:DWORD
	v_lshlrev_b16_sdwa v28, v27, v28 dst_sel:DWORD dst_unused:UNUSED_PAD src0_sel:DWORD src1_sel:WORD_1
	v_lshlrev_b16_e32 v31, 8, v46
	v_sub_i16 v30, v30, v45 clamp
	v_sub_i16 v28, v28, v31 clamp
	v_perm_b32 v28, v28, v30, s20
	v_lshl_or_b32 v28, v28, 16, v29
	v_dot4_i32_i8 v29, v6, v7, 0
	v_dot4_i32_i8 v31, v28, v8, v29
	v_bfe_u32 v29, v32, 8, 8
	v_lshlrev_b32_e32 v30, 6, v34
	v_and_or_b32 v29, v30, s17, v29
	v_lshrrev_b32_e32 v30, 1, v35
	v_and_b32_e32 v30, 0x180, v30
	v_lshrrev_b32_e32 v39, 11, v35
	v_cmp_ne_u16_sdwa s[22:23], v30, v24 src0_sel:BYTE_1 src1_sel:DWORD
	v_lshrrev_b16_e32 v30, 7, v30
	v_lshrrev_b32_e32 v40, 10, v35
	v_bfe_i32 v42, v30, 0, 1
	v_cndmask_b32_e64 v30, 0, -1, s[22:23]
	v_bfe_i32 v39, v39, 0, 1
	v_lshlrev_b16_e32 v43, 8, v30
	v_lshlrev_b16_e32 v39, 8, v39
	v_bfe_i32 v40, v40, 0, 1
	v_or_b32_sdwa v30, v42, v43 dst_sel:DWORD dst_unused:UNUSED_PAD src0_sel:BYTE_0 src1_sel:DWORD
	v_or_b32_sdwa v44, v40, v39 dst_sel:WORD_1 dst_unused:UNUSED_PAD src0_sel:BYTE_0 src1_sel:DWORD
	v_or_b32_sdwa v44, v30, v44 dst_sel:DWORD dst_unused:UNUSED_PAD src0_sel:WORD_0 src1_sel:DWORD
	v_lshrrev_b32_e32 v30, 5, v35
	v_and_b32_e32 v30, 0x180, v30
	v_lshrrev_b32_e32 v45, 15, v35
	v_cmp_ne_u16_sdwa s[22:23], v30, v24 src0_sel:BYTE_1 src1_sel:DWORD
	v_lshrrev_b16_e32 v30, 7, v30
	v_lshrrev_b32_e32 v46, 14, v35
	v_bfe_i32 v47, v30, 0, 1
	v_cndmask_b32_e64 v30, 0, -1, s[22:23]
	v_bfe_i32 v45, v45, 0, 1
	v_lshlrev_b16_e32 v48, 8, v30
	v_lshlrev_b16_e32 v45, 8, v45
	v_bfe_i32 v46, v46, 0, 1
	v_lshlrev_b32_e32 v29, 3, v29
	v_or_b32_sdwa v30, v47, v48 dst_sel:DWORD dst_unused:UNUSED_PAD src0_sel:BYTE_0 src1_sel:DWORD
	v_or_b32_sdwa v49, v46, v45 dst_sel:WORD_1 dst_unused:UNUSED_PAD src0_sel:BYTE_0 src1_sel:DWORD
	v_or_b32_sdwa v49, v30, v49 dst_sel:DWORD dst_unused:UNUSED_PAD src0_sel:WORD_0 src1_sel:DWORD
	global_load_dwordx2 v[29:30], v29, s[12:13]
	v_lshlrev_b16_e32 v42, 8, v42
	v_lshlrev_b16_e32 v40, 8, v40
	s_waitcnt vmcnt(0)
	v_xor_b32_e32 v29, v29, v44
	v_and_b32_e32 v44, 0xffffff00, v29
	v_sub_i16 v43, v44, v43 clamp
	v_lshlrev_b16_e32 v44, 8, v29
	v_sub_i16 v42, v44, v42 clamp
	v_perm_b32 v42, v42, v43, s20
	v_and_b32_sdwa v43, v29, s19 dst_sel:DWORD dst_unused:UNUSED_PAD src0_sel:WORD_1 src1_sel:DWORD
	v_lshlrev_b16_sdwa v29, v27, v29 dst_sel:DWORD dst_unused:UNUSED_PAD src0_sel:DWORD src1_sel:WORD_1
	v_sub_i16 v39, v43, v39 clamp
	v_sub_i16 v29, v29, v40 clamp
	v_perm_b32 v29, v29, v39, s20
	v_xor_b32_e32 v30, v30, v49
	v_lshl_or_b32 v29, v29, 16, v42
	v_and_b32_e32 v39, 0xffffff00, v30
	v_lshlrev_b16_e32 v40, 8, v30
	v_lshlrev_b16_e32 v42, 8, v47
	v_sub_i16 v39, v39, v48 clamp
	v_sub_i16 v40, v40, v42 clamp
	v_perm_b32 v39, v40, v39, s20
	v_and_b32_sdwa v40, v30, s19 dst_sel:DWORD dst_unused:UNUSED_PAD src0_sel:WORD_1 src1_sel:DWORD
	v_lshlrev_b16_sdwa v30, v27, v30 dst_sel:DWORD dst_unused:UNUSED_PAD src0_sel:DWORD src1_sel:WORD_1
	v_lshlrev_b16_e32 v42, 8, v46
	v_sub_i16 v40, v40, v45 clamp
	v_sub_i16 v30, v30, v42 clamp
	v_perm_b32 v30, v30, v40, s20
	v_lshl_or_b32 v30, v30, 16, v39
	v_dot4_i32_i8 v31, v29, v9, v31
	v_dot4_i32_i8 v39, v30, v2, v31
	v_bfe_u32 v31, v32, 16, 8
	v_lshlrev_b32_e32 v32, 4, v34
	v_and_or_b32 v31, v32, s17, v31
	v_lshrrev_b32_e32 v32, 9, v35
	v_lshl_or_b32 v32, v36, 21, v32
	v_and_b32_e32 v40, 0x1800180, v32
	v_bfe_u32 v32, v32, 24, 1
	v_cmp_ne_u16_e32 vcc, 0, v32
	v_cmp_ne_u16_sdwa s[22:23], v40, v24 src0_sel:BYTE_1 src1_sel:DWORD
	v_lshrrev_b16_e32 v32, 7, v40
	v_lshrrev_b32_e32 v40, 18, v35
	v_bfe_i32 v42, v32, 0, 1
	v_cndmask_b32_e64 v32, 0, -1, s[22:23]
	v_cndmask_b32_e64 v44, 0, -1, vcc
	v_lshlrev_b16_e32 v43, 8, v32
	v_lshlrev_b16_e32 v44, 8, v44
	v_bfe_i32 v40, v40, 0, 1
	v_or_b32_sdwa v32, v42, v43 dst_sel:DWORD dst_unused:UNUSED_PAD src0_sel:BYTE_0 src1_sel:DWORD
	v_or_b32_sdwa v45, v40, v44 dst_sel:WORD_1 dst_unused:UNUSED_PAD src0_sel:BYTE_0 src1_sel:DWORD
	v_or_b32_sdwa v45, v32, v45 dst_sel:DWORD dst_unused:UNUSED_PAD src0_sel:WORD_0 src1_sel:DWORD
	v_lshrrev_b32_e32 v32, 13, v35
	v_lshl_or_b32 v32, v36, 17, v32
	v_and_b32_e32 v36, 0x1800180, v32
	v_bfe_u32 v32, v32, 24, 1
	v_cmp_ne_u16_e32 vcc, 0, v32
	v_cmp_ne_u16_sdwa s[22:23], v36, v24 src0_sel:BYTE_1 src1_sel:DWORD
	v_lshrrev_b16_e32 v32, 7, v36
	v_lshrrev_b32_e32 v36, 22, v35
	v_bfe_i32 v46, v32, 0, 1
	v_cndmask_b32_e64 v32, 0, -1, s[22:23]
	v_cndmask_b32_e64 v48, 0, -1, vcc
	v_lshlrev_b16_e32 v47, 8, v32
	v_lshlrev_b16_e32 v48, 8, v48
	v_bfe_i32 v36, v36, 0, 1
	v_lshlrev_b32_e32 v31, 3, v31
	v_or_b32_sdwa v32, v46, v47 dst_sel:DWORD dst_unused:UNUSED_PAD src0_sel:BYTE_0 src1_sel:DWORD
	v_or_b32_sdwa v49, v36, v48 dst_sel:WORD_1 dst_unused:UNUSED_PAD src0_sel:BYTE_0 src1_sel:DWORD
	v_or_b32_sdwa v49, v32, v49 dst_sel:DWORD dst_unused:UNUSED_PAD src0_sel:WORD_0 src1_sel:DWORD
	global_load_dwordx2 v[31:32], v31, s[12:13]
	v_lshlrev_b16_e32 v42, 8, v42
	v_lshlrev_b16_e32 v40, 8, v40
	;; [unrolled: 1-line block ×3, first 2 shown]
	v_lshlrev_b32_e32 v34, 2, v34
	v_and_or_b32 v33, v34, s17, v33
	v_lshrrev_b32_e32 v34, 17, v35
	v_lshlrev_b32_e32 v33, 3, v33
	s_waitcnt vmcnt(0)
	v_xor_b32_e32 v31, v31, v45
	v_and_b32_e32 v45, 0xffffff00, v31
	v_sub_i16 v43, v45, v43 clamp
	v_lshlrev_b16_e32 v45, 8, v31
	v_sub_i16 v42, v45, v42 clamp
	v_perm_b32 v42, v42, v43, s20
	v_and_b32_sdwa v43, v31, s19 dst_sel:DWORD dst_unused:UNUSED_PAD src0_sel:WORD_1 src1_sel:DWORD
	v_lshlrev_b16_sdwa v31, v27, v31 dst_sel:DWORD dst_unused:UNUSED_PAD src0_sel:DWORD src1_sel:WORD_1
	v_sub_i16 v43, v43, v44 clamp
	v_sub_i16 v31, v31, v40 clamp
	v_perm_b32 v31, v31, v43, s20
	v_xor_b32_e32 v32, v32, v49
	v_lshl_or_b32 v31, v31, 16, v42
	v_and_b32_e32 v40, 0xffffff00, v32
	v_lshlrev_b16_e32 v42, 8, v32
	v_lshlrev_b16_e32 v43, 8, v46
	v_sub_i16 v40, v40, v47 clamp
	v_sub_i16 v42, v42, v43 clamp
	v_perm_b32 v40, v42, v40, s20
	v_and_b32_sdwa v42, v32, s19 dst_sel:DWORD dst_unused:UNUSED_PAD src0_sel:WORD_1 src1_sel:DWORD
	v_lshlrev_b16_sdwa v32, v27, v32 dst_sel:DWORD dst_unused:UNUSED_PAD src0_sel:DWORD src1_sel:WORD_1
	v_sub_i16 v42, v42, v48 clamp
	v_sub_i16 v32, v32, v36 clamp
	v_perm_b32 v32, v32, v42, s20
	v_lshl_or_b32 v32, v32, 16, v40
	v_lshrrev_b32_e32 v40, 24, v35
	v_lshl_or_b32 v34, v40, 21, v34
	v_and_b32_e32 v40, 0x1800180, v34
	v_bfe_u32 v34, v34, 24, 1
	v_cmp_ne_u16_e32 vcc, 0, v34
	v_cmp_ne_u16_sdwa s[22:23], v40, v24 src0_sel:BYTE_1 src1_sel:DWORD
	v_lshrrev_b16_e32 v34, 7, v40
	v_lshrrev_b32_e32 v40, 26, v35
	v_bfe_i32 v42, v34, 0, 1
	v_cndmask_b32_e64 v34, 0, -1, s[22:23]
	v_cndmask_b32_e64 v44, 0, -1, vcc
	v_lshlrev_b16_e32 v43, 8, v34
	v_lshlrev_b16_e32 v44, 8, v44
	v_bfe_i32 v40, v40, 0, 1
	v_or_b32_sdwa v34, v42, v43 dst_sel:DWORD dst_unused:UNUSED_PAD src0_sel:BYTE_0 src1_sel:DWORD
	v_or_b32_sdwa v45, v40, v44 dst_sel:WORD_1 dst_unused:UNUSED_PAD src0_sel:BYTE_0 src1_sel:DWORD
	v_or_b32_sdwa v45, v34, v45 dst_sel:DWORD dst_unused:UNUSED_PAD src0_sel:WORD_0 src1_sel:DWORD
	v_lshrrev_b32_e32 v34, 21, v35
	v_lshrrev_b32_e32 v47, 31, v35
	v_lshrrev_b16_e32 v46, 8, v34
	v_cmp_ne_u16_e32 vcc, 0, v47
	v_lshrrev_b32_e32 v35, 30, v35
	v_lshrrev_b16_e32 v34, 7, v34
	v_bfe_i32 v46, v46, 0, 1
	v_bfe_i32 v48, v35, 0, 1
	v_cndmask_b32_e64 v35, 0, -1, vcc
	v_lshlrev_b16_e32 v46, 8, v46
	v_bfe_i32 v47, v34, 0, 1
	v_lshlrev_b16_e32 v49, 8, v35
	v_or_b32_sdwa v34, v47, v46 dst_sel:DWORD dst_unused:UNUSED_PAD src0_sel:BYTE_0 src1_sel:DWORD
	v_or_b32_sdwa v35, v48, v49 dst_sel:WORD_1 dst_unused:UNUSED_PAD src0_sel:BYTE_0 src1_sel:DWORD
	v_or_b32_sdwa v50, v34, v35 dst_sel:DWORD dst_unused:UNUSED_PAD src0_sel:WORD_0 src1_sel:DWORD
	global_load_dwordx2 v[34:35], v33, s[12:13]
	v_lshlrev_b16_e32 v42, 8, v42
	v_lshlrev_b16_e32 v40, 8, v40
	v_dot4_i32_i8 v36, v31, v3, 0
	v_dot4_i32_i8 v36, v32, v4, v36
	s_waitcnt vmcnt(0)
	v_xor_b32_e32 v33, v34, v45
	v_and_b32_e32 v34, 0xffffff00, v33
	v_sub_i16 v34, v34, v43 clamp
	v_lshlrev_b16_e32 v43, 8, v33
	v_sub_i16 v42, v43, v42 clamp
	v_perm_b32 v34, v42, v34, s20
	v_and_b32_sdwa v42, v33, s19 dst_sel:DWORD dst_unused:UNUSED_PAD src0_sel:WORD_1 src1_sel:DWORD
	v_lshlrev_b16_sdwa v33, v27, v33 dst_sel:DWORD dst_unused:UNUSED_PAD src0_sel:DWORD src1_sel:WORD_1
	v_sub_i16 v42, v42, v44 clamp
	v_sub_i16 v33, v33, v40 clamp
	v_perm_b32 v33, v33, v42, s20
	v_lshl_or_b32 v34, v33, 16, v34
	v_xor_b32_e32 v33, v35, v50
	v_and_b32_e32 v35, 0xffffff00, v33
	v_lshlrev_b16_e32 v40, 8, v33
	v_lshlrev_b16_e32 v42, 8, v47
	v_sub_i16 v35, v35, v46 clamp
	v_sub_i16 v40, v40, v42 clamp
	v_perm_b32 v35, v40, v35, s20
	v_and_b32_sdwa v40, v33, s19 dst_sel:DWORD dst_unused:UNUSED_PAD src0_sel:WORD_1 src1_sel:DWORD
	v_lshlrev_b16_sdwa v33, v27, v33 dst_sel:DWORD dst_unused:UNUSED_PAD src0_sel:DWORD src1_sel:WORD_1
	v_lshlrev_b16_e32 v42, 8, v48
	v_sub_i16 v40, v40, v49 clamp
	v_sub_i16 v33, v33, v42 clamp
	v_perm_b32 v33, v33, v40, s20
	v_lshl_or_b32 v35, v33, 16, v35
	v_dot4_i32_i8 v33, v34, v5, v36
	v_dot4_i32_i8 v33, v35, v41, v33
	v_lshrrev_b32_e32 v36, 4, v37
	v_and_b32_e32 v37, 15, v37
	v_mul_lo_u32 v40, v39, v37
	v_mul_lo_u32 v42, v33, v36
	v_add_u32_e32 v33, v33, v39
	v_lshrrev_b32_e32 v39, 31, v33
	v_add_u32_e32 v33, v33, v39
	v_ashrrev_i32_e32 v33, 1, v33
	v_add3_u32 v33, v42, v40, v33
	v_ashrrev_i32_e32 v39, 31, v33
	v_lshrrev_b32_e32 v39, 30, v39
	v_add_u32_e32 v33, v33, v39
	v_ashrrev_i32_e32 v39, 2, v33
	v_cvt_f32_f16_e32 v33, v16
	v_cvt_f32_i32_e32 v17, v39
	v_mul_f32_e32 v16, v33, v38
	v_fmac_f32_e32 v21, v16, v17
	v_add_u32_e32 v16, s15, v22
	v_mad_i64_i32 v[16:17], s[22:23], v16, s16, v[14:15]
	v_add_u32_e32 v22, 16, v22
	v_add_co_u32_e32 v39, vcc, v16, v26
	v_addc_co_u32_e32 v40, vcc, 0, v17, vcc
	v_add_co_u32_e32 v42, vcc, v16, v23
	global_load_dword v44, v[39:40], off offset:2
	v_addc_co_u32_e32 v43, vcc, 0, v17, vcc
	global_load_ubyte v46, v[42:43], off offset:66
	global_load_dword v47, v[39:40], off offset:34
	global_load_ubyte v49, v[42:43], off offset:74
	s_waitcnt vmcnt(3)
	v_and_b32_e32 v39, 0xff, v44
	global_load_ushort v16, v[16:17], off
	s_waitcnt vmcnt(3)
	v_lshlrev_b32_e32 v40, 8, v46
	v_and_or_b32 v39, v40, s17, v39
	s_waitcnt vmcnt(2)
	v_and_b32_e32 v40, 0xff, v47
	v_lshlrev_b32_e32 v42, 21, v47
	v_lshl_or_b32 v42, v40, 7, v42
	v_and_b32_e32 v43, 0x1800180, v42
	v_bfe_u32 v42, v42, 24, 1
	v_cmp_ne_u16_e32 vcc, 0, v42
	v_cmp_ne_u16_sdwa s[22:23], v43, v24 src0_sel:BYTE_1 src1_sel:DWORD
	v_lshrrev_b16_e32 v42, 7, v43
	v_lshrrev_b32_e32 v43, 2, v47
	v_cndmask_b32_e64 v50, 0, -1, s[22:23]
	v_cndmask_b32_e64 v52, 0, -1, vcc
	v_bfe_i32 v42, v42, 0, 1
	v_lshlrev_b16_e32 v50, 8, v50
	v_lshlrev_b16_e32 v52, 8, v52
	v_bfe_i32 v43, v43, 0, 1
	v_or_b32_sdwa v51, v42, v50 dst_sel:DWORD dst_unused:UNUSED_PAD src0_sel:BYTE_0 src1_sel:DWORD
	v_or_b32_sdwa v53, v43, v52 dst_sel:WORD_1 dst_unused:UNUSED_PAD src0_sel:BYTE_0 src1_sel:DWORD
	v_or_b32_sdwa v51, v51, v53 dst_sel:DWORD dst_unused:UNUSED_PAD src0_sel:WORD_0 src1_sel:DWORD
	v_lshlrev_b32_e32 v53, 17, v47
	v_lshl_or_b32 v40, v40, 3, v53
	v_and_b32_e32 v53, 0x1800180, v40
	v_bfe_u32 v40, v40, 24, 1
	v_cmp_ne_u16_e32 vcc, 0, v40
	v_cmp_ne_u16_sdwa s[22:23], v53, v24 src0_sel:BYTE_1 src1_sel:DWORD
	v_lshrrev_b16_e32 v40, 7, v53
	v_lshrrev_b32_e32 v53, 6, v47
	v_bfe_i32 v54, v40, 0, 1
	v_cndmask_b32_e64 v40, 0, -1, s[22:23]
	v_cndmask_b32_e64 v56, 0, -1, vcc
	v_lshlrev_b16_e32 v55, 8, v40
	v_lshlrev_b16_e32 v56, 8, v56
	v_bfe_i32 v53, v53, 0, 1
	v_lshlrev_b32_e32 v39, 3, v39
	v_or_b32_sdwa v40, v54, v55 dst_sel:DWORD dst_unused:UNUSED_PAD src0_sel:BYTE_0 src1_sel:DWORD
	v_or_b32_sdwa v57, v53, v56 dst_sel:WORD_1 dst_unused:UNUSED_PAD src0_sel:BYTE_0 src1_sel:DWORD
	v_or_b32_sdwa v57, v40, v57 dst_sel:DWORD dst_unused:UNUSED_PAD src0_sel:WORD_0 src1_sel:DWORD
	global_load_dwordx2 v[39:40], v39, s[12:13]
	v_lshlrev_b16_e32 v42, 8, v42
	v_lshlrev_b16_e32 v43, 8, v43
	v_lshrrev_b32_e32 v48, 16, v47
	v_lshrrev_b32_e32 v45, 24, v44
	s_waitcnt vmcnt(1)
	v_cvt_f32_f16_e32 v16, v16
	v_mul_f32_e32 v17, v16, v38
	s_waitcnt vmcnt(0)
	v_xor_b32_e32 v39, v39, v51
	v_and_b32_e32 v51, 0xffffff00, v39
	v_sub_i16 v50, v51, v50 clamp
	v_lshlrev_b16_e32 v51, 8, v39
	v_sub_i16 v42, v51, v42 clamp
	v_perm_b32 v42, v42, v50, s20
	v_and_b32_sdwa v50, v39, s19 dst_sel:DWORD dst_unused:UNUSED_PAD src0_sel:WORD_1 src1_sel:DWORD
	v_lshlrev_b16_sdwa v39, v27, v39 dst_sel:DWORD dst_unused:UNUSED_PAD src0_sel:DWORD src1_sel:WORD_1
	v_sub_i16 v50, v50, v52 clamp
	v_sub_i16 v39, v39, v43 clamp
	v_perm_b32 v39, v39, v50, s20
	v_xor_b32_e32 v40, v40, v57
	v_lshl_or_b32 v39, v39, 16, v42
	v_and_b32_e32 v42, 0xffffff00, v40
	v_lshlrev_b16_e32 v43, 8, v40
	v_lshlrev_b16_e32 v50, 8, v54
	v_sub_i16 v42, v42, v55 clamp
	v_sub_i16 v43, v43, v50 clamp
	v_perm_b32 v42, v43, v42, s20
	v_and_b32_sdwa v43, v40, s19 dst_sel:DWORD dst_unused:UNUSED_PAD src0_sel:WORD_1 src1_sel:DWORD
	v_lshlrev_b16_sdwa v40, v27, v40 dst_sel:DWORD dst_unused:UNUSED_PAD src0_sel:DWORD src1_sel:WORD_1
	v_lshlrev_b16_e32 v50, 8, v53
	v_sub_i16 v43, v43, v56 clamp
	v_sub_i16 v40, v40, v50 clamp
	v_perm_b32 v40, v40, v43, s20
	v_lshl_or_b32 v40, v40, 16, v42
	v_dot4_i32_i8 v7, v39, v7, 0
	v_dot4_i32_i8 v42, v40, v8, v7
	v_bfe_u32 v7, v44, 8, 8
	v_lshlrev_b32_e32 v8, 6, v46
	v_and_or_b32 v7, v8, s17, v7
	v_lshrrev_b32_e32 v8, 1, v47
	v_and_b32_e32 v8, 0x180, v8
	v_lshrrev_b32_e32 v43, 11, v47
	v_cmp_ne_u16_sdwa s[22:23], v8, v24 src0_sel:BYTE_1 src1_sel:DWORD
	v_lshrrev_b16_e32 v8, 7, v8
	v_lshrrev_b32_e32 v50, 10, v47
	v_bfe_i32 v51, v8, 0, 1
	v_cndmask_b32_e64 v8, 0, -1, s[22:23]
	v_bfe_i32 v43, v43, 0, 1
	v_lshlrev_b16_e32 v52, 8, v8
	v_lshlrev_b16_e32 v43, 8, v43
	v_bfe_i32 v50, v50, 0, 1
	v_or_b32_sdwa v8, v51, v52 dst_sel:DWORD dst_unused:UNUSED_PAD src0_sel:BYTE_0 src1_sel:DWORD
	v_or_b32_sdwa v53, v50, v43 dst_sel:WORD_1 dst_unused:UNUSED_PAD src0_sel:BYTE_0 src1_sel:DWORD
	v_or_b32_sdwa v53, v8, v53 dst_sel:DWORD dst_unused:UNUSED_PAD src0_sel:WORD_0 src1_sel:DWORD
	v_lshrrev_b32_e32 v8, 5, v47
	v_and_b32_e32 v8, 0x180, v8
	v_lshrrev_b32_e32 v54, 15, v47
	v_cmp_ne_u16_sdwa s[22:23], v8, v24 src0_sel:BYTE_1 src1_sel:DWORD
	v_lshrrev_b16_e32 v8, 7, v8
	v_lshrrev_b32_e32 v55, 14, v47
	v_bfe_i32 v56, v8, 0, 1
	v_cndmask_b32_e64 v8, 0, -1, s[22:23]
	v_bfe_i32 v54, v54, 0, 1
	v_lshlrev_b16_e32 v57, 8, v8
	v_lshlrev_b16_e32 v54, 8, v54
	v_bfe_i32 v55, v55, 0, 1
	v_lshlrev_b32_e32 v7, 3, v7
	v_or_b32_sdwa v8, v56, v57 dst_sel:DWORD dst_unused:UNUSED_PAD src0_sel:BYTE_0 src1_sel:DWORD
	v_or_b32_sdwa v58, v55, v54 dst_sel:WORD_1 dst_unused:UNUSED_PAD src0_sel:BYTE_0 src1_sel:DWORD
	v_or_b32_sdwa v58, v8, v58 dst_sel:DWORD dst_unused:UNUSED_PAD src0_sel:WORD_0 src1_sel:DWORD
	global_load_dwordx2 v[7:8], v7, s[12:13]
	v_lshlrev_b16_e32 v51, 8, v51
	v_lshlrev_b16_e32 v50, 8, v50
	s_waitcnt vmcnt(0)
	v_xor_b32_e32 v7, v7, v53
	v_and_b32_e32 v53, 0xffffff00, v7
	v_sub_i16 v52, v53, v52 clamp
	v_lshlrev_b16_e32 v53, 8, v7
	v_sub_i16 v51, v53, v51 clamp
	v_perm_b32 v51, v51, v52, s20
	v_and_b32_sdwa v52, v7, s19 dst_sel:DWORD dst_unused:UNUSED_PAD src0_sel:WORD_1 src1_sel:DWORD
	v_lshlrev_b16_sdwa v7, v27, v7 dst_sel:DWORD dst_unused:UNUSED_PAD src0_sel:DWORD src1_sel:WORD_1
	v_sub_i16 v43, v52, v43 clamp
	v_sub_i16 v7, v7, v50 clamp
	v_perm_b32 v7, v7, v43, s20
	v_xor_b32_e32 v8, v8, v58
	v_lshl_or_b32 v7, v7, 16, v51
	v_and_b32_e32 v43, 0xffffff00, v8
	v_lshlrev_b16_e32 v50, 8, v8
	v_lshlrev_b16_e32 v51, 8, v56
	v_sub_i16 v43, v43, v57 clamp
	v_sub_i16 v50, v50, v51 clamp
	v_perm_b32 v43, v50, v43, s20
	v_and_b32_sdwa v50, v8, s19 dst_sel:DWORD dst_unused:UNUSED_PAD src0_sel:WORD_1 src1_sel:DWORD
	v_lshlrev_b16_sdwa v8, v27, v8 dst_sel:DWORD dst_unused:UNUSED_PAD src0_sel:DWORD src1_sel:WORD_1
	v_lshlrev_b16_e32 v51, 8, v55
	v_sub_i16 v50, v50, v54 clamp
	v_sub_i16 v8, v8, v51 clamp
	v_perm_b32 v8, v8, v50, s20
	v_lshl_or_b32 v8, v8, 16, v43
	v_dot4_i32_i8 v9, v7, v9, v42
	v_dot4_i32_i8 v50, v8, v2, v9
	v_bfe_u32 v2, v44, 16, 8
	v_lshlrev_b32_e32 v9, 4, v46
	v_and_or_b32 v2, v9, s17, v2
	v_lshrrev_b32_e32 v9, 9, v47
	v_lshl_or_b32 v9, v48, 21, v9
	v_and_b32_e32 v42, 0x1800180, v9
	v_bfe_u32 v9, v9, 24, 1
	v_cmp_ne_u16_e32 vcc, 0, v9
	v_cmp_ne_u16_sdwa s[22:23], v42, v24 src0_sel:BYTE_1 src1_sel:DWORD
	v_lshrrev_b16_e32 v9, 7, v42
	v_lshrrev_b32_e32 v42, 18, v47
	v_cndmask_b32_e64 v43, 0, -1, s[22:23]
	v_cndmask_b32_e64 v51, 0, -1, vcc
	v_bfe_i32 v9, v9, 0, 1
	v_lshlrev_b16_e32 v44, 8, v43
	v_lshlrev_b16_e32 v51, 8, v51
	v_bfe_i32 v52, v42, 0, 1
	v_or_b32_sdwa v43, v9, v44 dst_sel:DWORD dst_unused:UNUSED_PAD src0_sel:BYTE_0 src1_sel:DWORD
	v_or_b32_sdwa v42, v52, v51 dst_sel:WORD_1 dst_unused:UNUSED_PAD src0_sel:BYTE_0 src1_sel:DWORD
	v_or_b32_sdwa v53, v43, v42 dst_sel:DWORD dst_unused:UNUSED_PAD src0_sel:WORD_0 src1_sel:DWORD
	v_lshrrev_b32_e32 v42, 13, v47
	v_lshl_or_b32 v42, v48, 17, v42
	v_and_b32_e32 v43, 0x1800180, v42
	v_bfe_u32 v42, v42, 24, 1
	v_cmp_ne_u16_e32 vcc, 0, v42
	v_cmp_ne_u16_sdwa s[22:23], v43, v24 src0_sel:BYTE_1 src1_sel:DWORD
	v_lshrrev_b16_e32 v42, 7, v43
	v_lshrrev_b32_e32 v43, 22, v47
	v_bfe_i32 v48, v42, 0, 1
	v_cndmask_b32_e64 v42, 0, -1, s[22:23]
	v_cndmask_b32_e64 v55, 0, -1, vcc
	v_lshlrev_b16_e32 v54, 8, v42
	v_lshlrev_b16_e32 v55, 8, v55
	v_bfe_i32 v56, v43, 0, 1
	v_lshlrev_b32_e32 v2, 3, v2
	v_or_b32_sdwa v42, v48, v54 dst_sel:DWORD dst_unused:UNUSED_PAD src0_sel:BYTE_0 src1_sel:DWORD
	v_or_b32_sdwa v43, v56, v55 dst_sel:WORD_1 dst_unused:UNUSED_PAD src0_sel:BYTE_0 src1_sel:DWORD
	v_or_b32_sdwa v57, v42, v43 dst_sel:DWORD dst_unused:UNUSED_PAD src0_sel:WORD_0 src1_sel:DWORD
	global_load_dwordx2 v[42:43], v2, s[12:13]
	v_lshlrev_b16_e32 v9, 8, v9
	s_waitcnt vmcnt(0)
	v_xor_b32_e32 v2, v42, v53
	v_and_b32_e32 v42, 0xffffff00, v2
	v_sub_i16 v42, v42, v44 clamp
	v_lshlrev_b16_e32 v44, 8, v2
	v_sub_i16 v9, v44, v9 clamp
	v_perm_b32 v9, v9, v42, s20
	v_and_b32_sdwa v42, v2, s19 dst_sel:DWORD dst_unused:UNUSED_PAD src0_sel:WORD_1 src1_sel:DWORD
	v_lshlrev_b16_sdwa v2, v27, v2 dst_sel:DWORD dst_unused:UNUSED_PAD src0_sel:DWORD src1_sel:WORD_1
	v_lshlrev_b16_e32 v44, 8, v52
	v_sub_i16 v42, v42, v51 clamp
	v_sub_i16 v2, v2, v44 clamp
	v_perm_b32 v2, v2, v42, s20
	v_lshl_or_b32 v2, v2, 16, v9
	v_xor_b32_e32 v9, v43, v57
	v_and_b32_e32 v42, 0xffffff00, v9
	v_lshlrev_b16_e32 v43, 8, v9
	v_lshlrev_b16_e32 v44, 8, v48
	v_sub_i16 v42, v42, v54 clamp
	v_sub_i16 v43, v43, v44 clamp
	v_perm_b32 v42, v43, v42, s20
	v_and_b32_sdwa v43, v9, s19 dst_sel:DWORD dst_unused:UNUSED_PAD src0_sel:WORD_1 src1_sel:DWORD
	v_lshlrev_b16_sdwa v9, v27, v9 dst_sel:DWORD dst_unused:UNUSED_PAD src0_sel:DWORD src1_sel:WORD_1
	v_lshlrev_b16_e32 v44, 8, v56
	v_sub_i16 v43, v43, v55 clamp
	v_sub_i16 v9, v9, v44 clamp
	v_perm_b32 v9, v9, v43, s20
	v_lshl_or_b32 v9, v9, 16, v42
	v_dot4_i32_i8 v3, v2, v3, 0
	v_dot4_i32_i8 v42, v9, v4, v3
	v_lshrrev_b32_e32 v4, 17, v47
	v_lshrrev_b32_e32 v43, 24, v47
	v_lshl_or_b32 v4, v43, 21, v4
	v_and_b32_e32 v43, 0x1800180, v4
	v_bfe_u32 v4, v4, 24, 1
	v_cmp_ne_u16_e32 vcc, 0, v4
	v_cmp_ne_u16_sdwa s[22:23], v43, v24 src0_sel:BYTE_1 src1_sel:DWORD
	v_lshrrev_b16_e32 v4, 7, v43
	v_lshlrev_b32_e32 v3, 2, v46
	v_lshrrev_b32_e32 v43, 26, v47
	v_bfe_i32 v44, v4, 0, 1
	v_cndmask_b32_e64 v4, 0, -1, s[22:23]
	v_cndmask_b32_e64 v46, 0, -1, vcc
	v_and_or_b32 v3, v3, s17, v45
	v_lshlrev_b16_e32 v45, 8, v4
	v_lshlrev_b16_e32 v46, 8, v46
	v_bfe_i32 v43, v43, 0, 1
	v_or_b32_sdwa v4, v44, v45 dst_sel:DWORD dst_unused:UNUSED_PAD src0_sel:BYTE_0 src1_sel:DWORD
	v_or_b32_sdwa v48, v43, v46 dst_sel:WORD_1 dst_unused:UNUSED_PAD src0_sel:BYTE_0 src1_sel:DWORD
	v_or_b32_sdwa v48, v4, v48 dst_sel:DWORD dst_unused:UNUSED_PAD src0_sel:WORD_0 src1_sel:DWORD
	v_lshrrev_b32_e32 v4, 21, v47
	v_lshrrev_b32_e32 v52, 31, v47
	v_lshrrev_b16_e32 v51, 8, v4
	v_cmp_ne_u16_e32 vcc, 0, v52
	v_lshrrev_b32_e32 v47, 30, v47
	v_lshrrev_b16_e32 v4, 7, v4
	v_bfe_i32 v51, v51, 0, 1
	v_cndmask_b32_e64 v53, 0, -1, vcc
	v_lshlrev_b16_e32 v51, 8, v51
	v_bfe_i32 v52, v4, 0, 1
	v_bfe_i32 v47, v47, 0, 1
	v_lshlrev_b16_e32 v53, 8, v53
	v_lshlrev_b32_e32 v3, 3, v3
	v_or_b32_sdwa v4, v52, v51 dst_sel:DWORD dst_unused:UNUSED_PAD src0_sel:BYTE_0 src1_sel:DWORD
	v_or_b32_sdwa v54, v47, v53 dst_sel:WORD_1 dst_unused:UNUSED_PAD src0_sel:BYTE_0 src1_sel:DWORD
	v_or_b32_sdwa v54, v4, v54 dst_sel:DWORD dst_unused:UNUSED_PAD src0_sel:WORD_0 src1_sel:DWORD
	global_load_dwordx2 v[3:4], v3, s[12:13]
	v_lshlrev_b16_e32 v44, 8, v44
	v_lshlrev_b16_e32 v43, 8, v43
	v_add_co_u32_e32 v12, vcc, 0x1200, v12
	v_addc_co_u32_e32 v13, vcc, 0, v13, vcc
	v_cmp_le_u32_e32 vcc, s9, v22
	s_or_b64 s[0:1], vcc, s[0:1]
	s_waitcnt vmcnt(0)
	v_xor_b32_e32 v3, v3, v48
	v_and_b32_e32 v48, 0xffffff00, v3
	v_sub_i16 v45, v48, v45 clamp
	v_lshlrev_b16_e32 v48, 8, v3
	v_sub_i16 v44, v48, v44 clamp
	v_perm_b32 v44, v44, v45, s20
	v_and_b32_sdwa v45, v3, s19 dst_sel:DWORD dst_unused:UNUSED_PAD src0_sel:WORD_1 src1_sel:DWORD
	v_lshlrev_b16_sdwa v3, v27, v3 dst_sel:DWORD dst_unused:UNUSED_PAD src0_sel:DWORD src1_sel:WORD_1
	v_sub_i16 v45, v45, v46 clamp
	v_sub_i16 v3, v3, v43 clamp
	v_perm_b32 v3, v3, v45, s20
	v_xor_b32_e32 v4, v4, v54
	v_lshl_or_b32 v3, v3, 16, v44
	v_and_b32_e32 v43, 0xffffff00, v4
	v_lshlrev_b16_e32 v44, 8, v4
	v_lshlrev_b16_e32 v45, 8, v52
	v_sub_i16 v43, v43, v51 clamp
	v_sub_i16 v44, v44, v45 clamp
	v_perm_b32 v43, v44, v43, s20
	v_and_b32_sdwa v44, v4, s19 dst_sel:DWORD dst_unused:UNUSED_PAD src0_sel:WORD_1 src1_sel:DWORD
	v_lshlrev_b16_sdwa v4, v27, v4 dst_sel:DWORD dst_unused:UNUSED_PAD src0_sel:DWORD src1_sel:WORD_1
	v_lshlrev_b16_e32 v45, 8, v47
	v_sub_i16 v44, v44, v53 clamp
	v_sub_i16 v4, v4, v45 clamp
	v_perm_b32 v4, v4, v44, s20
	v_lshl_or_b32 v4, v4, 16, v43
	v_dot4_i32_i8 v5, v3, v5, v42
	v_dot4_i32_i8 v42, v4, v41, v5
	v_lshrrev_b32_e32 v5, 4, v49
	v_and_b32_e32 v41, 15, v49
	v_mul_lo_u32 v43, v50, v41
	v_mul_lo_u32 v44, v42, v5
	v_add_u32_e32 v42, v42, v50
	v_lshrrev_b32_e32 v45, 31, v42
	v_add_u32_e32 v42, v42, v45
	v_ashrrev_i32_e32 v42, 1, v42
	v_add3_u32 v42, v44, v43, v42
	v_ashrrev_i32_e32 v43, 31, v42
	v_lshrrev_b32_e32 v43, 30, v43
	v_add_u32_e32 v42, v42, v43
	v_ashrrev_i32_e32 v42, 2, v42
	v_cvt_f32_i32_e32 v38, v42
	v_mad_u64_u32 v[50:51], s[12:13], v25, 36, v[10:11]
	v_add_u32_e32 v25, 0x80, v25
	v_fmac_f32_e32 v20, v17, v38
	global_load_dword v17, v[50:51], off offset:32
	global_load_dwordx4 v[42:45], v[50:51], off offset:16
	global_load_dwordx4 v[46:49], v[50:51], off
	s_waitcnt vmcnt(1)
	v_dot4_i32_i8 v2, v2, v43, 0
	s_waitcnt vmcnt(0)
	v_dot4_i32_i8 v6, v6, v47, 0
	v_dot4_i32_i8 v6, v28, v48, v6
	;; [unrolled: 1-line block ×8, first 2 shown]
	v_mul_lo_u32 v29, v6, v37
	v_mul_lo_u32 v30, v28, v36
	v_add_u32_e32 v6, v28, v6
	v_lshrrev_b32_e32 v28, 31, v6
	v_add_u32_e32 v6, v6, v28
	v_ashrrev_i32_e32 v6, 1, v6
	v_add3_u32 v6, v30, v29, v6
	v_ashrrev_i32_e32 v28, 31, v6
	v_lshrrev_b32_e32 v28, 30, v28
	v_add_u32_e32 v6, v6, v28
	v_cvt_f32_f16_e32 v38, v46
	v_ashrrev_i32_e32 v6, 2, v6
	v_cvt_f32_i32_e32 v6, v6
	v_dot4_i32_i8 v2, v9, v44, v2
	v_mul_f32_e32 v28, v33, v38
	v_dot4_i32_i8 v2, v3, v45, v2
	v_fmac_f32_e32 v19, v28, v6
	v_dot4_i32_i8 v6, v39, v47, 0
	v_dot4_i32_i8 v6, v40, v48, v6
	;; [unrolled: 1-line block ×5, first 2 shown]
	v_mul_lo_u32 v3, v6, v41
	v_mul_lo_u32 v4, v2, v5
	v_add_u32_e32 v2, v2, v6
	v_lshrrev_b32_e32 v5, 31, v2
	v_add_u32_e32 v2, v2, v5
	v_ashrrev_i32_e32 v2, 1, v2
	v_add3_u32 v2, v4, v3, v2
	v_ashrrev_i32_e32 v3, 31, v2
	v_lshrrev_b32_e32 v3, 30, v3
	v_add_u32_e32 v2, v2, v3
	v_ashrrev_i32_e32 v2, 2, v2
	v_cvt_f32_i32_e32 v2, v2
	v_mul_f32_e32 v3, v16, v38
	v_fmac_f32_e32 v18, v3, v2
	s_andn2_b64 exec, exec, s[0:1]
	s_cbranch_execnz .LBB185_2
; %bb.3:
	s_or_b64 exec, exec, s[0:1]
.LBB185_4:
	s_or_b64 exec, exec, s[10:11]
	v_cmp_eq_u32_e32 vcc, 0, v1
	v_cmp_ne_u32_e64 s[0:1], 0, v1
	v_lshlrev_b32_e32 v2, 2, v0
	s_and_saveexec_b64 s[10:11], s[0:1]
	s_cbranch_execz .LBB185_6
; %bb.5:
	v_lshl_or_b32 v1, v1, 10, v2
	v_add_u32_e32 v1, 0xfffffc00, v1
	ds_write2st64_b32 v1, v21, v20 offset1:1
	ds_write2st64_b32 v1, v19, v18 offset0:2 offset1:3
.LBB185_6:
	s_or_b64 exec, exec, s[10:11]
	s_waitcnt lgkmcnt(0)
	s_barrier
	s_and_saveexec_b64 s[0:1], vcc
	s_cbranch_execz .LBB185_11
; %bb.7:
	v_mbcnt_lo_u32_b32 v1, -1, 0
	v_mbcnt_hi_u32_b32 v7, -1, v1
	ds_read2st64_b32 v[5:6], v2 offset1:1
	v_and_b32_e32 v1, 64, v7
	v_add_u32_e32 v8, 64, v1
	v_xor_b32_e32 v1, 32, v7
	v_cmp_lt_i32_e32 vcc, v1, v8
	v_cndmask_b32_e32 v1, v7, v1, vcc
	v_lshlrev_b32_e32 v1, 2, v1
	s_waitcnt lgkmcnt(0)
	v_add_f32_e32 v10, v5, v21
	v_add_f32_e32 v6, v6, v20
	ds_bpermute_b32 v11, v1, v10
	ds_bpermute_b32 v12, v1, v6
	v_xor_b32_e32 v3, 16, v7
	v_cmp_lt_i32_e32 vcc, v3, v8
	v_cndmask_b32_e32 v3, v7, v3, vcc
	v_lshlrev_b32_e32 v3, 2, v3
	s_waitcnt lgkmcnt(1)
	v_add_f32_e32 v10, v10, v11
	s_waitcnt lgkmcnt(0)
	v_add_f32_e32 v6, v6, v12
	ds_bpermute_b32 v11, v3, v10
	ds_bpermute_b32 v12, v3, v6
	v_xor_b32_e32 v4, 8, v7
	v_cmp_lt_i32_e32 vcc, v4, v8
	v_cndmask_b32_e32 v4, v7, v4, vcc
	v_lshlrev_b32_e32 v4, 2, v4
	s_waitcnt lgkmcnt(1)
	v_add_f32_e32 v10, v10, v11
	s_waitcnt lgkmcnt(0)
	;; [unrolled: 10-line block ×3, first 2 shown]
	v_add_f32_e32 v12, v12, v13
	ds_bpermute_b32 v11, v5, v10
	ds_bpermute_b32 v13, v5, v12
	v_xor_b32_e32 v9, 2, v7
	v_cmp_lt_i32_e32 vcc, v9, v8
	v_cndmask_b32_e32 v9, v7, v9, vcc
	v_lshlrev_b32_e32 v6, 2, v9
	v_xor_b32_e32 v9, 1, v7
	v_cmp_lt_i32_e32 vcc, v9, v8
	s_waitcnt lgkmcnt(1)
	v_add_f32_e32 v8, v10, v11
	s_waitcnt lgkmcnt(0)
	v_add_f32_e32 v11, v12, v13
	ds_bpermute_b32 v10, v6, v8
	ds_bpermute_b32 v12, v6, v11
	s_load_dwordx2 s[0:1], s[4:5], 0x38
	v_cndmask_b32_e32 v7, v7, v9, vcc
	s_mul_i32 s4, s14, s7
	v_lshlrev_b32_e32 v9, 2, v7
	s_waitcnt lgkmcnt(0)
	v_add_f32_e32 v7, v8, v10
	v_add_f32_e32 v10, v11, v12
	s_mul_i32 s3, s18, s8
	s_add_i32 s4, s4, s6
	ds_bpermute_b32 v8, v9, v7
	ds_bpermute_b32 v11, v9, v10
	s_add_i32 s4, s4, s3
	s_mov_b32 s5, 0
	s_lshl_b64 s[4:5], s[4:5], 2
	s_add_u32 s4, s0, s4
	v_add_u32_e32 v12, s6, v0
	s_addc_u32 s5, s1, s5
	v_cmp_gt_u32_e32 vcc, 2, v0
	v_cmp_gt_u32_e64 s[0:1], s2, v12
	s_and_b64 s[0:1], vcc, s[0:1]
	s_waitcnt lgkmcnt(1)
	v_add_f32_e32 v7, v7, v8
	s_waitcnt lgkmcnt(0)
	v_add_f32_e32 v8, v10, v11
	s_and_saveexec_b64 s[6:7], s[0:1]
	s_cbranch_execz .LBB185_9
; %bb.8:
	v_cmp_eq_u32_e32 vcc, 1, v0
	v_cndmask_b32_e32 v10, v7, v8, vcc
	v_cmp_eq_u32_e32 vcc, 2, v0
	v_cndmask_b32_e32 v10, v10, v19, vcc
	;; [unrolled: 2-line block ×3, first 2 shown]
	global_store_dword v2, v10, s[4:5]
.LBB185_9:
	s_or_b64 exec, exec, s[6:7]
	ds_read2st64_b32 v[10:11], v2 offset0:2 offset1:3
	s_waitcnt lgkmcnt(0)
	v_add_f32_e32 v2, v10, v19
	v_add_f32_e32 v10, v11, v18
	ds_bpermute_b32 v11, v1, v2
	ds_bpermute_b32 v1, v1, v10
	s_waitcnt lgkmcnt(1)
	v_add_f32_e32 v2, v2, v11
	s_waitcnt lgkmcnt(0)
	v_add_f32_e32 v1, v10, v1
	ds_bpermute_b32 v10, v3, v2
	ds_bpermute_b32 v3, v3, v1
	s_waitcnt lgkmcnt(1)
	v_add_f32_e32 v2, v2, v10
	s_waitcnt lgkmcnt(0)
	;; [unrolled: 6-line block ×5, first 2 shown]
	v_add_f32_e32 v2, v3, v4
	ds_bpermute_b32 v3, v9, v1
	ds_bpermute_b32 v4, v9, v2
	s_and_b64 exec, exec, s[0:1]
	s_cbranch_execz .LBB185_11
; %bb.10:
	s_waitcnt lgkmcnt(1)
	v_add_f32_e32 v1, v1, v3
	v_add_u32_e32 v3, 2, v0
	v_cmp_eq_u32_e32 vcc, 1, v3
	s_waitcnt lgkmcnt(0)
	v_add_f32_e32 v2, v2, v4
	v_cndmask_b32_e32 v4, v7, v8, vcc
	v_cmp_eq_u32_e32 vcc, 2, v3
	v_cndmask_b32_e32 v1, v4, v1, vcc
	v_cmp_eq_u32_e32 vcc, 3, v3
	v_cndmask_b32_e32 v2, v1, v2, vcc
	v_add_u32_e32 v0, s2, v0
	v_mov_b32_e32 v1, 0
	v_lshlrev_b64 v[0:1], 2, v[0:1]
	v_mov_b32_e32 v3, s5
	v_add_co_u32_e32 v0, vcc, s4, v0
	v_addc_co_u32_e32 v1, vcc, v3, v1, vcc
	global_store_dword v[0:1], v2, off
.LBB185_11:
	s_endpgm
	.section	.rodata,"a",@progbits
	.p2align	6, 0x0
	.amdhsa_kernel _ZL13mul_mat_vec_qIL9ggml_type22ELi2ELb0ELb0EEvPKvS2_PKi31ggml_cuda_mm_fusion_args_devicePfj15HIP_vector_typeIjLj3EEjjjS8_jjjS8_jjjj
		.amdhsa_group_segment_fixed_size 1024
		.amdhsa_private_segment_fixed_size 0
		.amdhsa_kernarg_size 144
		.amdhsa_user_sgpr_count 6
		.amdhsa_user_sgpr_private_segment_buffer 1
		.amdhsa_user_sgpr_dispatch_ptr 0
		.amdhsa_user_sgpr_queue_ptr 0
		.amdhsa_user_sgpr_kernarg_segment_ptr 1
		.amdhsa_user_sgpr_dispatch_id 0
		.amdhsa_user_sgpr_flat_scratch_init 0
		.amdhsa_user_sgpr_private_segment_size 0
		.amdhsa_uses_dynamic_stack 0
		.amdhsa_system_sgpr_private_segment_wavefront_offset 0
		.amdhsa_system_sgpr_workgroup_id_x 1
		.amdhsa_system_sgpr_workgroup_id_y 1
		.amdhsa_system_sgpr_workgroup_id_z 1
		.amdhsa_system_sgpr_workgroup_info 0
		.amdhsa_system_vgpr_workitem_id 1
		.amdhsa_next_free_vgpr 59
		.amdhsa_next_free_sgpr 26
		.amdhsa_reserve_vcc 1
		.amdhsa_reserve_flat_scratch 0
		.amdhsa_float_round_mode_32 0
		.amdhsa_float_round_mode_16_64 0
		.amdhsa_float_denorm_mode_32 3
		.amdhsa_float_denorm_mode_16_64 3
		.amdhsa_dx10_clamp 1
		.amdhsa_ieee_mode 1
		.amdhsa_fp16_overflow 0
		.amdhsa_exception_fp_ieee_invalid_op 0
		.amdhsa_exception_fp_denorm_src 0
		.amdhsa_exception_fp_ieee_div_zero 0
		.amdhsa_exception_fp_ieee_overflow 0
		.amdhsa_exception_fp_ieee_underflow 0
		.amdhsa_exception_fp_ieee_inexact 0
		.amdhsa_exception_int_div_zero 0
	.end_amdhsa_kernel
	.section	.text._ZL13mul_mat_vec_qIL9ggml_type22ELi2ELb0ELb0EEvPKvS2_PKi31ggml_cuda_mm_fusion_args_devicePfj15HIP_vector_typeIjLj3EEjjjS8_jjjS8_jjjj,"axG",@progbits,_ZL13mul_mat_vec_qIL9ggml_type22ELi2ELb0ELb0EEvPKvS2_PKi31ggml_cuda_mm_fusion_args_devicePfj15HIP_vector_typeIjLj3EEjjjS8_jjjS8_jjjj,comdat
.Lfunc_end185:
	.size	_ZL13mul_mat_vec_qIL9ggml_type22ELi2ELb0ELb0EEvPKvS2_PKi31ggml_cuda_mm_fusion_args_devicePfj15HIP_vector_typeIjLj3EEjjjS8_jjjS8_jjjj, .Lfunc_end185-_ZL13mul_mat_vec_qIL9ggml_type22ELi2ELb0ELb0EEvPKvS2_PKi31ggml_cuda_mm_fusion_args_devicePfj15HIP_vector_typeIjLj3EEjjjS8_jjjS8_jjjj
                                        ; -- End function
	.set _ZL13mul_mat_vec_qIL9ggml_type22ELi2ELb0ELb0EEvPKvS2_PKi31ggml_cuda_mm_fusion_args_devicePfj15HIP_vector_typeIjLj3EEjjjS8_jjjS8_jjjj.num_vgpr, 59
	.set _ZL13mul_mat_vec_qIL9ggml_type22ELi2ELb0ELb0EEvPKvS2_PKi31ggml_cuda_mm_fusion_args_devicePfj15HIP_vector_typeIjLj3EEjjjS8_jjjS8_jjjj.num_agpr, 0
	.set _ZL13mul_mat_vec_qIL9ggml_type22ELi2ELb0ELb0EEvPKvS2_PKi31ggml_cuda_mm_fusion_args_devicePfj15HIP_vector_typeIjLj3EEjjjS8_jjjS8_jjjj.numbered_sgpr, 26
	.set _ZL13mul_mat_vec_qIL9ggml_type22ELi2ELb0ELb0EEvPKvS2_PKi31ggml_cuda_mm_fusion_args_devicePfj15HIP_vector_typeIjLj3EEjjjS8_jjjS8_jjjj.num_named_barrier, 0
	.set _ZL13mul_mat_vec_qIL9ggml_type22ELi2ELb0ELb0EEvPKvS2_PKi31ggml_cuda_mm_fusion_args_devicePfj15HIP_vector_typeIjLj3EEjjjS8_jjjS8_jjjj.private_seg_size, 0
	.set _ZL13mul_mat_vec_qIL9ggml_type22ELi2ELb0ELb0EEvPKvS2_PKi31ggml_cuda_mm_fusion_args_devicePfj15HIP_vector_typeIjLj3EEjjjS8_jjjS8_jjjj.uses_vcc, 1
	.set _ZL13mul_mat_vec_qIL9ggml_type22ELi2ELb0ELb0EEvPKvS2_PKi31ggml_cuda_mm_fusion_args_devicePfj15HIP_vector_typeIjLj3EEjjjS8_jjjS8_jjjj.uses_flat_scratch, 0
	.set _ZL13mul_mat_vec_qIL9ggml_type22ELi2ELb0ELb0EEvPKvS2_PKi31ggml_cuda_mm_fusion_args_devicePfj15HIP_vector_typeIjLj3EEjjjS8_jjjS8_jjjj.has_dyn_sized_stack, 0
	.set _ZL13mul_mat_vec_qIL9ggml_type22ELi2ELb0ELb0EEvPKvS2_PKi31ggml_cuda_mm_fusion_args_devicePfj15HIP_vector_typeIjLj3EEjjjS8_jjjS8_jjjj.has_recursion, 0
	.set _ZL13mul_mat_vec_qIL9ggml_type22ELi2ELb0ELb0EEvPKvS2_PKi31ggml_cuda_mm_fusion_args_devicePfj15HIP_vector_typeIjLj3EEjjjS8_jjjS8_jjjj.has_indirect_call, 0
	.section	.AMDGPU.csdata,"",@progbits
; Kernel info:
; codeLenInByte = 5532
; TotalNumSgprs: 30
; NumVgprs: 59
; ScratchSize: 0
; MemoryBound: 0
; FloatMode: 240
; IeeeMode: 1
; LDSByteSize: 1024 bytes/workgroup (compile time only)
; SGPRBlocks: 3
; VGPRBlocks: 14
; NumSGPRsForWavesPerEU: 30
; NumVGPRsForWavesPerEU: 59
; Occupancy: 4
; WaveLimiterHint : 0
; COMPUTE_PGM_RSRC2:SCRATCH_EN: 0
; COMPUTE_PGM_RSRC2:USER_SGPR: 6
; COMPUTE_PGM_RSRC2:TRAP_HANDLER: 0
; COMPUTE_PGM_RSRC2:TGID_X_EN: 1
; COMPUTE_PGM_RSRC2:TGID_Y_EN: 1
; COMPUTE_PGM_RSRC2:TGID_Z_EN: 1
; COMPUTE_PGM_RSRC2:TIDIG_COMP_CNT: 1
	.section	.text._ZL13mul_mat_vec_qIL9ggml_type22ELi3ELb0ELb0EEvPKvS2_PKi31ggml_cuda_mm_fusion_args_devicePfj15HIP_vector_typeIjLj3EEjjjS8_jjjS8_jjjj,"axG",@progbits,_ZL13mul_mat_vec_qIL9ggml_type22ELi3ELb0ELb0EEvPKvS2_PKi31ggml_cuda_mm_fusion_args_devicePfj15HIP_vector_typeIjLj3EEjjjS8_jjjS8_jjjj,comdat
	.globl	_ZL13mul_mat_vec_qIL9ggml_type22ELi3ELb0ELb0EEvPKvS2_PKi31ggml_cuda_mm_fusion_args_devicePfj15HIP_vector_typeIjLj3EEjjjS8_jjjS8_jjjj ; -- Begin function _ZL13mul_mat_vec_qIL9ggml_type22ELi3ELb0ELb0EEvPKvS2_PKi31ggml_cuda_mm_fusion_args_devicePfj15HIP_vector_typeIjLj3EEjjjS8_jjjS8_jjjj
	.p2align	8
	.type	_ZL13mul_mat_vec_qIL9ggml_type22ELi3ELb0ELb0EEvPKvS2_PKi31ggml_cuda_mm_fusion_args_devicePfj15HIP_vector_typeIjLj3EEjjjS8_jjjS8_jjjj,@function
_ZL13mul_mat_vec_qIL9ggml_type22ELi3ELb0ELb0EEvPKvS2_PKi31ggml_cuda_mm_fusion_args_devicePfj15HIP_vector_typeIjLj3EEjjjS8_jjjS8_jjjj: ; @_ZL13mul_mat_vec_qIL9ggml_type22ELi3ELb0ELb0EEvPKvS2_PKi31ggml_cuda_mm_fusion_args_devicePfj15HIP_vector_typeIjLj3EEjjjS8_jjjS8_jjjj
; %bb.0:
	s_load_dword s9, s[4:5], 0x40
	s_load_dwordx4 s[0:3], s[4:5], 0x50
	s_load_dword s25, s[4:5], 0x60
	s_load_dwordx4 s[12:15], s[4:5], 0x68
	;; [unrolled: 2-line block ×3, first 2 shown]
	v_lshl_add_u32 v2, v1, 6, v0
	s_waitcnt lgkmcnt(0)
	s_lshr_b32 s9, s9, 8
	v_lshrrev_b32_e32 v24, 3, v2
	v_mov_b32_e32 v19, 0
	s_lshl_b32 s6, s6, 1
	v_cmp_gt_u32_e32 vcc, s9, v24
	v_mov_b32_e32 v20, v19
	v_mov_b32_e32 v21, v19
	;; [unrolled: 1-line block ×5, first 2 shown]
	s_and_saveexec_b64 s[10:11], vcc
	s_cbranch_execz .LBB186_4
; %bb.1:
	s_mul_hi_u32 s3, s3, s7
	s_add_i32 s3, s7, s3
	s_load_dwordx4 s[20:23], s[4:5], 0x0
	s_lshr_b32 s3, s3, s25
	s_mul_i32 s3, s3, s12
	s_mul_hi_u32 s12, s15, s8
	s_add_i32 s12, s8, s12
	s_lshr_b32 s12, s12, s24
	s_mul_i32 s19, s17, s8
	s_mul_i32 s15, s12, s16
	;; [unrolled: 1-line block ×3, first 2 shown]
	s_mul_hi_u32 s12, s19, 36
	s_waitcnt lgkmcnt(0)
	s_add_u32 s16, s22, s16
	s_addc_u32 s17, s23, s12
	s_mul_i32 s12, s13, s7
	s_mul_hi_u32 s13, s12, 36
	s_mul_i32 s12, s12, 36
	s_add_u32 s16, s16, s12
	s_addc_u32 s17, s17, s13
	v_and_b32_e32 v25, 7, v0
	v_mad_u64_u32 v[10:11], s[16:17], v25, 36, s[16:17]
	v_mov_b32_e32 v2, s12
	s_movk_i32 s17, 0x120
	v_mov_b32_e32 v3, s13
	v_mad_u64_u32 v[2:3], s[12:13], v24, s17, v[2:3]
	v_lshlrev_b32_e32 v5, 3, v24
	v_add_u32_e32 v27, s1, v5
	v_mad_u64_u32 v[2:3], s[12:13], s19, 36, v[2:3]
	v_lshl_add_u32 v28, s1, 1, v5
	v_mov_b32_e32 v5, s23
	v_mad_u64_u32 v[2:3], s[12:13], v25, 36, v[2:3]
	s_add_i32 s16, s6, 1
	s_add_i32 s15, s15, s3
	v_add_co_u32_e32 v2, vcc, s22, v2
	v_addc_co_u32_e32 v3, vcc, v5, v3, vcc
	v_lshlrev_b32_e32 v4, 1, v25
	s_mul_i32 s3, s6, s0
	s_mul_i32 s0, s0, s16
	v_add_co_u32_e32 v12, vcc, 32, v2
	v_mov_b32_e32 v14, s20
	v_mov_b32_e32 v26, 0
	s_add_i32 s3, s15, s3
	s_add_i32 s15, s15, s0
	v_addc_co_u32_e32 v13, vcc, 0, v3, vcc
	s_mov_b64 s[0:1], 0
	s_movk_i32 s16, 0x52
	v_mov_b32_e32 v15, s21
	v_lshlrev_b32_e32 v29, 1, v4
	s_movk_i32 s17, 0x300
	s_movk_i32 s19, 0xff00
	s_mov_b32 s20, 0xc0c0105
	v_mov_b32_e32 v30, 8
	v_mov_b32_e32 v18, 0
	;; [unrolled: 1-line block ×7, first 2 shown]
.LBB186_2:                              ; =>This Inner Loop Header: Depth=1
	v_add_u32_e32 v16, s3, v24
	v_mad_i64_i32 v[16:17], s[12:13], v16, s16, v[14:15]
	global_load_dword v44, v[12:13], off
	global_load_dwordx4 v[2:5], v[12:13], off offset:-16
	global_load_dwordx4 v[6:9], v[12:13], off offset:-32
	s_getpc_b64 s[12:13]
	s_add_u32 s12, s12, _ZL9iq2s_grid@rel32@lo+4
	s_addc_u32 s13, s13, _ZL9iq2s_grid@rel32@hi+12
	v_add_co_u32_e32 v31, vcc, v16, v29
	v_addc_co_u32_e32 v32, vcc, 0, v17, vcc
	v_add_co_u32_e32 v33, vcc, v16, v25
	global_load_dword v35, v[31:32], off offset:2
	v_addc_co_u32_e32 v34, vcc, 0, v17, vcc
	global_load_ubyte v37, v[33:34], off offset:66
	global_load_dword v38, v[31:32], off offset:34
	global_load_ubyte v40, v[33:34], off offset:74
	s_waitcnt vmcnt(4)
	v_cvt_f32_f16_e32 v43, v6
	global_load_ushort v16, v[16:17], off
	s_waitcnt vmcnt(4)
	v_and_b32_e32 v6, 0xff, v35
	v_lshrrev_b32_e32 v36, 24, v35
	s_waitcnt vmcnt(3)
	v_lshlrev_b32_e32 v31, 8, v37
	v_and_or_b32 v6, v31, s17, v6
	s_waitcnt vmcnt(2)
	v_and_b32_e32 v31, 0xff, v38
	v_lshlrev_b32_e32 v32, 21, v38
	v_lshl_or_b32 v32, v31, 7, v32
	v_and_b32_e32 v33, 0x1800180, v32
	v_bfe_u32 v32, v32, 24, 1
	v_cmp_ne_u16_e32 vcc, 0, v32
	v_cmp_ne_u16_sdwa s[22:23], v33, v26 src0_sel:BYTE_1 src1_sel:DWORD
	v_lshrrev_b16_e32 v32, 7, v33
	v_lshrrev_b32_e32 v33, 2, v38
	v_bfe_i32 v34, v32, 0, 1
	v_cndmask_b32_e64 v32, 0, -1, s[22:23]
	v_cndmask_b32_e64 v42, 0, -1, vcc
	v_lshlrev_b16_e32 v41, 8, v32
	v_lshlrev_b16_e32 v42, 8, v42
	v_bfe_i32 v33, v33, 0, 1
	v_or_b32_sdwa v32, v34, v41 dst_sel:DWORD dst_unused:UNUSED_PAD src0_sel:BYTE_0 src1_sel:DWORD
	v_or_b32_sdwa v45, v33, v42 dst_sel:WORD_1 dst_unused:UNUSED_PAD src0_sel:BYTE_0 src1_sel:DWORD
	v_or_b32_sdwa v45, v32, v45 dst_sel:DWORD dst_unused:UNUSED_PAD src0_sel:WORD_0 src1_sel:DWORD
	v_lshlrev_b32_e32 v32, 17, v38
	v_lshl_or_b32 v31, v31, 3, v32
	v_and_b32_e32 v32, 0x1800180, v31
	v_bfe_u32 v31, v31, 24, 1
	v_cmp_ne_u16_e32 vcc, 0, v31
	v_cmp_ne_u16_sdwa s[22:23], v32, v26 src0_sel:BYTE_1 src1_sel:DWORD
	v_lshrrev_b16_e32 v31, 7, v32
	v_lshrrev_b32_e32 v32, 6, v38
	v_bfe_i32 v46, v31, 0, 1
	v_cndmask_b32_e64 v31, 0, -1, s[22:23]
	v_cndmask_b32_e64 v48, 0, -1, vcc
	v_lshlrev_b16_e32 v47, 8, v31
	v_lshlrev_b16_e32 v48, 8, v48
	v_bfe_i32 v49, v32, 0, 1
	v_lshlrev_b32_e32 v6, 3, v6
	v_or_b32_sdwa v31, v46, v47 dst_sel:DWORD dst_unused:UNUSED_PAD src0_sel:BYTE_0 src1_sel:DWORD
	v_or_b32_sdwa v32, v49, v48 dst_sel:WORD_1 dst_unused:UNUSED_PAD src0_sel:BYTE_0 src1_sel:DWORD
	v_or_b32_sdwa v50, v31, v32 dst_sel:DWORD dst_unused:UNUSED_PAD src0_sel:WORD_0 src1_sel:DWORD
	global_load_dwordx2 v[31:32], v6, s[12:13]
	v_lshlrev_b16_e32 v34, 8, v34
	v_lshlrev_b16_e32 v33, 8, v33
	v_lshrrev_b32_e32 v39, 16, v38
	s_waitcnt vmcnt(0)
	v_xor_b32_e32 v6, v31, v45
	v_and_b32_e32 v31, 0xffffff00, v6
	v_sub_i16 v31, v31, v41 clamp
	v_lshlrev_b16_e32 v41, 8, v6
	v_sub_i16 v34, v41, v34 clamp
	v_perm_b32 v31, v34, v31, s20
	v_and_b32_sdwa v34, v6, s19 dst_sel:DWORD dst_unused:UNUSED_PAD src0_sel:WORD_1 src1_sel:DWORD
	v_lshlrev_b16_sdwa v6, v30, v6 dst_sel:DWORD dst_unused:UNUSED_PAD src0_sel:DWORD src1_sel:WORD_1
	v_sub_i16 v34, v34, v42 clamp
	v_sub_i16 v6, v6, v33 clamp
	v_perm_b32 v6, v6, v34, s20
	v_lshl_or_b32 v6, v6, 16, v31
	v_xor_b32_e32 v31, v32, v50
	v_and_b32_e32 v32, 0xffffff00, v31
	v_lshlrev_b16_e32 v33, 8, v31
	v_lshlrev_b16_e32 v34, 8, v46
	v_sub_i16 v32, v32, v47 clamp
	v_sub_i16 v33, v33, v34 clamp
	v_perm_b32 v32, v33, v32, s20
	v_and_b32_sdwa v33, v31, s19 dst_sel:DWORD dst_unused:UNUSED_PAD src0_sel:WORD_1 src1_sel:DWORD
	v_lshlrev_b16_sdwa v31, v30, v31 dst_sel:DWORD dst_unused:UNUSED_PAD src0_sel:DWORD src1_sel:WORD_1
	v_lshlrev_b16_e32 v34, 8, v49
	v_sub_i16 v33, v33, v48 clamp
	v_sub_i16 v31, v31, v34 clamp
	v_perm_b32 v31, v31, v33, s20
	v_lshl_or_b32 v31, v31, 16, v32
	v_dot4_i32_i8 v32, v6, v7, 0
	v_dot4_i32_i8 v34, v31, v8, v32
	v_bfe_u32 v32, v35, 8, 8
	v_lshlrev_b32_e32 v33, 6, v37
	v_and_or_b32 v32, v33, s17, v32
	v_lshrrev_b32_e32 v33, 1, v38
	v_and_b32_e32 v33, 0x180, v33
	v_lshrrev_b32_e32 v41, 11, v38
	v_cmp_ne_u16_sdwa s[22:23], v33, v26 src0_sel:BYTE_1 src1_sel:DWORD
	v_lshrrev_b16_e32 v33, 7, v33
	v_lshrrev_b32_e32 v42, 10, v38
	v_bfe_i32 v45, v33, 0, 1
	v_cndmask_b32_e64 v33, 0, -1, s[22:23]
	v_bfe_i32 v41, v41, 0, 1
	v_lshlrev_b16_e32 v46, 8, v33
	v_lshlrev_b16_e32 v41, 8, v41
	v_bfe_i32 v42, v42, 0, 1
	v_or_b32_sdwa v33, v45, v46 dst_sel:DWORD dst_unused:UNUSED_PAD src0_sel:BYTE_0 src1_sel:DWORD
	v_or_b32_sdwa v47, v42, v41 dst_sel:WORD_1 dst_unused:UNUSED_PAD src0_sel:BYTE_0 src1_sel:DWORD
	v_or_b32_sdwa v47, v33, v47 dst_sel:DWORD dst_unused:UNUSED_PAD src0_sel:WORD_0 src1_sel:DWORD
	v_lshrrev_b32_e32 v33, 5, v38
	v_and_b32_e32 v33, 0x180, v33
	v_lshrrev_b32_e32 v48, 15, v38
	v_cmp_ne_u16_sdwa s[22:23], v33, v26 src0_sel:BYTE_1 src1_sel:DWORD
	v_lshrrev_b16_e32 v33, 7, v33
	v_lshrrev_b32_e32 v49, 14, v38
	v_bfe_i32 v50, v33, 0, 1
	v_cndmask_b32_e64 v33, 0, -1, s[22:23]
	v_bfe_i32 v48, v48, 0, 1
	v_lshlrev_b16_e32 v51, 8, v33
	v_lshlrev_b16_e32 v48, 8, v48
	v_bfe_i32 v49, v49, 0, 1
	v_lshlrev_b32_e32 v32, 3, v32
	v_or_b32_sdwa v33, v50, v51 dst_sel:DWORD dst_unused:UNUSED_PAD src0_sel:BYTE_0 src1_sel:DWORD
	v_or_b32_sdwa v52, v49, v48 dst_sel:WORD_1 dst_unused:UNUSED_PAD src0_sel:BYTE_0 src1_sel:DWORD
	v_or_b32_sdwa v52, v33, v52 dst_sel:DWORD dst_unused:UNUSED_PAD src0_sel:WORD_0 src1_sel:DWORD
	global_load_dwordx2 v[32:33], v32, s[12:13]
	v_lshlrev_b16_e32 v45, 8, v45
	v_lshlrev_b16_e32 v42, 8, v42
	s_waitcnt vmcnt(0)
	v_xor_b32_e32 v32, v32, v47
	v_and_b32_e32 v47, 0xffffff00, v32
	v_sub_i16 v46, v47, v46 clamp
	v_lshlrev_b16_e32 v47, 8, v32
	v_sub_i16 v45, v47, v45 clamp
	v_perm_b32 v45, v45, v46, s20
	v_and_b32_sdwa v46, v32, s19 dst_sel:DWORD dst_unused:UNUSED_PAD src0_sel:WORD_1 src1_sel:DWORD
	v_lshlrev_b16_sdwa v32, v30, v32 dst_sel:DWORD dst_unused:UNUSED_PAD src0_sel:DWORD src1_sel:WORD_1
	v_sub_i16 v41, v46, v41 clamp
	v_sub_i16 v32, v32, v42 clamp
	v_perm_b32 v32, v32, v41, s20
	v_xor_b32_e32 v33, v33, v52
	v_lshl_or_b32 v32, v32, 16, v45
	v_and_b32_e32 v41, 0xffffff00, v33
	v_lshlrev_b16_e32 v42, 8, v33
	v_lshlrev_b16_e32 v45, 8, v50
	v_sub_i16 v41, v41, v51 clamp
	v_sub_i16 v42, v42, v45 clamp
	v_perm_b32 v41, v42, v41, s20
	v_and_b32_sdwa v42, v33, s19 dst_sel:DWORD dst_unused:UNUSED_PAD src0_sel:WORD_1 src1_sel:DWORD
	v_lshlrev_b16_sdwa v33, v30, v33 dst_sel:DWORD dst_unused:UNUSED_PAD src0_sel:DWORD src1_sel:WORD_1
	v_lshlrev_b16_e32 v45, 8, v49
	v_sub_i16 v42, v42, v48 clamp
	v_sub_i16 v33, v33, v45 clamp
	v_perm_b32 v33, v33, v42, s20
	v_lshl_or_b32 v33, v33, 16, v41
	v_dot4_i32_i8 v34, v32, v9, v34
	v_dot4_i32_i8 v41, v33, v2, v34
	v_bfe_u32 v34, v35, 16, 8
	v_lshlrev_b32_e32 v35, 4, v37
	v_and_or_b32 v34, v35, s17, v34
	v_lshrrev_b32_e32 v35, 9, v38
	v_lshl_or_b32 v35, v39, 21, v35
	v_and_b32_e32 v42, 0x1800180, v35
	v_bfe_u32 v35, v35, 24, 1
	v_cmp_ne_u16_e32 vcc, 0, v35
	v_cmp_ne_u16_sdwa s[22:23], v42, v26 src0_sel:BYTE_1 src1_sel:DWORD
	v_lshrrev_b16_e32 v35, 7, v42
	v_lshrrev_b32_e32 v42, 18, v38
	v_bfe_i32 v45, v35, 0, 1
	v_cndmask_b32_e64 v35, 0, -1, s[22:23]
	v_cndmask_b32_e64 v47, 0, -1, vcc
	v_lshlrev_b16_e32 v46, 8, v35
	v_lshlrev_b16_e32 v47, 8, v47
	v_bfe_i32 v42, v42, 0, 1
	v_or_b32_sdwa v35, v45, v46 dst_sel:DWORD dst_unused:UNUSED_PAD src0_sel:BYTE_0 src1_sel:DWORD
	v_or_b32_sdwa v48, v42, v47 dst_sel:WORD_1 dst_unused:UNUSED_PAD src0_sel:BYTE_0 src1_sel:DWORD
	v_or_b32_sdwa v48, v35, v48 dst_sel:DWORD dst_unused:UNUSED_PAD src0_sel:WORD_0 src1_sel:DWORD
	v_lshrrev_b32_e32 v35, 13, v38
	v_lshl_or_b32 v35, v39, 17, v35
	v_and_b32_e32 v39, 0x1800180, v35
	v_bfe_u32 v35, v35, 24, 1
	v_cmp_ne_u16_e32 vcc, 0, v35
	v_cmp_ne_u16_sdwa s[22:23], v39, v26 src0_sel:BYTE_1 src1_sel:DWORD
	v_lshrrev_b16_e32 v35, 7, v39
	v_lshrrev_b32_e32 v39, 22, v38
	v_bfe_i32 v49, v35, 0, 1
	v_cndmask_b32_e64 v35, 0, -1, s[22:23]
	v_cndmask_b32_e64 v51, 0, -1, vcc
	v_lshlrev_b16_e32 v50, 8, v35
	v_lshlrev_b16_e32 v51, 8, v51
	v_bfe_i32 v39, v39, 0, 1
	v_lshlrev_b32_e32 v34, 3, v34
	v_or_b32_sdwa v35, v49, v50 dst_sel:DWORD dst_unused:UNUSED_PAD src0_sel:BYTE_0 src1_sel:DWORD
	v_or_b32_sdwa v52, v39, v51 dst_sel:WORD_1 dst_unused:UNUSED_PAD src0_sel:BYTE_0 src1_sel:DWORD
	v_or_b32_sdwa v52, v35, v52 dst_sel:DWORD dst_unused:UNUSED_PAD src0_sel:WORD_0 src1_sel:DWORD
	global_load_dwordx2 v[34:35], v34, s[12:13]
	v_lshlrev_b16_e32 v45, 8, v45
	v_lshlrev_b16_e32 v42, 8, v42
	;; [unrolled: 1-line block ×3, first 2 shown]
	v_lshlrev_b32_e32 v37, 2, v37
	v_and_or_b32 v36, v37, s17, v36
	v_lshrrev_b32_e32 v37, 17, v38
	v_lshlrev_b32_e32 v36, 3, v36
	s_waitcnt vmcnt(0)
	v_xor_b32_e32 v34, v34, v48
	v_and_b32_e32 v48, 0xffffff00, v34
	v_sub_i16 v46, v48, v46 clamp
	v_lshlrev_b16_e32 v48, 8, v34
	v_sub_i16 v45, v48, v45 clamp
	v_perm_b32 v45, v45, v46, s20
	v_and_b32_sdwa v46, v34, s19 dst_sel:DWORD dst_unused:UNUSED_PAD src0_sel:WORD_1 src1_sel:DWORD
	v_lshlrev_b16_sdwa v34, v30, v34 dst_sel:DWORD dst_unused:UNUSED_PAD src0_sel:DWORD src1_sel:WORD_1
	v_sub_i16 v46, v46, v47 clamp
	v_sub_i16 v34, v34, v42 clamp
	v_perm_b32 v34, v34, v46, s20
	v_xor_b32_e32 v35, v35, v52
	v_lshl_or_b32 v34, v34, 16, v45
	v_and_b32_e32 v42, 0xffffff00, v35
	v_lshlrev_b16_e32 v45, 8, v35
	v_lshlrev_b16_e32 v46, 8, v49
	v_sub_i16 v42, v42, v50 clamp
	v_sub_i16 v45, v45, v46 clamp
	v_perm_b32 v42, v45, v42, s20
	v_and_b32_sdwa v45, v35, s19 dst_sel:DWORD dst_unused:UNUSED_PAD src0_sel:WORD_1 src1_sel:DWORD
	v_lshlrev_b16_sdwa v35, v30, v35 dst_sel:DWORD dst_unused:UNUSED_PAD src0_sel:DWORD src1_sel:WORD_1
	v_sub_i16 v45, v45, v51 clamp
	v_sub_i16 v35, v35, v39 clamp
	v_perm_b32 v35, v35, v45, s20
	v_lshl_or_b32 v35, v35, 16, v42
	v_lshrrev_b32_e32 v42, 24, v38
	v_lshl_or_b32 v37, v42, 21, v37
	v_and_b32_e32 v42, 0x1800180, v37
	v_bfe_u32 v37, v37, 24, 1
	v_cmp_ne_u16_e32 vcc, 0, v37
	v_cmp_ne_u16_sdwa s[22:23], v42, v26 src0_sel:BYTE_1 src1_sel:DWORD
	v_lshrrev_b16_e32 v37, 7, v42
	v_lshrrev_b32_e32 v42, 26, v38
	v_bfe_i32 v45, v37, 0, 1
	v_cndmask_b32_e64 v37, 0, -1, s[22:23]
	v_cndmask_b32_e64 v47, 0, -1, vcc
	v_lshlrev_b16_e32 v46, 8, v37
	v_lshlrev_b16_e32 v47, 8, v47
	v_bfe_i32 v42, v42, 0, 1
	v_or_b32_sdwa v37, v45, v46 dst_sel:DWORD dst_unused:UNUSED_PAD src0_sel:BYTE_0 src1_sel:DWORD
	v_or_b32_sdwa v48, v42, v47 dst_sel:WORD_1 dst_unused:UNUSED_PAD src0_sel:BYTE_0 src1_sel:DWORD
	v_or_b32_sdwa v48, v37, v48 dst_sel:DWORD dst_unused:UNUSED_PAD src0_sel:WORD_0 src1_sel:DWORD
	v_lshrrev_b32_e32 v37, 21, v38
	v_lshrrev_b32_e32 v50, 31, v38
	v_lshrrev_b16_e32 v49, 8, v37
	v_cmp_ne_u16_e32 vcc, 0, v50
	v_lshrrev_b32_e32 v38, 30, v38
	v_lshrrev_b16_e32 v37, 7, v37
	v_bfe_i32 v49, v49, 0, 1
	v_cndmask_b32_e64 v51, 0, -1, vcc
	v_lshlrev_b16_e32 v49, 8, v49
	v_bfe_i32 v50, v37, 0, 1
	v_bfe_i32 v38, v38, 0, 1
	v_lshlrev_b16_e32 v51, 8, v51
	v_or_b32_sdwa v37, v50, v49 dst_sel:DWORD dst_unused:UNUSED_PAD src0_sel:BYTE_0 src1_sel:DWORD
	v_or_b32_sdwa v52, v38, v51 dst_sel:WORD_1 dst_unused:UNUSED_PAD src0_sel:BYTE_0 src1_sel:DWORD
	v_or_b32_sdwa v52, v37, v52 dst_sel:DWORD dst_unused:UNUSED_PAD src0_sel:WORD_0 src1_sel:DWORD
	global_load_dwordx2 v[36:37], v36, s[12:13]
	v_lshlrev_b16_e32 v45, 8, v45
	v_lshlrev_b16_e32 v42, 8, v42
	;; [unrolled: 1-line block ×3, first 2 shown]
	v_dot4_i32_i8 v39, v34, v3, 0
	v_dot4_i32_i8 v39, v35, v4, v39
	s_waitcnt vmcnt(0)
	v_xor_b32_e32 v36, v36, v48
	v_and_b32_e32 v48, 0xffffff00, v36
	v_sub_i16 v46, v48, v46 clamp
	v_lshlrev_b16_e32 v48, 8, v36
	v_sub_i16 v45, v48, v45 clamp
	v_perm_b32 v45, v45, v46, s20
	v_and_b32_sdwa v46, v36, s19 dst_sel:DWORD dst_unused:UNUSED_PAD src0_sel:WORD_1 src1_sel:DWORD
	v_lshlrev_b16_sdwa v36, v30, v36 dst_sel:DWORD dst_unused:UNUSED_PAD src0_sel:DWORD src1_sel:WORD_1
	v_sub_i16 v46, v46, v47 clamp
	v_sub_i16 v36, v36, v42 clamp
	v_perm_b32 v36, v36, v46, s20
	v_xor_b32_e32 v37, v37, v52
	v_lshl_or_b32 v36, v36, 16, v45
	v_and_b32_e32 v42, 0xffffff00, v37
	v_lshlrev_b16_e32 v45, 8, v37
	v_lshlrev_b16_e32 v46, 8, v50
	v_sub_i16 v42, v42, v49 clamp
	v_sub_i16 v45, v45, v46 clamp
	v_perm_b32 v42, v45, v42, s20
	v_and_b32_sdwa v45, v37, s19 dst_sel:DWORD dst_unused:UNUSED_PAD src0_sel:WORD_1 src1_sel:DWORD
	v_lshlrev_b16_sdwa v37, v30, v37 dst_sel:DWORD dst_unused:UNUSED_PAD src0_sel:DWORD src1_sel:WORD_1
	v_sub_i16 v45, v45, v51 clamp
	v_sub_i16 v37, v37, v38 clamp
	v_perm_b32 v37, v37, v45, s20
	v_lshl_or_b32 v37, v37, 16, v42
	v_dot4_i32_i8 v38, v36, v5, v39
	v_dot4_i32_i8 v42, v37, v44, v38
	v_lshrrev_b32_e32 v38, 4, v40
	v_and_b32_e32 v39, 15, v40
	v_mul_lo_u32 v40, v41, v39
	v_mul_lo_u32 v45, v42, v38
	v_add_u32_e32 v41, v42, v41
	v_lshrrev_b32_e32 v42, 31, v41
	v_add_u32_e32 v41, v41, v42
	v_ashrrev_i32_e32 v41, 1, v41
	v_add3_u32 v40, v45, v40, v41
	v_ashrrev_i32_e32 v41, 31, v40
	v_lshrrev_b32_e32 v41, 30, v41
	v_add_u32_e32 v40, v40, v41
	v_ashrrev_i32_e32 v41, 2, v40
	v_cvt_f32_f16_e32 v40, v16
	v_cvt_f32_i32_e32 v17, v41
	v_mul_f32_e32 v16, v40, v43
	v_fmac_f32_e32 v23, v16, v17
	v_add_u32_e32 v16, s15, v24
	v_mad_i64_i32 v[16:17], s[22:23], v16, s16, v[14:15]
	v_add_u32_e32 v24, 16, v24
	v_add_co_u32_e32 v41, vcc, v16, v29
	v_addc_co_u32_e32 v42, vcc, 0, v17, vcc
	v_add_co_u32_e32 v45, vcc, v16, v25
	global_load_dword v47, v[41:42], off offset:2
	v_addc_co_u32_e32 v46, vcc, 0, v17, vcc
	global_load_ubyte v49, v[45:46], off offset:66
	global_load_dword v50, v[41:42], off offset:34
	global_load_ubyte v52, v[45:46], off offset:74
	s_waitcnt vmcnt(3)
	v_and_b32_e32 v41, 0xff, v47
	global_load_ushort v16, v[16:17], off
	s_waitcnt vmcnt(3)
	v_lshlrev_b32_e32 v42, 8, v49
	v_and_or_b32 v41, v42, s17, v41
	s_waitcnt vmcnt(2)
	v_and_b32_e32 v42, 0xff, v50
	v_lshlrev_b32_e32 v45, 21, v50
	v_lshl_or_b32 v45, v42, 7, v45
	v_and_b32_e32 v46, 0x1800180, v45
	v_bfe_u32 v45, v45, 24, 1
	v_cmp_ne_u16_e32 vcc, 0, v45
	v_cmp_ne_u16_sdwa s[22:23], v46, v26 src0_sel:BYTE_1 src1_sel:DWORD
	v_lshrrev_b16_e32 v45, 7, v46
	v_lshrrev_b32_e32 v46, 2, v50
	v_cndmask_b32_e64 v53, 0, -1, s[22:23]
	v_cndmask_b32_e64 v55, 0, -1, vcc
	v_bfe_i32 v45, v45, 0, 1
	v_lshlrev_b16_e32 v53, 8, v53
	v_lshlrev_b16_e32 v55, 8, v55
	v_bfe_i32 v46, v46, 0, 1
	v_or_b32_sdwa v54, v45, v53 dst_sel:DWORD dst_unused:UNUSED_PAD src0_sel:BYTE_0 src1_sel:DWORD
	v_or_b32_sdwa v56, v46, v55 dst_sel:WORD_1 dst_unused:UNUSED_PAD src0_sel:BYTE_0 src1_sel:DWORD
	v_or_b32_sdwa v54, v54, v56 dst_sel:DWORD dst_unused:UNUSED_PAD src0_sel:WORD_0 src1_sel:DWORD
	v_lshlrev_b32_e32 v56, 17, v50
	v_lshl_or_b32 v42, v42, 3, v56
	v_and_b32_e32 v56, 0x1800180, v42
	v_bfe_u32 v42, v42, 24, 1
	v_cmp_ne_u16_e32 vcc, 0, v42
	v_cmp_ne_u16_sdwa s[22:23], v56, v26 src0_sel:BYTE_1 src1_sel:DWORD
	v_lshrrev_b16_e32 v42, 7, v56
	v_lshrrev_b32_e32 v56, 6, v50
	v_bfe_i32 v57, v42, 0, 1
	v_cndmask_b32_e64 v42, 0, -1, s[22:23]
	v_cndmask_b32_e64 v59, 0, -1, vcc
	v_lshlrev_b16_e32 v58, 8, v42
	v_lshlrev_b16_e32 v59, 8, v59
	v_bfe_i32 v56, v56, 0, 1
	v_lshlrev_b32_e32 v41, 3, v41
	v_or_b32_sdwa v42, v57, v58 dst_sel:DWORD dst_unused:UNUSED_PAD src0_sel:BYTE_0 src1_sel:DWORD
	v_or_b32_sdwa v60, v56, v59 dst_sel:WORD_1 dst_unused:UNUSED_PAD src0_sel:BYTE_0 src1_sel:DWORD
	v_or_b32_sdwa v60, v42, v60 dst_sel:DWORD dst_unused:UNUSED_PAD src0_sel:WORD_0 src1_sel:DWORD
	global_load_dwordx2 v[41:42], v41, s[12:13]
	v_lshlrev_b16_e32 v45, 8, v45
	v_lshlrev_b16_e32 v46, 8, v46
	v_lshrrev_b32_e32 v51, 16, v50
	v_lshrrev_b32_e32 v48, 24, v47
	s_waitcnt vmcnt(1)
	v_cvt_f32_f16_e32 v16, v16
	v_mul_f32_e32 v17, v16, v43
	s_waitcnt vmcnt(0)
	v_xor_b32_e32 v41, v41, v54
	v_and_b32_e32 v54, 0xffffff00, v41
	v_sub_i16 v53, v54, v53 clamp
	v_lshlrev_b16_e32 v54, 8, v41
	v_sub_i16 v45, v54, v45 clamp
	v_perm_b32 v45, v45, v53, s20
	v_and_b32_sdwa v53, v41, s19 dst_sel:DWORD dst_unused:UNUSED_PAD src0_sel:WORD_1 src1_sel:DWORD
	v_lshlrev_b16_sdwa v41, v30, v41 dst_sel:DWORD dst_unused:UNUSED_PAD src0_sel:DWORD src1_sel:WORD_1
	v_sub_i16 v53, v53, v55 clamp
	v_sub_i16 v41, v41, v46 clamp
	v_perm_b32 v41, v41, v53, s20
	v_xor_b32_e32 v42, v42, v60
	v_lshl_or_b32 v41, v41, 16, v45
	v_and_b32_e32 v45, 0xffffff00, v42
	v_lshlrev_b16_e32 v46, 8, v42
	v_lshlrev_b16_e32 v53, 8, v57
	v_sub_i16 v45, v45, v58 clamp
	v_sub_i16 v46, v46, v53 clamp
	v_perm_b32 v45, v46, v45, s20
	v_and_b32_sdwa v46, v42, s19 dst_sel:DWORD dst_unused:UNUSED_PAD src0_sel:WORD_1 src1_sel:DWORD
	v_lshlrev_b16_sdwa v42, v30, v42 dst_sel:DWORD dst_unused:UNUSED_PAD src0_sel:DWORD src1_sel:WORD_1
	v_lshlrev_b16_e32 v53, 8, v56
	v_sub_i16 v46, v46, v59 clamp
	v_sub_i16 v42, v42, v53 clamp
	v_perm_b32 v42, v42, v46, s20
	v_lshl_or_b32 v42, v42, 16, v45
	v_dot4_i32_i8 v7, v41, v7, 0
	v_dot4_i32_i8 v45, v42, v8, v7
	v_bfe_u32 v7, v47, 8, 8
	v_lshlrev_b32_e32 v8, 6, v49
	v_and_or_b32 v7, v8, s17, v7
	v_lshrrev_b32_e32 v8, 1, v50
	v_and_b32_e32 v8, 0x180, v8
	v_lshrrev_b32_e32 v46, 11, v50
	v_cmp_ne_u16_sdwa s[22:23], v8, v26 src0_sel:BYTE_1 src1_sel:DWORD
	v_lshrrev_b16_e32 v8, 7, v8
	v_lshrrev_b32_e32 v53, 10, v50
	v_bfe_i32 v54, v8, 0, 1
	v_cndmask_b32_e64 v8, 0, -1, s[22:23]
	v_bfe_i32 v46, v46, 0, 1
	v_lshlrev_b16_e32 v55, 8, v8
	v_lshlrev_b16_e32 v46, 8, v46
	v_bfe_i32 v53, v53, 0, 1
	v_or_b32_sdwa v8, v54, v55 dst_sel:DWORD dst_unused:UNUSED_PAD src0_sel:BYTE_0 src1_sel:DWORD
	v_or_b32_sdwa v56, v53, v46 dst_sel:WORD_1 dst_unused:UNUSED_PAD src0_sel:BYTE_0 src1_sel:DWORD
	v_or_b32_sdwa v56, v8, v56 dst_sel:DWORD dst_unused:UNUSED_PAD src0_sel:WORD_0 src1_sel:DWORD
	v_lshrrev_b32_e32 v8, 5, v50
	v_and_b32_e32 v8, 0x180, v8
	v_lshrrev_b32_e32 v57, 15, v50
	v_cmp_ne_u16_sdwa s[22:23], v8, v26 src0_sel:BYTE_1 src1_sel:DWORD
	v_lshrrev_b16_e32 v8, 7, v8
	v_lshrrev_b32_e32 v58, 14, v50
	v_bfe_i32 v59, v8, 0, 1
	v_cndmask_b32_e64 v8, 0, -1, s[22:23]
	v_bfe_i32 v57, v57, 0, 1
	v_lshlrev_b16_e32 v60, 8, v8
	v_lshlrev_b16_e32 v57, 8, v57
	v_bfe_i32 v58, v58, 0, 1
	v_lshlrev_b32_e32 v7, 3, v7
	v_or_b32_sdwa v8, v59, v60 dst_sel:DWORD dst_unused:UNUSED_PAD src0_sel:BYTE_0 src1_sel:DWORD
	v_or_b32_sdwa v61, v58, v57 dst_sel:WORD_1 dst_unused:UNUSED_PAD src0_sel:BYTE_0 src1_sel:DWORD
	v_or_b32_sdwa v61, v8, v61 dst_sel:DWORD dst_unused:UNUSED_PAD src0_sel:WORD_0 src1_sel:DWORD
	global_load_dwordx2 v[7:8], v7, s[12:13]
	v_lshlrev_b16_e32 v54, 8, v54
	v_lshlrev_b16_e32 v53, 8, v53
	s_waitcnt vmcnt(0)
	v_xor_b32_e32 v7, v7, v56
	v_and_b32_e32 v56, 0xffffff00, v7
	v_sub_i16 v55, v56, v55 clamp
	v_lshlrev_b16_e32 v56, 8, v7
	v_sub_i16 v54, v56, v54 clamp
	v_perm_b32 v54, v54, v55, s20
	v_and_b32_sdwa v55, v7, s19 dst_sel:DWORD dst_unused:UNUSED_PAD src0_sel:WORD_1 src1_sel:DWORD
	v_lshlrev_b16_sdwa v7, v30, v7 dst_sel:DWORD dst_unused:UNUSED_PAD src0_sel:DWORD src1_sel:WORD_1
	v_sub_i16 v46, v55, v46 clamp
	v_sub_i16 v7, v7, v53 clamp
	v_perm_b32 v7, v7, v46, s20
	v_xor_b32_e32 v8, v8, v61
	v_lshl_or_b32 v7, v7, 16, v54
	v_and_b32_e32 v46, 0xffffff00, v8
	v_lshlrev_b16_e32 v53, 8, v8
	v_lshlrev_b16_e32 v54, 8, v59
	v_sub_i16 v46, v46, v60 clamp
	v_sub_i16 v53, v53, v54 clamp
	v_perm_b32 v46, v53, v46, s20
	v_and_b32_sdwa v53, v8, s19 dst_sel:DWORD dst_unused:UNUSED_PAD src0_sel:WORD_1 src1_sel:DWORD
	v_lshlrev_b16_sdwa v8, v30, v8 dst_sel:DWORD dst_unused:UNUSED_PAD src0_sel:DWORD src1_sel:WORD_1
	v_lshlrev_b16_e32 v54, 8, v58
	v_sub_i16 v53, v53, v57 clamp
	v_sub_i16 v8, v8, v54 clamp
	v_perm_b32 v8, v8, v53, s20
	v_lshl_or_b32 v8, v8, 16, v46
	v_dot4_i32_i8 v9, v7, v9, v45
	v_dot4_i32_i8 v53, v8, v2, v9
	v_bfe_u32 v2, v47, 16, 8
	v_lshlrev_b32_e32 v9, 4, v49
	v_and_or_b32 v2, v9, s17, v2
	v_lshrrev_b32_e32 v9, 9, v50
	v_lshl_or_b32 v9, v51, 21, v9
	v_and_b32_e32 v45, 0x1800180, v9
	v_bfe_u32 v9, v9, 24, 1
	v_cmp_ne_u16_e32 vcc, 0, v9
	v_cmp_ne_u16_sdwa s[22:23], v45, v26 src0_sel:BYTE_1 src1_sel:DWORD
	v_lshrrev_b16_e32 v9, 7, v45
	v_lshrrev_b32_e32 v45, 18, v50
	v_cndmask_b32_e64 v46, 0, -1, s[22:23]
	v_cndmask_b32_e64 v54, 0, -1, vcc
	v_bfe_i32 v9, v9, 0, 1
	v_lshlrev_b16_e32 v47, 8, v46
	v_lshlrev_b16_e32 v54, 8, v54
	v_bfe_i32 v55, v45, 0, 1
	v_or_b32_sdwa v46, v9, v47 dst_sel:DWORD dst_unused:UNUSED_PAD src0_sel:BYTE_0 src1_sel:DWORD
	v_or_b32_sdwa v45, v55, v54 dst_sel:WORD_1 dst_unused:UNUSED_PAD src0_sel:BYTE_0 src1_sel:DWORD
	v_or_b32_sdwa v56, v46, v45 dst_sel:DWORD dst_unused:UNUSED_PAD src0_sel:WORD_0 src1_sel:DWORD
	v_lshrrev_b32_e32 v45, 13, v50
	v_lshl_or_b32 v45, v51, 17, v45
	v_and_b32_e32 v46, 0x1800180, v45
	v_bfe_u32 v45, v45, 24, 1
	v_cmp_ne_u16_e32 vcc, 0, v45
	v_cmp_ne_u16_sdwa s[22:23], v46, v26 src0_sel:BYTE_1 src1_sel:DWORD
	v_lshrrev_b16_e32 v45, 7, v46
	v_lshrrev_b32_e32 v46, 22, v50
	v_bfe_i32 v51, v45, 0, 1
	v_cndmask_b32_e64 v45, 0, -1, s[22:23]
	v_cndmask_b32_e64 v58, 0, -1, vcc
	v_lshlrev_b16_e32 v57, 8, v45
	v_lshlrev_b16_e32 v58, 8, v58
	v_bfe_i32 v59, v46, 0, 1
	v_lshlrev_b32_e32 v2, 3, v2
	v_or_b32_sdwa v45, v51, v57 dst_sel:DWORD dst_unused:UNUSED_PAD src0_sel:BYTE_0 src1_sel:DWORD
	v_or_b32_sdwa v46, v59, v58 dst_sel:WORD_1 dst_unused:UNUSED_PAD src0_sel:BYTE_0 src1_sel:DWORD
	v_or_b32_sdwa v60, v45, v46 dst_sel:DWORD dst_unused:UNUSED_PAD src0_sel:WORD_0 src1_sel:DWORD
	global_load_dwordx2 v[45:46], v2, s[12:13]
	v_lshlrev_b16_e32 v9, 8, v9
	s_waitcnt vmcnt(0)
	v_xor_b32_e32 v2, v45, v56
	v_and_b32_e32 v45, 0xffffff00, v2
	v_sub_i16 v45, v45, v47 clamp
	v_lshlrev_b16_e32 v47, 8, v2
	v_sub_i16 v9, v47, v9 clamp
	v_perm_b32 v9, v9, v45, s20
	v_and_b32_sdwa v45, v2, s19 dst_sel:DWORD dst_unused:UNUSED_PAD src0_sel:WORD_1 src1_sel:DWORD
	v_lshlrev_b16_sdwa v2, v30, v2 dst_sel:DWORD dst_unused:UNUSED_PAD src0_sel:DWORD src1_sel:WORD_1
	v_lshlrev_b16_e32 v47, 8, v55
	v_sub_i16 v45, v45, v54 clamp
	v_sub_i16 v2, v2, v47 clamp
	v_perm_b32 v2, v2, v45, s20
	v_lshl_or_b32 v2, v2, 16, v9
	v_xor_b32_e32 v9, v46, v60
	v_and_b32_e32 v45, 0xffffff00, v9
	v_lshlrev_b16_e32 v46, 8, v9
	v_lshlrev_b16_e32 v47, 8, v51
	v_sub_i16 v45, v45, v57 clamp
	v_sub_i16 v46, v46, v47 clamp
	v_perm_b32 v45, v46, v45, s20
	v_and_b32_sdwa v46, v9, s19 dst_sel:DWORD dst_unused:UNUSED_PAD src0_sel:WORD_1 src1_sel:DWORD
	v_lshlrev_b16_sdwa v9, v30, v9 dst_sel:DWORD dst_unused:UNUSED_PAD src0_sel:DWORD src1_sel:WORD_1
	v_lshlrev_b16_e32 v47, 8, v59
	v_sub_i16 v46, v46, v58 clamp
	v_sub_i16 v9, v9, v47 clamp
	v_perm_b32 v9, v9, v46, s20
	v_lshl_or_b32 v9, v9, 16, v45
	v_dot4_i32_i8 v3, v2, v3, 0
	v_dot4_i32_i8 v45, v9, v4, v3
	v_lshrrev_b32_e32 v4, 17, v50
	v_lshrrev_b32_e32 v46, 24, v50
	v_lshl_or_b32 v4, v46, 21, v4
	v_and_b32_e32 v46, 0x1800180, v4
	v_bfe_u32 v4, v4, 24, 1
	v_cmp_ne_u16_e32 vcc, 0, v4
	v_cmp_ne_u16_sdwa s[22:23], v46, v26 src0_sel:BYTE_1 src1_sel:DWORD
	v_lshrrev_b16_e32 v4, 7, v46
	v_lshlrev_b32_e32 v3, 2, v49
	v_lshrrev_b32_e32 v46, 26, v50
	v_bfe_i32 v47, v4, 0, 1
	v_cndmask_b32_e64 v4, 0, -1, s[22:23]
	v_cndmask_b32_e64 v49, 0, -1, vcc
	v_and_or_b32 v3, v3, s17, v48
	v_lshlrev_b16_e32 v48, 8, v4
	v_lshlrev_b16_e32 v49, 8, v49
	v_bfe_i32 v46, v46, 0, 1
	v_or_b32_sdwa v4, v47, v48 dst_sel:DWORD dst_unused:UNUSED_PAD src0_sel:BYTE_0 src1_sel:DWORD
	v_or_b32_sdwa v51, v46, v49 dst_sel:WORD_1 dst_unused:UNUSED_PAD src0_sel:BYTE_0 src1_sel:DWORD
	v_or_b32_sdwa v51, v4, v51 dst_sel:DWORD dst_unused:UNUSED_PAD src0_sel:WORD_0 src1_sel:DWORD
	v_lshrrev_b32_e32 v4, 21, v50
	v_lshrrev_b32_e32 v55, 31, v50
	v_lshrrev_b16_e32 v54, 8, v4
	v_cmp_ne_u16_e32 vcc, 0, v55
	v_lshrrev_b32_e32 v50, 30, v50
	v_lshrrev_b16_e32 v4, 7, v4
	v_bfe_i32 v54, v54, 0, 1
	v_cndmask_b32_e64 v56, 0, -1, vcc
	v_lshlrev_b16_e32 v54, 8, v54
	v_bfe_i32 v55, v4, 0, 1
	v_bfe_i32 v50, v50, 0, 1
	v_lshlrev_b16_e32 v56, 8, v56
	v_lshlrev_b32_e32 v3, 3, v3
	v_or_b32_sdwa v4, v55, v54 dst_sel:DWORD dst_unused:UNUSED_PAD src0_sel:BYTE_0 src1_sel:DWORD
	v_or_b32_sdwa v57, v50, v56 dst_sel:WORD_1 dst_unused:UNUSED_PAD src0_sel:BYTE_0 src1_sel:DWORD
	v_or_b32_sdwa v57, v4, v57 dst_sel:DWORD dst_unused:UNUSED_PAD src0_sel:WORD_0 src1_sel:DWORD
	global_load_dwordx2 v[3:4], v3, s[12:13]
	v_lshlrev_b16_e32 v47, 8, v47
	v_lshlrev_b16_e32 v46, 8, v46
	v_add_co_u32_e32 v12, vcc, 0x1200, v12
	v_addc_co_u32_e32 v13, vcc, 0, v13, vcc
	v_cmp_le_u32_e32 vcc, s9, v24
	s_or_b64 s[0:1], vcc, s[0:1]
	s_waitcnt vmcnt(0)
	v_xor_b32_e32 v3, v3, v51
	v_and_b32_e32 v51, 0xffffff00, v3
	v_sub_i16 v48, v51, v48 clamp
	v_lshlrev_b16_e32 v51, 8, v3
	v_sub_i16 v47, v51, v47 clamp
	v_perm_b32 v47, v47, v48, s20
	v_and_b32_sdwa v48, v3, s19 dst_sel:DWORD dst_unused:UNUSED_PAD src0_sel:WORD_1 src1_sel:DWORD
	v_lshlrev_b16_sdwa v3, v30, v3 dst_sel:DWORD dst_unused:UNUSED_PAD src0_sel:DWORD src1_sel:WORD_1
	v_sub_i16 v48, v48, v49 clamp
	v_sub_i16 v3, v3, v46 clamp
	v_perm_b32 v3, v3, v48, s20
	v_xor_b32_e32 v4, v4, v57
	v_lshl_or_b32 v3, v3, 16, v47
	v_and_b32_e32 v46, 0xffffff00, v4
	v_lshlrev_b16_e32 v47, 8, v4
	v_lshlrev_b16_e32 v48, 8, v55
	v_sub_i16 v46, v46, v54 clamp
	v_sub_i16 v47, v47, v48 clamp
	v_perm_b32 v46, v47, v46, s20
	v_and_b32_sdwa v47, v4, s19 dst_sel:DWORD dst_unused:UNUSED_PAD src0_sel:WORD_1 src1_sel:DWORD
	v_lshlrev_b16_sdwa v4, v30, v4 dst_sel:DWORD dst_unused:UNUSED_PAD src0_sel:DWORD src1_sel:WORD_1
	v_lshlrev_b16_e32 v48, 8, v50
	v_sub_i16 v47, v47, v56 clamp
	v_sub_i16 v4, v4, v48 clamp
	v_perm_b32 v4, v4, v47, s20
	v_lshl_or_b32 v4, v4, 16, v46
	v_dot4_i32_i8 v5, v3, v5, v45
	v_dot4_i32_i8 v45, v4, v44, v5
	v_lshrrev_b32_e32 v5, 4, v52
	v_and_b32_e32 v44, 15, v52
	v_mul_lo_u32 v46, v53, v44
	v_mul_lo_u32 v47, v45, v5
	v_add_u32_e32 v45, v45, v53
	v_lshrrev_b32_e32 v48, 31, v45
	v_add_u32_e32 v45, v45, v48
	v_ashrrev_i32_e32 v45, 1, v45
	v_add3_u32 v45, v47, v46, v45
	v_ashrrev_i32_e32 v46, 31, v45
	v_lshrrev_b32_e32 v46, 30, v46
	v_add_u32_e32 v45, v45, v46
	v_ashrrev_i32_e32 v45, 2, v45
	v_cvt_f32_i32_e32 v43, v45
	v_mad_u64_u32 v[53:54], s[12:13], v27, 36, v[10:11]
	v_add_u32_e32 v27, 0x80, v27
	v_fmac_f32_e32 v22, v17, v43
	global_load_dword v17, v[53:54], off offset:32
	global_load_dwordx4 v[45:48], v[53:54], off offset:16
	global_load_dwordx4 v[49:52], v[53:54], off
	s_waitcnt vmcnt(1)
	v_dot4_i32_i8 v53, v34, v46, 0
	s_waitcnt vmcnt(0)
	v_cvt_f32_f16_e32 v43, v49
	v_dot4_i32_i8 v49, v6, v50, 0
	v_dot4_i32_i8 v49, v31, v51, v49
	v_dot4_i32_i8 v53, v35, v47, v53
	v_dot4_i32_i8 v49, v32, v52, v49
	v_dot4_i32_i8 v53, v36, v48, v53
	v_dot4_i32_i8 v49, v33, v45, v49
	v_dot4_i32_i8 v53, v37, v17, v53
	v_mul_lo_u32 v54, v49, v39
	v_mul_lo_u32 v55, v53, v38
	v_add_u32_e32 v49, v53, v49
	v_lshrrev_b32_e32 v53, 31, v49
	v_add_u32_e32 v49, v49, v53
	v_ashrrev_i32_e32 v49, 1, v49
	v_add3_u32 v49, v55, v54, v49
	v_ashrrev_i32_e32 v53, 31, v49
	v_lshrrev_b32_e32 v53, 30, v53
	v_add_u32_e32 v49, v49, v53
	v_ashrrev_i32_e32 v49, 2, v49
	v_cvt_f32_i32_e32 v49, v49
	v_mul_f32_e32 v53, v40, v43
	v_dot4_i32_i8 v46, v2, v46, 0
	v_dot4_i32_i8 v46, v9, v47, v46
	v_fmac_f32_e32 v21, v53, v49
	v_dot4_i32_i8 v49, v41, v50, 0
	v_dot4_i32_i8 v49, v42, v51, v49
	;; [unrolled: 1-line block ×6, first 2 shown]
	v_mul_lo_u32 v46, v45, v44
	v_mul_lo_u32 v47, v17, v5
	v_add_u32_e32 v17, v17, v45
	v_lshrrev_b32_e32 v45, 31, v17
	v_add_u32_e32 v17, v17, v45
	v_ashrrev_i32_e32 v17, 1, v17
	v_add3_u32 v17, v47, v46, v17
	v_ashrrev_i32_e32 v45, 31, v17
	v_lshrrev_b32_e32 v45, 30, v45
	v_add_u32_e32 v17, v17, v45
	v_ashrrev_i32_e32 v17, 2, v17
	v_cvt_f32_i32_e32 v17, v17
	v_mad_u64_u32 v[53:54], s[12:13], v28, 36, v[10:11]
	v_mul_f32_e32 v43, v16, v43
	v_fmac_f32_e32 v20, v43, v17
	global_load_dword v43, v[53:54], off offset:32
	global_load_dwordx4 v[45:48], v[53:54], off offset:16
	global_load_dwordx4 v[49:52], v[53:54], off
	v_add_u32_e32 v28, 0x80, v28
	s_waitcnt vmcnt(1)
	v_dot4_i32_i8 v2, v2, v46, 0
	s_waitcnt vmcnt(0)
	v_dot4_i32_i8 v6, v6, v50, 0
	v_dot4_i32_i8 v6, v31, v51, v6
	;; [unrolled: 1-line block ×8, first 2 shown]
	v_mul_lo_u32 v32, v6, v39
	v_mul_lo_u32 v33, v31, v38
	v_add_u32_e32 v6, v31, v6
	v_lshrrev_b32_e32 v31, 31, v6
	v_add_u32_e32 v6, v6, v31
	v_ashrrev_i32_e32 v6, 1, v6
	v_add3_u32 v6, v33, v32, v6
	v_ashrrev_i32_e32 v31, 31, v6
	v_lshrrev_b32_e32 v31, 30, v31
	v_add_u32_e32 v6, v6, v31
	v_cvt_f32_f16_e32 v17, v49
	v_ashrrev_i32_e32 v6, 2, v6
	v_cvt_f32_i32_e32 v6, v6
	v_dot4_i32_i8 v2, v9, v47, v2
	v_mul_f32_e32 v31, v40, v17
	v_dot4_i32_i8 v2, v3, v48, v2
	v_fmac_f32_e32 v19, v31, v6
	v_dot4_i32_i8 v6, v41, v50, 0
	v_dot4_i32_i8 v6, v42, v51, v6
	;; [unrolled: 1-line block ×5, first 2 shown]
	v_mul_lo_u32 v3, v6, v44
	v_mul_lo_u32 v4, v2, v5
	v_add_u32_e32 v2, v2, v6
	v_lshrrev_b32_e32 v5, 31, v2
	v_add_u32_e32 v2, v2, v5
	v_ashrrev_i32_e32 v2, 1, v2
	v_add3_u32 v2, v4, v3, v2
	v_ashrrev_i32_e32 v3, 31, v2
	v_lshrrev_b32_e32 v3, 30, v3
	v_add_u32_e32 v2, v2, v3
	v_ashrrev_i32_e32 v2, 2, v2
	v_cvt_f32_i32_e32 v2, v2
	v_mul_f32_e32 v3, v16, v17
	v_fmac_f32_e32 v18, v3, v2
	s_andn2_b64 exec, exec, s[0:1]
	s_cbranch_execnz .LBB186_2
; %bb.3:
	s_or_b64 exec, exec, s[0:1]
.LBB186_4:
	s_or_b64 exec, exec, s[10:11]
	v_cmp_eq_u32_e32 vcc, 0, v1
	v_cmp_ne_u32_e64 s[0:1], 0, v1
	s_and_saveexec_b64 s[10:11], s[0:1]
	s_cbranch_execz .LBB186_6
; %bb.5:
	v_mul_u32_u24_e32 v1, 0x600, v1
	v_lshl_or_b32 v1, v0, 2, v1
	v_add_u32_e32 v1, 0xfffffa00, v1
	ds_write2st64_b32 v1, v23, v22 offset1:1
	ds_write2st64_b32 v1, v21, v20 offset0:2 offset1:3
	ds_write2st64_b32 v1, v19, v18 offset0:4 offset1:5
.LBB186_6:
	s_or_b64 exec, exec, s[10:11]
	s_waitcnt lgkmcnt(0)
	s_barrier
	s_and_saveexec_b64 s[0:1], vcc
	s_cbranch_execz .LBB186_13
; %bb.7:
	v_lshlrev_b32_e32 v3, 2, v0
	v_mbcnt_lo_u32_b32 v1, -1, 0
	v_mbcnt_hi_u32_b32 v7, -1, v1
	ds_read2st64_b32 v[5:6], v3 offset1:1
	v_and_b32_e32 v1, 64, v7
	v_add_u32_e32 v8, 64, v1
	v_xor_b32_e32 v1, 32, v7
	v_cmp_lt_i32_e32 vcc, v1, v8
	v_cndmask_b32_e32 v1, v7, v1, vcc
	v_lshlrev_b32_e32 v1, 2, v1
	s_waitcnt lgkmcnt(0)
	v_add_f32_e32 v10, v5, v23
	v_add_f32_e32 v6, v6, v22
	ds_bpermute_b32 v11, v1, v10
	ds_bpermute_b32 v12, v1, v6
	v_xor_b32_e32 v2, 16, v7
	v_cmp_lt_i32_e32 vcc, v2, v8
	v_cndmask_b32_e32 v2, v7, v2, vcc
	v_lshlrev_b32_e32 v2, 2, v2
	s_waitcnt lgkmcnt(1)
	v_add_f32_e32 v10, v10, v11
	s_waitcnt lgkmcnt(0)
	v_add_f32_e32 v6, v6, v12
	ds_bpermute_b32 v11, v2, v10
	ds_bpermute_b32 v12, v2, v6
	v_xor_b32_e32 v4, 8, v7
	v_cmp_lt_i32_e32 vcc, v4, v8
	v_cndmask_b32_e32 v4, v7, v4, vcc
	v_lshlrev_b32_e32 v4, 2, v4
	s_waitcnt lgkmcnt(1)
	v_add_f32_e32 v10, v10, v11
	s_waitcnt lgkmcnt(0)
	v_add_f32_e32 v12, v6, v12
	ds_bpermute_b32 v11, v4, v10
	ds_bpermute_b32 v13, v4, v12
	v_xor_b32_e32 v9, 4, v7
	v_cmp_lt_i32_e32 vcc, v9, v8
	v_cndmask_b32_e32 v9, v7, v9, vcc
	v_lshlrev_b32_e32 v5, 2, v9
	s_waitcnt lgkmcnt(1)
	v_add_f32_e32 v10, v10, v11
	s_waitcnt lgkmcnt(0)
	v_add_f32_e32 v12, v12, v13
	ds_bpermute_b32 v11, v5, v10
	ds_bpermute_b32 v13, v5, v12
	v_xor_b32_e32 v9, 2, v7
	v_cmp_lt_i32_e32 vcc, v9, v8
	v_cndmask_b32_e32 v9, v7, v9, vcc
	v_lshlrev_b32_e32 v6, 2, v9
	v_xor_b32_e32 v9, 1, v7
	v_cmp_lt_i32_e32 vcc, v9, v8
	s_waitcnt lgkmcnt(1)
	v_add_f32_e32 v8, v10, v11
	s_waitcnt lgkmcnt(0)
	v_add_f32_e32 v11, v12, v13
	ds_bpermute_b32 v10, v6, v8
	ds_bpermute_b32 v12, v6, v11
	s_load_dwordx2 s[0:1], s[4:5], 0x38
	v_cndmask_b32_e32 v7, v7, v9, vcc
	s_mul_i32 s4, s14, s7
	v_lshlrev_b32_e32 v9, 2, v7
	s_waitcnt lgkmcnt(0)
	v_add_f32_e32 v7, v8, v10
	v_add_f32_e32 v10, v11, v12
	s_mul_i32 s3, s18, s8
	s_add_i32 s4, s4, s6
	ds_bpermute_b32 v8, v9, v7
	ds_bpermute_b32 v11, v9, v10
	s_add_i32 s4, s4, s3
	s_mov_b32 s5, 0
	s_lshl_b64 s[4:5], s[4:5], 2
	s_add_u32 s4, s0, s4
	v_add_u32_e32 v12, s6, v0
	s_addc_u32 s5, s1, s5
	v_cmp_gt_u32_e32 vcc, 2, v0
	v_cmp_gt_u32_e64 s[0:1], s2, v12
	s_and_b64 s[0:1], vcc, s[0:1]
	s_waitcnt lgkmcnt(1)
	v_add_f32_e32 v7, v7, v8
	s_waitcnt lgkmcnt(0)
	v_add_f32_e32 v8, v10, v11
	s_and_saveexec_b64 s[6:7], s[0:1]
	s_cbranch_execz .LBB186_9
; %bb.8:
	v_cmp_eq_u32_e32 vcc, 1, v0
	v_cndmask_b32_e32 v10, v7, v8, vcc
	v_cmp_eq_u32_e32 vcc, 2, v0
	v_cndmask_b32_e32 v10, v10, v21, vcc
	;; [unrolled: 2-line block ×5, first 2 shown]
	global_store_dword v3, v10, s[4:5]
.LBB186_9:
	s_or_b64 exec, exec, s[6:7]
	ds_read2st64_b32 v[10:11], v3 offset0:2 offset1:3
	s_waitcnt lgkmcnt(0)
	v_add_f32_e32 v10, v10, v21
	v_add_f32_e32 v11, v11, v20
	ds_bpermute_b32 v12, v1, v10
	ds_bpermute_b32 v13, v1, v11
	s_waitcnt lgkmcnt(1)
	v_add_f32_e32 v10, v10, v12
	s_waitcnt lgkmcnt(0)
	v_add_f32_e32 v11, v11, v13
	ds_bpermute_b32 v12, v2, v10
	ds_bpermute_b32 v13, v2, v11
	s_waitcnt lgkmcnt(1)
	v_add_f32_e32 v10, v10, v12
	s_waitcnt lgkmcnt(0)
	v_add_f32_e32 v11, v11, v13
	ds_bpermute_b32 v12, v4, v10
	ds_bpermute_b32 v13, v4, v11
	s_waitcnt lgkmcnt(1)
	v_add_f32_e32 v10, v10, v12
	s_waitcnt lgkmcnt(0)
	v_add_f32_e32 v11, v11, v13
	ds_bpermute_b32 v12, v5, v10
	ds_bpermute_b32 v13, v5, v11
	s_waitcnt lgkmcnt(1)
	v_add_f32_e32 v10, v10, v12
	s_waitcnt lgkmcnt(0)
	v_add_f32_e32 v11, v11, v13
	ds_bpermute_b32 v12, v6, v10
	ds_bpermute_b32 v13, v6, v11
	s_waitcnt lgkmcnt(1)
	v_add_f32_e32 v10, v10, v12
	s_waitcnt lgkmcnt(0)
	v_add_f32_e32 v12, v11, v13
	ds_bpermute_b32 v11, v9, v10
	ds_bpermute_b32 v13, v9, v12
	s_waitcnt lgkmcnt(1)
	v_add_f32_e32 v11, v10, v11
	s_waitcnt lgkmcnt(0)
	v_add_f32_e32 v10, v12, v13
	s_and_saveexec_b64 s[6:7], s[0:1]
	s_cbranch_execz .LBB186_11
; %bb.10:
	v_add_u32_e32 v12, 2, v0
	v_cmp_eq_u32_e32 vcc, 1, v12
	v_cndmask_b32_e32 v13, v7, v8, vcc
	v_cmp_eq_u32_e32 vcc, 2, v12
	v_cndmask_b32_e32 v13, v13, v11, vcc
	;; [unrolled: 2-line block ×5, first 2 shown]
	v_add_u32_e32 v12, s2, v0
	v_mov_b32_e32 v13, 0
	v_lshlrev_b64 v[12:13], 2, v[12:13]
	v_mov_b32_e32 v15, s5
	v_add_co_u32_e32 v12, vcc, s4, v12
	v_addc_co_u32_e32 v13, vcc, v15, v13, vcc
	global_store_dword v[12:13], v14, off
.LBB186_11:
	s_or_b64 exec, exec, s[6:7]
	ds_read2st64_b32 v[12:13], v3 offset0:4 offset1:5
	s_waitcnt lgkmcnt(0)
	v_add_f32_e32 v3, v12, v19
	v_add_f32_e32 v12, v13, v18
	ds_bpermute_b32 v13, v1, v3
	ds_bpermute_b32 v1, v1, v12
	s_waitcnt lgkmcnt(1)
	v_add_f32_e32 v3, v3, v13
	s_waitcnt lgkmcnt(0)
	v_add_f32_e32 v1, v12, v1
	ds_bpermute_b32 v12, v2, v3
	ds_bpermute_b32 v2, v2, v1
	s_waitcnt lgkmcnt(1)
	v_add_f32_e32 v3, v3, v12
	s_waitcnt lgkmcnt(0)
	;; [unrolled: 6-line block ×5, first 2 shown]
	v_add_f32_e32 v2, v3, v4
	ds_bpermute_b32 v3, v9, v1
	ds_bpermute_b32 v4, v9, v2
	s_and_b64 exec, exec, s[0:1]
	s_cbranch_execz .LBB186_13
; %bb.12:
	s_waitcnt lgkmcnt(1)
	v_add_f32_e32 v1, v1, v3
	v_add_u32_e32 v3, 4, v0
	v_cmp_eq_u32_e32 vcc, 1, v3
	s_waitcnt lgkmcnt(0)
	v_add_f32_e32 v2, v2, v4
	v_cndmask_b32_e32 v4, v7, v8, vcc
	v_cmp_eq_u32_e32 vcc, 2, v3
	v_cndmask_b32_e32 v4, v4, v11, vcc
	v_cmp_eq_u32_e32 vcc, 3, v3
	;; [unrolled: 2-line block ×4, first 2 shown]
	v_cndmask_b32_e32 v2, v1, v2, vcc
	v_lshl_or_b32 v0, s2, 1, v0
	v_mov_b32_e32 v1, 0
	v_lshlrev_b64 v[0:1], 2, v[0:1]
	v_mov_b32_e32 v3, s5
	v_add_co_u32_e32 v0, vcc, s4, v0
	v_addc_co_u32_e32 v1, vcc, v3, v1, vcc
	global_store_dword v[0:1], v2, off
.LBB186_13:
	s_endpgm
	.section	.rodata,"a",@progbits
	.p2align	6, 0x0
	.amdhsa_kernel _ZL13mul_mat_vec_qIL9ggml_type22ELi3ELb0ELb0EEvPKvS2_PKi31ggml_cuda_mm_fusion_args_devicePfj15HIP_vector_typeIjLj3EEjjjS8_jjjS8_jjjj
		.amdhsa_group_segment_fixed_size 1536
		.amdhsa_private_segment_fixed_size 0
		.amdhsa_kernarg_size 144
		.amdhsa_user_sgpr_count 6
		.amdhsa_user_sgpr_private_segment_buffer 1
		.amdhsa_user_sgpr_dispatch_ptr 0
		.amdhsa_user_sgpr_queue_ptr 0
		.amdhsa_user_sgpr_kernarg_segment_ptr 1
		.amdhsa_user_sgpr_dispatch_id 0
		.amdhsa_user_sgpr_flat_scratch_init 0
		.amdhsa_user_sgpr_private_segment_size 0
		.amdhsa_uses_dynamic_stack 0
		.amdhsa_system_sgpr_private_segment_wavefront_offset 0
		.amdhsa_system_sgpr_workgroup_id_x 1
		.amdhsa_system_sgpr_workgroup_id_y 1
		.amdhsa_system_sgpr_workgroup_id_z 1
		.amdhsa_system_sgpr_workgroup_info 0
		.amdhsa_system_vgpr_workitem_id 1
		.amdhsa_next_free_vgpr 62
		.amdhsa_next_free_sgpr 26
		.amdhsa_reserve_vcc 1
		.amdhsa_reserve_flat_scratch 0
		.amdhsa_float_round_mode_32 0
		.amdhsa_float_round_mode_16_64 0
		.amdhsa_float_denorm_mode_32 3
		.amdhsa_float_denorm_mode_16_64 3
		.amdhsa_dx10_clamp 1
		.amdhsa_ieee_mode 1
		.amdhsa_fp16_overflow 0
		.amdhsa_exception_fp_ieee_invalid_op 0
		.amdhsa_exception_fp_denorm_src 0
		.amdhsa_exception_fp_ieee_div_zero 0
		.amdhsa_exception_fp_ieee_overflow 0
		.amdhsa_exception_fp_ieee_underflow 0
		.amdhsa_exception_fp_ieee_inexact 0
		.amdhsa_exception_int_div_zero 0
	.end_amdhsa_kernel
	.section	.text._ZL13mul_mat_vec_qIL9ggml_type22ELi3ELb0ELb0EEvPKvS2_PKi31ggml_cuda_mm_fusion_args_devicePfj15HIP_vector_typeIjLj3EEjjjS8_jjjS8_jjjj,"axG",@progbits,_ZL13mul_mat_vec_qIL9ggml_type22ELi3ELb0ELb0EEvPKvS2_PKi31ggml_cuda_mm_fusion_args_devicePfj15HIP_vector_typeIjLj3EEjjjS8_jjjS8_jjjj,comdat
.Lfunc_end186:
	.size	_ZL13mul_mat_vec_qIL9ggml_type22ELi3ELb0ELb0EEvPKvS2_PKi31ggml_cuda_mm_fusion_args_devicePfj15HIP_vector_typeIjLj3EEjjjS8_jjjS8_jjjj, .Lfunc_end186-_ZL13mul_mat_vec_qIL9ggml_type22ELi3ELb0ELb0EEvPKvS2_PKi31ggml_cuda_mm_fusion_args_devicePfj15HIP_vector_typeIjLj3EEjjjS8_jjjS8_jjjj
                                        ; -- End function
	.set _ZL13mul_mat_vec_qIL9ggml_type22ELi3ELb0ELb0EEvPKvS2_PKi31ggml_cuda_mm_fusion_args_devicePfj15HIP_vector_typeIjLj3EEjjjS8_jjjS8_jjjj.num_vgpr, 62
	.set _ZL13mul_mat_vec_qIL9ggml_type22ELi3ELb0ELb0EEvPKvS2_PKi31ggml_cuda_mm_fusion_args_devicePfj15HIP_vector_typeIjLj3EEjjjS8_jjjS8_jjjj.num_agpr, 0
	.set _ZL13mul_mat_vec_qIL9ggml_type22ELi3ELb0ELb0EEvPKvS2_PKi31ggml_cuda_mm_fusion_args_devicePfj15HIP_vector_typeIjLj3EEjjjS8_jjjS8_jjjj.numbered_sgpr, 26
	.set _ZL13mul_mat_vec_qIL9ggml_type22ELi3ELb0ELb0EEvPKvS2_PKi31ggml_cuda_mm_fusion_args_devicePfj15HIP_vector_typeIjLj3EEjjjS8_jjjS8_jjjj.num_named_barrier, 0
	.set _ZL13mul_mat_vec_qIL9ggml_type22ELi3ELb0ELb0EEvPKvS2_PKi31ggml_cuda_mm_fusion_args_devicePfj15HIP_vector_typeIjLj3EEjjjS8_jjjS8_jjjj.private_seg_size, 0
	.set _ZL13mul_mat_vec_qIL9ggml_type22ELi3ELb0ELb0EEvPKvS2_PKi31ggml_cuda_mm_fusion_args_devicePfj15HIP_vector_typeIjLj3EEjjjS8_jjjS8_jjjj.uses_vcc, 1
	.set _ZL13mul_mat_vec_qIL9ggml_type22ELi3ELb0ELb0EEvPKvS2_PKi31ggml_cuda_mm_fusion_args_devicePfj15HIP_vector_typeIjLj3EEjjjS8_jjjS8_jjjj.uses_flat_scratch, 0
	.set _ZL13mul_mat_vec_qIL9ggml_type22ELi3ELb0ELb0EEvPKvS2_PKi31ggml_cuda_mm_fusion_args_devicePfj15HIP_vector_typeIjLj3EEjjjS8_jjjS8_jjjj.has_dyn_sized_stack, 0
	.set _ZL13mul_mat_vec_qIL9ggml_type22ELi3ELb0ELb0EEvPKvS2_PKi31ggml_cuda_mm_fusion_args_devicePfj15HIP_vector_typeIjLj3EEjjjS8_jjjS8_jjjj.has_recursion, 0
	.set _ZL13mul_mat_vec_qIL9ggml_type22ELi3ELb0ELb0EEvPKvS2_PKi31ggml_cuda_mm_fusion_args_devicePfj15HIP_vector_typeIjLj3EEjjjS8_jjjS8_jjjj.has_indirect_call, 0
	.section	.AMDGPU.csdata,"",@progbits
; Kernel info:
; codeLenInByte = 6228
; TotalNumSgprs: 30
; NumVgprs: 62
; ScratchSize: 0
; MemoryBound: 0
; FloatMode: 240
; IeeeMode: 1
; LDSByteSize: 1536 bytes/workgroup (compile time only)
; SGPRBlocks: 3
; VGPRBlocks: 15
; NumSGPRsForWavesPerEU: 30
; NumVGPRsForWavesPerEU: 62
; Occupancy: 4
; WaveLimiterHint : 0
; COMPUTE_PGM_RSRC2:SCRATCH_EN: 0
; COMPUTE_PGM_RSRC2:USER_SGPR: 6
; COMPUTE_PGM_RSRC2:TRAP_HANDLER: 0
; COMPUTE_PGM_RSRC2:TGID_X_EN: 1
; COMPUTE_PGM_RSRC2:TGID_Y_EN: 1
; COMPUTE_PGM_RSRC2:TGID_Z_EN: 1
; COMPUTE_PGM_RSRC2:TIDIG_COMP_CNT: 1
	.section	.text._ZL13mul_mat_vec_qIL9ggml_type22ELi4ELb0ELb0EEvPKvS2_PKi31ggml_cuda_mm_fusion_args_devicePfj15HIP_vector_typeIjLj3EEjjjS8_jjjS8_jjjj,"axG",@progbits,_ZL13mul_mat_vec_qIL9ggml_type22ELi4ELb0ELb0EEvPKvS2_PKi31ggml_cuda_mm_fusion_args_devicePfj15HIP_vector_typeIjLj3EEjjjS8_jjjS8_jjjj,comdat
	.globl	_ZL13mul_mat_vec_qIL9ggml_type22ELi4ELb0ELb0EEvPKvS2_PKi31ggml_cuda_mm_fusion_args_devicePfj15HIP_vector_typeIjLj3EEjjjS8_jjjS8_jjjj ; -- Begin function _ZL13mul_mat_vec_qIL9ggml_type22ELi4ELb0ELb0EEvPKvS2_PKi31ggml_cuda_mm_fusion_args_devicePfj15HIP_vector_typeIjLj3EEjjjS8_jjjS8_jjjj
	.p2align	8
	.type	_ZL13mul_mat_vec_qIL9ggml_type22ELi4ELb0ELb0EEvPKvS2_PKi31ggml_cuda_mm_fusion_args_devicePfj15HIP_vector_typeIjLj3EEjjjS8_jjjS8_jjjj,@function
_ZL13mul_mat_vec_qIL9ggml_type22ELi4ELb0ELb0EEvPKvS2_PKi31ggml_cuda_mm_fusion_args_devicePfj15HIP_vector_typeIjLj3EEjjjS8_jjjS8_jjjj: ; @_ZL13mul_mat_vec_qIL9ggml_type22ELi4ELb0ELb0EEvPKvS2_PKi31ggml_cuda_mm_fusion_args_devicePfj15HIP_vector_typeIjLj3EEjjjS8_jjjS8_jjjj
; %bb.0:
	s_load_dword s9, s[4:5], 0x40
	s_load_dwordx4 s[0:3], s[4:5], 0x50
	s_load_dword s25, s[4:5], 0x60
	s_load_dwordx4 s[12:15], s[4:5], 0x68
	;; [unrolled: 2-line block ×3, first 2 shown]
	v_lshl_add_u32 v2, v1, 6, v0
	s_waitcnt lgkmcnt(0)
	s_lshr_b32 s9, s9, 8
	v_lshrrev_b32_e32 v27, 3, v2
	v_mov_b32_e32 v20, 0
	s_lshl_b32 s6, s6, 1
	v_cmp_gt_u32_e32 vcc, s9, v27
	v_mov_b32_e32 v21, v20
	v_mov_b32_e32 v22, v20
	;; [unrolled: 1-line block ×7, first 2 shown]
	s_and_saveexec_b64 s[10:11], vcc
	s_cbranch_execz .LBB187_4
; %bb.1:
	s_mul_hi_u32 s3, s3, s7
	s_add_i32 s3, s7, s3
	s_load_dwordx4 s[20:23], s[4:5], 0x0
	s_lshr_b32 s3, s3, s25
	s_mul_i32 s3, s3, s12
	s_mul_hi_u32 s12, s15, s8
	s_add_i32 s12, s8, s12
	s_lshr_b32 s12, s12, s24
	s_mul_i32 s19, s17, s8
	s_mul_i32 s15, s12, s16
	;; [unrolled: 1-line block ×3, first 2 shown]
	s_mul_hi_u32 s12, s19, 36
	s_waitcnt lgkmcnt(0)
	s_add_u32 s16, s22, s16
	s_addc_u32 s17, s23, s12
	s_mul_i32 s12, s13, s7
	s_mul_hi_u32 s13, s12, 36
	s_mul_i32 s12, s12, 36
	s_add_u32 s16, s16, s12
	s_addc_u32 s17, s17, s13
	v_and_b32_e32 v28, 7, v0
	v_mad_u64_u32 v[10:11], s[16:17], v28, 36, s[16:17]
	s_add_i32 s16, s6, 1
	s_add_i32 s15, s15, s3
	s_mul_i32 s3, s6, s0
	s_mul_i32 s0, s0, s16
	v_mov_b32_e32 v2, s12
	s_add_i32 s3, s15, s3
	s_add_i32 s15, s15, s0
	s_movk_i32 s0, 0x120
	v_mov_b32_e32 v3, s13
	v_mad_u64_u32 v[2:3], s[12:13], v27, s0, v[2:3]
	v_lshlrev_b32_e32 v5, 1, v28
	v_lshlrev_b32_e32 v4, 3, v27
	v_mad_u64_u32 v[2:3], s[12:13], s19, 36, v[2:3]
	v_add_u32_e32 v30, s1, v4
	v_mad_u64_u32 v[12:13], s[12:13], s1, 3, v[4:5]
	v_mad_u64_u32 v[2:3], s[12:13], v28, 36, v[2:3]
	v_lshl_add_u32 v31, s1, 1, v4
	v_mov_b32_e32 v4, s23
	v_add_co_u32_e32 v2, vcc, s22, v2
	v_addc_co_u32_e32 v3, vcc, v4, v3, vcc
	v_add_co_u32_e32 v13, vcc, 16, v2
	v_mov_b32_e32 v15, s20
	v_mov_b32_e32 v29, 0
	v_addc_co_u32_e32 v14, vcc, 0, v3, vcc
	s_mov_b64 s[0:1], 0
	s_movk_i32 s16, 0x52
	v_mov_b32_e32 v16, s21
	v_lshlrev_b32_e32 v32, 1, v5
	s_movk_i32 s17, 0x300
	s_movk_i32 s19, 0xff00
	s_mov_b32 s20, 0xc0c0105
	v_mov_b32_e32 v33, 8
	v_mov_b32_e32 v19, 0
	;; [unrolled: 1-line block ×9, first 2 shown]
.LBB187_2:                              ; =>This Inner Loop Header: Depth=1
	v_add_u32_e32 v17, s3, v27
	v_mad_i64_i32 v[17:18], s[12:13], v17, s16, v[15:16]
	global_load_dword v46, v[13:14], off offset:16
	global_load_dwordx4 v[2:5], v[13:14], off
	global_load_dwordx4 v[6:9], v[13:14], off offset:-16
	s_getpc_b64 s[12:13]
	s_add_u32 s12, s12, _ZL9iq2s_grid@rel32@lo+4
	s_addc_u32 s13, s13, _ZL9iq2s_grid@rel32@hi+12
	v_add_co_u32_e32 v34, vcc, v17, v32
	v_addc_co_u32_e32 v35, vcc, 0, v18, vcc
	v_add_co_u32_e32 v36, vcc, v17, v28
	global_load_dword v38, v[34:35], off offset:2
	v_addc_co_u32_e32 v37, vcc, 0, v18, vcc
	global_load_ubyte v40, v[36:37], off offset:66
	global_load_dword v41, v[34:35], off offset:34
	global_load_ubyte v43, v[36:37], off offset:74
	s_waitcnt vmcnt(4)
	v_cvt_f32_f16_e32 v47, v6
	global_load_ushort v17, v[17:18], off
	s_waitcnt vmcnt(4)
	v_and_b32_e32 v6, 0xff, v38
	v_lshrrev_b32_e32 v39, 24, v38
	s_waitcnt vmcnt(3)
	v_lshlrev_b32_e32 v34, 8, v40
	v_and_or_b32 v6, v34, s17, v6
	s_waitcnt vmcnt(2)
	v_and_b32_e32 v34, 0xff, v41
	v_lshlrev_b32_e32 v35, 21, v41
	v_lshl_or_b32 v35, v34, 7, v35
	v_and_b32_e32 v36, 0x1800180, v35
	v_bfe_u32 v35, v35, 24, 1
	v_cmp_ne_u16_e32 vcc, 0, v35
	v_cmp_ne_u16_sdwa s[22:23], v36, v29 src0_sel:BYTE_1 src1_sel:DWORD
	v_lshrrev_b16_e32 v35, 7, v36
	v_lshrrev_b32_e32 v36, 2, v41
	v_bfe_i32 v37, v35, 0, 1
	v_cndmask_b32_e64 v35, 0, -1, s[22:23]
	v_cndmask_b32_e64 v45, 0, -1, vcc
	v_lshlrev_b16_e32 v44, 8, v35
	v_lshlrev_b16_e32 v45, 8, v45
	v_bfe_i32 v36, v36, 0, 1
	v_or_b32_sdwa v35, v37, v44 dst_sel:DWORD dst_unused:UNUSED_PAD src0_sel:BYTE_0 src1_sel:DWORD
	v_or_b32_sdwa v48, v36, v45 dst_sel:WORD_1 dst_unused:UNUSED_PAD src0_sel:BYTE_0 src1_sel:DWORD
	v_or_b32_sdwa v48, v35, v48 dst_sel:DWORD dst_unused:UNUSED_PAD src0_sel:WORD_0 src1_sel:DWORD
	v_lshlrev_b32_e32 v35, 17, v41
	v_lshl_or_b32 v34, v34, 3, v35
	v_and_b32_e32 v35, 0x1800180, v34
	v_bfe_u32 v34, v34, 24, 1
	v_cmp_ne_u16_e32 vcc, 0, v34
	v_cmp_ne_u16_sdwa s[22:23], v35, v29 src0_sel:BYTE_1 src1_sel:DWORD
	v_lshrrev_b16_e32 v34, 7, v35
	v_lshrrev_b32_e32 v35, 6, v41
	v_bfe_i32 v49, v34, 0, 1
	v_cndmask_b32_e64 v34, 0, -1, s[22:23]
	v_cndmask_b32_e64 v51, 0, -1, vcc
	v_lshlrev_b16_e32 v50, 8, v34
	v_lshlrev_b16_e32 v51, 8, v51
	v_bfe_i32 v52, v35, 0, 1
	v_lshlrev_b32_e32 v6, 3, v6
	v_or_b32_sdwa v34, v49, v50 dst_sel:DWORD dst_unused:UNUSED_PAD src0_sel:BYTE_0 src1_sel:DWORD
	v_or_b32_sdwa v35, v52, v51 dst_sel:WORD_1 dst_unused:UNUSED_PAD src0_sel:BYTE_0 src1_sel:DWORD
	v_or_b32_sdwa v53, v34, v35 dst_sel:DWORD dst_unused:UNUSED_PAD src0_sel:WORD_0 src1_sel:DWORD
	global_load_dwordx2 v[34:35], v6, s[12:13]
	v_lshlrev_b16_e32 v37, 8, v37
	v_lshlrev_b16_e32 v36, 8, v36
	v_lshrrev_b32_e32 v42, 16, v41
	s_waitcnt vmcnt(0)
	v_xor_b32_e32 v6, v34, v48
	v_and_b32_e32 v34, 0xffffff00, v6
	v_sub_i16 v34, v34, v44 clamp
	v_lshlrev_b16_e32 v44, 8, v6
	v_sub_i16 v37, v44, v37 clamp
	v_perm_b32 v34, v37, v34, s20
	v_and_b32_sdwa v37, v6, s19 dst_sel:DWORD dst_unused:UNUSED_PAD src0_sel:WORD_1 src1_sel:DWORD
	v_lshlrev_b16_sdwa v6, v33, v6 dst_sel:DWORD dst_unused:UNUSED_PAD src0_sel:DWORD src1_sel:WORD_1
	v_sub_i16 v37, v37, v45 clamp
	v_sub_i16 v6, v6, v36 clamp
	v_perm_b32 v6, v6, v37, s20
	v_lshl_or_b32 v6, v6, 16, v34
	v_xor_b32_e32 v34, v35, v53
	v_and_b32_e32 v35, 0xffffff00, v34
	v_lshlrev_b16_e32 v36, 8, v34
	v_lshlrev_b16_e32 v37, 8, v49
	v_sub_i16 v35, v35, v50 clamp
	v_sub_i16 v36, v36, v37 clamp
	v_perm_b32 v35, v36, v35, s20
	v_and_b32_sdwa v36, v34, s19 dst_sel:DWORD dst_unused:UNUSED_PAD src0_sel:WORD_1 src1_sel:DWORD
	v_lshlrev_b16_sdwa v34, v33, v34 dst_sel:DWORD dst_unused:UNUSED_PAD src0_sel:DWORD src1_sel:WORD_1
	v_lshlrev_b16_e32 v37, 8, v52
	v_sub_i16 v36, v36, v51 clamp
	v_sub_i16 v34, v34, v37 clamp
	v_perm_b32 v34, v34, v36, s20
	v_lshl_or_b32 v34, v34, 16, v35
	v_dot4_i32_i8 v35, v6, v7, 0
	v_dot4_i32_i8 v37, v34, v8, v35
	v_bfe_u32 v35, v38, 8, 8
	v_lshlrev_b32_e32 v36, 6, v40
	v_and_or_b32 v35, v36, s17, v35
	v_lshrrev_b32_e32 v36, 1, v41
	v_and_b32_e32 v36, 0x180, v36
	v_lshrrev_b32_e32 v44, 11, v41
	v_cmp_ne_u16_sdwa s[22:23], v36, v29 src0_sel:BYTE_1 src1_sel:DWORD
	v_lshrrev_b16_e32 v36, 7, v36
	v_lshrrev_b32_e32 v45, 10, v41
	v_bfe_i32 v48, v36, 0, 1
	v_cndmask_b32_e64 v36, 0, -1, s[22:23]
	v_bfe_i32 v44, v44, 0, 1
	v_lshlrev_b16_e32 v49, 8, v36
	v_lshlrev_b16_e32 v44, 8, v44
	v_bfe_i32 v45, v45, 0, 1
	v_or_b32_sdwa v36, v48, v49 dst_sel:DWORD dst_unused:UNUSED_PAD src0_sel:BYTE_0 src1_sel:DWORD
	v_or_b32_sdwa v50, v45, v44 dst_sel:WORD_1 dst_unused:UNUSED_PAD src0_sel:BYTE_0 src1_sel:DWORD
	v_or_b32_sdwa v50, v36, v50 dst_sel:DWORD dst_unused:UNUSED_PAD src0_sel:WORD_0 src1_sel:DWORD
	v_lshrrev_b32_e32 v36, 5, v41
	v_and_b32_e32 v36, 0x180, v36
	v_lshrrev_b32_e32 v51, 15, v41
	v_cmp_ne_u16_sdwa s[22:23], v36, v29 src0_sel:BYTE_1 src1_sel:DWORD
	v_lshrrev_b16_e32 v36, 7, v36
	v_lshrrev_b32_e32 v52, 14, v41
	v_bfe_i32 v53, v36, 0, 1
	v_cndmask_b32_e64 v36, 0, -1, s[22:23]
	v_bfe_i32 v51, v51, 0, 1
	v_lshlrev_b16_e32 v54, 8, v36
	v_lshlrev_b16_e32 v51, 8, v51
	v_bfe_i32 v52, v52, 0, 1
	v_lshlrev_b32_e32 v35, 3, v35
	v_or_b32_sdwa v36, v53, v54 dst_sel:DWORD dst_unused:UNUSED_PAD src0_sel:BYTE_0 src1_sel:DWORD
	v_or_b32_sdwa v55, v52, v51 dst_sel:WORD_1 dst_unused:UNUSED_PAD src0_sel:BYTE_0 src1_sel:DWORD
	v_or_b32_sdwa v55, v36, v55 dst_sel:DWORD dst_unused:UNUSED_PAD src0_sel:WORD_0 src1_sel:DWORD
	global_load_dwordx2 v[35:36], v35, s[12:13]
	v_lshlrev_b16_e32 v48, 8, v48
	v_lshlrev_b16_e32 v45, 8, v45
	s_waitcnt vmcnt(0)
	v_xor_b32_e32 v35, v35, v50
	v_and_b32_e32 v50, 0xffffff00, v35
	v_sub_i16 v49, v50, v49 clamp
	v_lshlrev_b16_e32 v50, 8, v35
	v_sub_i16 v48, v50, v48 clamp
	v_perm_b32 v48, v48, v49, s20
	v_and_b32_sdwa v49, v35, s19 dst_sel:DWORD dst_unused:UNUSED_PAD src0_sel:WORD_1 src1_sel:DWORD
	v_lshlrev_b16_sdwa v35, v33, v35 dst_sel:DWORD dst_unused:UNUSED_PAD src0_sel:DWORD src1_sel:WORD_1
	v_sub_i16 v44, v49, v44 clamp
	v_sub_i16 v35, v35, v45 clamp
	v_perm_b32 v35, v35, v44, s20
	v_xor_b32_e32 v36, v36, v55
	v_lshl_or_b32 v35, v35, 16, v48
	v_and_b32_e32 v44, 0xffffff00, v36
	v_lshlrev_b16_e32 v45, 8, v36
	v_lshlrev_b16_e32 v48, 8, v53
	v_sub_i16 v44, v44, v54 clamp
	v_sub_i16 v45, v45, v48 clamp
	v_perm_b32 v44, v45, v44, s20
	v_and_b32_sdwa v45, v36, s19 dst_sel:DWORD dst_unused:UNUSED_PAD src0_sel:WORD_1 src1_sel:DWORD
	v_lshlrev_b16_sdwa v36, v33, v36 dst_sel:DWORD dst_unused:UNUSED_PAD src0_sel:DWORD src1_sel:WORD_1
	v_lshlrev_b16_e32 v48, 8, v52
	v_sub_i16 v45, v45, v51 clamp
	v_sub_i16 v36, v36, v48 clamp
	v_perm_b32 v36, v36, v45, s20
	v_lshl_or_b32 v36, v36, 16, v44
	v_dot4_i32_i8 v37, v35, v9, v37
	v_dot4_i32_i8 v44, v36, v2, v37
	v_bfe_u32 v37, v38, 16, 8
	v_lshlrev_b32_e32 v38, 4, v40
	v_and_or_b32 v37, v38, s17, v37
	v_lshrrev_b32_e32 v38, 9, v41
	v_lshl_or_b32 v38, v42, 21, v38
	v_and_b32_e32 v45, 0x1800180, v38
	v_bfe_u32 v38, v38, 24, 1
	v_cmp_ne_u16_e32 vcc, 0, v38
	v_cmp_ne_u16_sdwa s[22:23], v45, v29 src0_sel:BYTE_1 src1_sel:DWORD
	v_lshrrev_b16_e32 v38, 7, v45
	v_lshrrev_b32_e32 v45, 18, v41
	v_bfe_i32 v48, v38, 0, 1
	v_cndmask_b32_e64 v38, 0, -1, s[22:23]
	v_cndmask_b32_e64 v50, 0, -1, vcc
	v_lshlrev_b16_e32 v49, 8, v38
	v_lshlrev_b16_e32 v50, 8, v50
	v_bfe_i32 v45, v45, 0, 1
	v_or_b32_sdwa v38, v48, v49 dst_sel:DWORD dst_unused:UNUSED_PAD src0_sel:BYTE_0 src1_sel:DWORD
	v_or_b32_sdwa v51, v45, v50 dst_sel:WORD_1 dst_unused:UNUSED_PAD src0_sel:BYTE_0 src1_sel:DWORD
	v_or_b32_sdwa v51, v38, v51 dst_sel:DWORD dst_unused:UNUSED_PAD src0_sel:WORD_0 src1_sel:DWORD
	v_lshrrev_b32_e32 v38, 13, v41
	v_lshl_or_b32 v38, v42, 17, v38
	v_and_b32_e32 v42, 0x1800180, v38
	v_bfe_u32 v38, v38, 24, 1
	v_cmp_ne_u16_e32 vcc, 0, v38
	v_cmp_ne_u16_sdwa s[22:23], v42, v29 src0_sel:BYTE_1 src1_sel:DWORD
	v_lshrrev_b16_e32 v38, 7, v42
	v_lshrrev_b32_e32 v42, 22, v41
	v_bfe_i32 v52, v38, 0, 1
	v_cndmask_b32_e64 v38, 0, -1, s[22:23]
	v_cndmask_b32_e64 v54, 0, -1, vcc
	v_lshlrev_b16_e32 v53, 8, v38
	v_lshlrev_b16_e32 v54, 8, v54
	v_bfe_i32 v42, v42, 0, 1
	v_lshlrev_b32_e32 v37, 3, v37
	v_or_b32_sdwa v38, v52, v53 dst_sel:DWORD dst_unused:UNUSED_PAD src0_sel:BYTE_0 src1_sel:DWORD
	v_or_b32_sdwa v55, v42, v54 dst_sel:WORD_1 dst_unused:UNUSED_PAD src0_sel:BYTE_0 src1_sel:DWORD
	v_or_b32_sdwa v55, v38, v55 dst_sel:DWORD dst_unused:UNUSED_PAD src0_sel:WORD_0 src1_sel:DWORD
	global_load_dwordx2 v[37:38], v37, s[12:13]
	v_lshlrev_b16_e32 v48, 8, v48
	v_lshlrev_b16_e32 v45, 8, v45
	;; [unrolled: 1-line block ×3, first 2 shown]
	v_lshlrev_b32_e32 v40, 2, v40
	v_and_or_b32 v39, v40, s17, v39
	v_lshrrev_b32_e32 v40, 17, v41
	v_lshlrev_b32_e32 v39, 3, v39
	s_waitcnt vmcnt(0)
	v_xor_b32_e32 v37, v37, v51
	v_and_b32_e32 v51, 0xffffff00, v37
	v_sub_i16 v49, v51, v49 clamp
	v_lshlrev_b16_e32 v51, 8, v37
	v_sub_i16 v48, v51, v48 clamp
	v_perm_b32 v48, v48, v49, s20
	v_and_b32_sdwa v49, v37, s19 dst_sel:DWORD dst_unused:UNUSED_PAD src0_sel:WORD_1 src1_sel:DWORD
	v_lshlrev_b16_sdwa v37, v33, v37 dst_sel:DWORD dst_unused:UNUSED_PAD src0_sel:DWORD src1_sel:WORD_1
	v_sub_i16 v49, v49, v50 clamp
	v_sub_i16 v37, v37, v45 clamp
	v_perm_b32 v37, v37, v49, s20
	v_xor_b32_e32 v38, v38, v55
	v_lshl_or_b32 v37, v37, 16, v48
	v_and_b32_e32 v45, 0xffffff00, v38
	v_lshlrev_b16_e32 v48, 8, v38
	v_lshlrev_b16_e32 v49, 8, v52
	v_sub_i16 v45, v45, v53 clamp
	v_sub_i16 v48, v48, v49 clamp
	v_perm_b32 v45, v48, v45, s20
	v_and_b32_sdwa v48, v38, s19 dst_sel:DWORD dst_unused:UNUSED_PAD src0_sel:WORD_1 src1_sel:DWORD
	v_lshlrev_b16_sdwa v38, v33, v38 dst_sel:DWORD dst_unused:UNUSED_PAD src0_sel:DWORD src1_sel:WORD_1
	v_sub_i16 v48, v48, v54 clamp
	v_sub_i16 v38, v38, v42 clamp
	v_perm_b32 v38, v38, v48, s20
	v_lshl_or_b32 v38, v38, 16, v45
	v_lshrrev_b32_e32 v45, 24, v41
	v_lshl_or_b32 v40, v45, 21, v40
	v_and_b32_e32 v45, 0x1800180, v40
	v_bfe_u32 v40, v40, 24, 1
	v_cmp_ne_u16_e32 vcc, 0, v40
	v_cmp_ne_u16_sdwa s[22:23], v45, v29 src0_sel:BYTE_1 src1_sel:DWORD
	v_lshrrev_b16_e32 v40, 7, v45
	v_lshrrev_b32_e32 v45, 26, v41
	v_bfe_i32 v48, v40, 0, 1
	v_cndmask_b32_e64 v40, 0, -1, s[22:23]
	v_cndmask_b32_e64 v50, 0, -1, vcc
	v_lshlrev_b16_e32 v49, 8, v40
	v_lshlrev_b16_e32 v50, 8, v50
	v_bfe_i32 v45, v45, 0, 1
	v_or_b32_sdwa v40, v48, v49 dst_sel:DWORD dst_unused:UNUSED_PAD src0_sel:BYTE_0 src1_sel:DWORD
	v_or_b32_sdwa v51, v45, v50 dst_sel:WORD_1 dst_unused:UNUSED_PAD src0_sel:BYTE_0 src1_sel:DWORD
	v_or_b32_sdwa v51, v40, v51 dst_sel:DWORD dst_unused:UNUSED_PAD src0_sel:WORD_0 src1_sel:DWORD
	v_lshrrev_b32_e32 v40, 21, v41
	v_lshrrev_b32_e32 v53, 31, v41
	v_lshrrev_b16_e32 v52, 8, v40
	v_cmp_ne_u16_e32 vcc, 0, v53
	v_lshrrev_b32_e32 v41, 30, v41
	v_lshrrev_b16_e32 v40, 7, v40
	v_bfe_i32 v52, v52, 0, 1
	v_bfe_i32 v54, v41, 0, 1
	v_cndmask_b32_e64 v41, 0, -1, vcc
	v_lshlrev_b16_e32 v52, 8, v52
	v_bfe_i32 v53, v40, 0, 1
	v_lshlrev_b16_e32 v55, 8, v41
	v_or_b32_sdwa v40, v53, v52 dst_sel:DWORD dst_unused:UNUSED_PAD src0_sel:BYTE_0 src1_sel:DWORD
	v_or_b32_sdwa v41, v54, v55 dst_sel:WORD_1 dst_unused:UNUSED_PAD src0_sel:BYTE_0 src1_sel:DWORD
	v_or_b32_sdwa v56, v40, v41 dst_sel:DWORD dst_unused:UNUSED_PAD src0_sel:WORD_0 src1_sel:DWORD
	global_load_dwordx2 v[40:41], v39, s[12:13]
	v_lshlrev_b16_e32 v48, 8, v48
	v_lshlrev_b16_e32 v45, 8, v45
	v_dot4_i32_i8 v42, v37, v3, 0
	v_dot4_i32_i8 v42, v38, v4, v42
	s_waitcnt vmcnt(0)
	v_xor_b32_e32 v39, v40, v51
	v_and_b32_e32 v40, 0xffffff00, v39
	v_sub_i16 v40, v40, v49 clamp
	v_lshlrev_b16_e32 v49, 8, v39
	v_sub_i16 v48, v49, v48 clamp
	v_perm_b32 v40, v48, v40, s20
	v_and_b32_sdwa v48, v39, s19 dst_sel:DWORD dst_unused:UNUSED_PAD src0_sel:WORD_1 src1_sel:DWORD
	v_lshlrev_b16_sdwa v39, v33, v39 dst_sel:DWORD dst_unused:UNUSED_PAD src0_sel:DWORD src1_sel:WORD_1
	v_sub_i16 v48, v48, v50 clamp
	v_sub_i16 v39, v39, v45 clamp
	v_perm_b32 v39, v39, v48, s20
	v_lshl_or_b32 v40, v39, 16, v40
	v_xor_b32_e32 v39, v41, v56
	v_and_b32_e32 v41, 0xffffff00, v39
	v_lshlrev_b16_e32 v45, 8, v39
	v_lshlrev_b16_e32 v48, 8, v53
	v_sub_i16 v41, v41, v52 clamp
	v_sub_i16 v45, v45, v48 clamp
	v_perm_b32 v41, v45, v41, s20
	v_and_b32_sdwa v45, v39, s19 dst_sel:DWORD dst_unused:UNUSED_PAD src0_sel:WORD_1 src1_sel:DWORD
	v_lshlrev_b16_sdwa v39, v33, v39 dst_sel:DWORD dst_unused:UNUSED_PAD src0_sel:DWORD src1_sel:WORD_1
	v_lshlrev_b16_e32 v48, 8, v54
	v_sub_i16 v45, v45, v55 clamp
	v_sub_i16 v39, v39, v48 clamp
	v_perm_b32 v39, v39, v45, s20
	v_lshl_or_b32 v41, v39, 16, v41
	v_dot4_i32_i8 v39, v40, v5, v42
	v_dot4_i32_i8 v39, v41, v46, v39
	v_lshrrev_b32_e32 v42, 4, v43
	v_and_b32_e32 v43, 15, v43
	v_mul_lo_u32 v45, v44, v43
	v_mul_lo_u32 v48, v39, v42
	v_add_u32_e32 v39, v39, v44
	v_lshrrev_b32_e32 v44, 31, v39
	v_add_u32_e32 v39, v39, v44
	v_ashrrev_i32_e32 v39, 1, v39
	v_add3_u32 v39, v48, v45, v39
	v_ashrrev_i32_e32 v44, 31, v39
	v_lshrrev_b32_e32 v44, 30, v44
	v_add_u32_e32 v39, v39, v44
	v_ashrrev_i32_e32 v44, 2, v39
	v_cvt_f32_f16_e32 v39, v17
	v_cvt_f32_i32_e32 v18, v44
	v_mul_f32_e32 v17, v39, v47
	v_fmac_f32_e32 v26, v17, v18
	v_add_u32_e32 v17, s15, v27
	v_mad_i64_i32 v[17:18], s[22:23], v17, s16, v[15:16]
	v_add_u32_e32 v27, 16, v27
	v_add_co_u32_e32 v44, vcc, v17, v32
	v_addc_co_u32_e32 v45, vcc, 0, v18, vcc
	v_add_co_u32_e32 v48, vcc, v17, v28
	global_load_dword v50, v[44:45], off offset:2
	v_addc_co_u32_e32 v49, vcc, 0, v18, vcc
	global_load_ubyte v52, v[48:49], off offset:66
	global_load_dword v53, v[44:45], off offset:34
	global_load_ubyte v55, v[48:49], off offset:74
	s_waitcnt vmcnt(3)
	v_and_b32_e32 v44, 0xff, v50
	global_load_ushort v17, v[17:18], off
	s_waitcnt vmcnt(3)
	v_lshlrev_b32_e32 v45, 8, v52
	v_and_or_b32 v44, v45, s17, v44
	s_waitcnt vmcnt(2)
	v_and_b32_e32 v45, 0xff, v53
	v_lshlrev_b32_e32 v48, 21, v53
	v_lshl_or_b32 v48, v45, 7, v48
	v_and_b32_e32 v49, 0x1800180, v48
	v_bfe_u32 v48, v48, 24, 1
	v_cmp_ne_u16_e32 vcc, 0, v48
	v_cmp_ne_u16_sdwa s[22:23], v49, v29 src0_sel:BYTE_1 src1_sel:DWORD
	v_lshrrev_b16_e32 v48, 7, v49
	v_lshrrev_b32_e32 v49, 2, v53
	v_cndmask_b32_e64 v56, 0, -1, s[22:23]
	v_cndmask_b32_e64 v58, 0, -1, vcc
	v_bfe_i32 v48, v48, 0, 1
	v_lshlrev_b16_e32 v56, 8, v56
	v_lshlrev_b16_e32 v58, 8, v58
	v_bfe_i32 v49, v49, 0, 1
	v_or_b32_sdwa v57, v48, v56 dst_sel:DWORD dst_unused:UNUSED_PAD src0_sel:BYTE_0 src1_sel:DWORD
	v_or_b32_sdwa v59, v49, v58 dst_sel:WORD_1 dst_unused:UNUSED_PAD src0_sel:BYTE_0 src1_sel:DWORD
	v_or_b32_sdwa v57, v57, v59 dst_sel:DWORD dst_unused:UNUSED_PAD src0_sel:WORD_0 src1_sel:DWORD
	v_lshlrev_b32_e32 v59, 17, v53
	v_lshl_or_b32 v45, v45, 3, v59
	v_and_b32_e32 v59, 0x1800180, v45
	v_bfe_u32 v45, v45, 24, 1
	v_cmp_ne_u16_e32 vcc, 0, v45
	v_cmp_ne_u16_sdwa s[22:23], v59, v29 src0_sel:BYTE_1 src1_sel:DWORD
	v_lshrrev_b16_e32 v45, 7, v59
	v_lshrrev_b32_e32 v59, 6, v53
	v_bfe_i32 v60, v45, 0, 1
	v_cndmask_b32_e64 v45, 0, -1, s[22:23]
	v_cndmask_b32_e64 v62, 0, -1, vcc
	v_lshlrev_b16_e32 v61, 8, v45
	v_lshlrev_b16_e32 v62, 8, v62
	v_bfe_i32 v59, v59, 0, 1
	v_lshlrev_b32_e32 v44, 3, v44
	v_or_b32_sdwa v45, v60, v61 dst_sel:DWORD dst_unused:UNUSED_PAD src0_sel:BYTE_0 src1_sel:DWORD
	v_or_b32_sdwa v63, v59, v62 dst_sel:WORD_1 dst_unused:UNUSED_PAD src0_sel:BYTE_0 src1_sel:DWORD
	v_or_b32_sdwa v63, v45, v63 dst_sel:DWORD dst_unused:UNUSED_PAD src0_sel:WORD_0 src1_sel:DWORD
	global_load_dwordx2 v[44:45], v44, s[12:13]
	v_lshlrev_b16_e32 v48, 8, v48
	v_lshlrev_b16_e32 v49, 8, v49
	v_lshrrev_b32_e32 v54, 16, v53
	v_lshrrev_b32_e32 v51, 24, v50
	s_waitcnt vmcnt(1)
	v_cvt_f32_f16_e32 v17, v17
	v_mul_f32_e32 v18, v17, v47
	s_waitcnt vmcnt(0)
	v_xor_b32_e32 v44, v44, v57
	v_and_b32_e32 v57, 0xffffff00, v44
	v_sub_i16 v56, v57, v56 clamp
	v_lshlrev_b16_e32 v57, 8, v44
	v_sub_i16 v48, v57, v48 clamp
	v_perm_b32 v48, v48, v56, s20
	v_and_b32_sdwa v56, v44, s19 dst_sel:DWORD dst_unused:UNUSED_PAD src0_sel:WORD_1 src1_sel:DWORD
	v_lshlrev_b16_sdwa v44, v33, v44 dst_sel:DWORD dst_unused:UNUSED_PAD src0_sel:DWORD src1_sel:WORD_1
	v_sub_i16 v56, v56, v58 clamp
	v_sub_i16 v44, v44, v49 clamp
	v_perm_b32 v44, v44, v56, s20
	v_xor_b32_e32 v45, v45, v63
	v_lshl_or_b32 v44, v44, 16, v48
	v_and_b32_e32 v48, 0xffffff00, v45
	v_lshlrev_b16_e32 v49, 8, v45
	v_lshlrev_b16_e32 v56, 8, v60
	v_sub_i16 v48, v48, v61 clamp
	v_sub_i16 v49, v49, v56 clamp
	v_perm_b32 v48, v49, v48, s20
	v_and_b32_sdwa v49, v45, s19 dst_sel:DWORD dst_unused:UNUSED_PAD src0_sel:WORD_1 src1_sel:DWORD
	v_lshlrev_b16_sdwa v45, v33, v45 dst_sel:DWORD dst_unused:UNUSED_PAD src0_sel:DWORD src1_sel:WORD_1
	v_lshlrev_b16_e32 v56, 8, v59
	v_sub_i16 v49, v49, v62 clamp
	v_sub_i16 v45, v45, v56 clamp
	v_perm_b32 v45, v45, v49, s20
	v_lshl_or_b32 v45, v45, 16, v48
	v_dot4_i32_i8 v7, v44, v7, 0
	v_dot4_i32_i8 v48, v45, v8, v7
	v_bfe_u32 v7, v50, 8, 8
	v_lshlrev_b32_e32 v8, 6, v52
	v_and_or_b32 v7, v8, s17, v7
	v_lshrrev_b32_e32 v8, 1, v53
	v_and_b32_e32 v8, 0x180, v8
	v_lshrrev_b32_e32 v49, 11, v53
	v_cmp_ne_u16_sdwa s[22:23], v8, v29 src0_sel:BYTE_1 src1_sel:DWORD
	v_lshrrev_b16_e32 v8, 7, v8
	v_lshrrev_b32_e32 v56, 10, v53
	v_bfe_i32 v57, v8, 0, 1
	v_cndmask_b32_e64 v8, 0, -1, s[22:23]
	v_bfe_i32 v49, v49, 0, 1
	v_lshlrev_b16_e32 v58, 8, v8
	v_lshlrev_b16_e32 v49, 8, v49
	v_bfe_i32 v56, v56, 0, 1
	v_or_b32_sdwa v8, v57, v58 dst_sel:DWORD dst_unused:UNUSED_PAD src0_sel:BYTE_0 src1_sel:DWORD
	v_or_b32_sdwa v59, v56, v49 dst_sel:WORD_1 dst_unused:UNUSED_PAD src0_sel:BYTE_0 src1_sel:DWORD
	v_or_b32_sdwa v59, v8, v59 dst_sel:DWORD dst_unused:UNUSED_PAD src0_sel:WORD_0 src1_sel:DWORD
	v_lshrrev_b32_e32 v8, 5, v53
	v_and_b32_e32 v8, 0x180, v8
	v_lshrrev_b32_e32 v60, 15, v53
	v_cmp_ne_u16_sdwa s[22:23], v8, v29 src0_sel:BYTE_1 src1_sel:DWORD
	v_lshrrev_b16_e32 v8, 7, v8
	v_lshrrev_b32_e32 v61, 14, v53
	v_bfe_i32 v62, v8, 0, 1
	v_cndmask_b32_e64 v8, 0, -1, s[22:23]
	v_bfe_i32 v60, v60, 0, 1
	v_lshlrev_b16_e32 v63, 8, v8
	v_lshlrev_b16_e32 v60, 8, v60
	v_bfe_i32 v61, v61, 0, 1
	v_lshlrev_b32_e32 v7, 3, v7
	v_or_b32_sdwa v8, v62, v63 dst_sel:DWORD dst_unused:UNUSED_PAD src0_sel:BYTE_0 src1_sel:DWORD
	v_or_b32_sdwa v64, v61, v60 dst_sel:WORD_1 dst_unused:UNUSED_PAD src0_sel:BYTE_0 src1_sel:DWORD
	v_or_b32_sdwa v64, v8, v64 dst_sel:DWORD dst_unused:UNUSED_PAD src0_sel:WORD_0 src1_sel:DWORD
	global_load_dwordx2 v[7:8], v7, s[12:13]
	v_lshlrev_b16_e32 v57, 8, v57
	v_lshlrev_b16_e32 v56, 8, v56
	s_waitcnt vmcnt(0)
	v_xor_b32_e32 v7, v7, v59
	v_and_b32_e32 v59, 0xffffff00, v7
	v_sub_i16 v58, v59, v58 clamp
	v_lshlrev_b16_e32 v59, 8, v7
	v_sub_i16 v57, v59, v57 clamp
	v_perm_b32 v57, v57, v58, s20
	v_and_b32_sdwa v58, v7, s19 dst_sel:DWORD dst_unused:UNUSED_PAD src0_sel:WORD_1 src1_sel:DWORD
	v_lshlrev_b16_sdwa v7, v33, v7 dst_sel:DWORD dst_unused:UNUSED_PAD src0_sel:DWORD src1_sel:WORD_1
	v_sub_i16 v49, v58, v49 clamp
	v_sub_i16 v7, v7, v56 clamp
	v_perm_b32 v7, v7, v49, s20
	v_xor_b32_e32 v8, v8, v64
	v_lshl_or_b32 v7, v7, 16, v57
	v_and_b32_e32 v49, 0xffffff00, v8
	v_lshlrev_b16_e32 v56, 8, v8
	v_lshlrev_b16_e32 v57, 8, v62
	v_sub_i16 v49, v49, v63 clamp
	v_sub_i16 v56, v56, v57 clamp
	v_perm_b32 v49, v56, v49, s20
	v_and_b32_sdwa v56, v8, s19 dst_sel:DWORD dst_unused:UNUSED_PAD src0_sel:WORD_1 src1_sel:DWORD
	v_lshlrev_b16_sdwa v8, v33, v8 dst_sel:DWORD dst_unused:UNUSED_PAD src0_sel:DWORD src1_sel:WORD_1
	v_lshlrev_b16_e32 v57, 8, v61
	v_sub_i16 v56, v56, v60 clamp
	v_sub_i16 v8, v8, v57 clamp
	v_perm_b32 v8, v8, v56, s20
	v_lshl_or_b32 v8, v8, 16, v49
	v_dot4_i32_i8 v9, v7, v9, v48
	v_dot4_i32_i8 v56, v8, v2, v9
	v_bfe_u32 v2, v50, 16, 8
	v_lshlrev_b32_e32 v9, 4, v52
	v_and_or_b32 v2, v9, s17, v2
	v_lshrrev_b32_e32 v9, 9, v53
	v_lshl_or_b32 v9, v54, 21, v9
	v_and_b32_e32 v48, 0x1800180, v9
	v_bfe_u32 v9, v9, 24, 1
	v_cmp_ne_u16_e32 vcc, 0, v9
	v_cmp_ne_u16_sdwa s[22:23], v48, v29 src0_sel:BYTE_1 src1_sel:DWORD
	v_lshrrev_b16_e32 v9, 7, v48
	v_lshrrev_b32_e32 v48, 18, v53
	v_cndmask_b32_e64 v49, 0, -1, s[22:23]
	v_cndmask_b32_e64 v57, 0, -1, vcc
	v_bfe_i32 v9, v9, 0, 1
	v_lshlrev_b16_e32 v50, 8, v49
	v_lshlrev_b16_e32 v57, 8, v57
	v_bfe_i32 v58, v48, 0, 1
	v_or_b32_sdwa v49, v9, v50 dst_sel:DWORD dst_unused:UNUSED_PAD src0_sel:BYTE_0 src1_sel:DWORD
	v_or_b32_sdwa v48, v58, v57 dst_sel:WORD_1 dst_unused:UNUSED_PAD src0_sel:BYTE_0 src1_sel:DWORD
	v_or_b32_sdwa v59, v49, v48 dst_sel:DWORD dst_unused:UNUSED_PAD src0_sel:WORD_0 src1_sel:DWORD
	v_lshrrev_b32_e32 v48, 13, v53
	v_lshl_or_b32 v48, v54, 17, v48
	v_and_b32_e32 v49, 0x1800180, v48
	v_bfe_u32 v48, v48, 24, 1
	v_cmp_ne_u16_e32 vcc, 0, v48
	v_cmp_ne_u16_sdwa s[22:23], v49, v29 src0_sel:BYTE_1 src1_sel:DWORD
	v_lshrrev_b16_e32 v48, 7, v49
	v_lshrrev_b32_e32 v49, 22, v53
	v_bfe_i32 v54, v48, 0, 1
	v_cndmask_b32_e64 v48, 0, -1, s[22:23]
	v_cndmask_b32_e64 v61, 0, -1, vcc
	v_lshlrev_b16_e32 v60, 8, v48
	v_lshlrev_b16_e32 v61, 8, v61
	v_bfe_i32 v62, v49, 0, 1
	v_lshlrev_b32_e32 v2, 3, v2
	v_or_b32_sdwa v48, v54, v60 dst_sel:DWORD dst_unused:UNUSED_PAD src0_sel:BYTE_0 src1_sel:DWORD
	v_or_b32_sdwa v49, v62, v61 dst_sel:WORD_1 dst_unused:UNUSED_PAD src0_sel:BYTE_0 src1_sel:DWORD
	v_or_b32_sdwa v63, v48, v49 dst_sel:DWORD dst_unused:UNUSED_PAD src0_sel:WORD_0 src1_sel:DWORD
	global_load_dwordx2 v[48:49], v2, s[12:13]
	v_lshlrev_b16_e32 v9, 8, v9
	s_waitcnt vmcnt(0)
	v_xor_b32_e32 v2, v48, v59
	v_and_b32_e32 v48, 0xffffff00, v2
	v_sub_i16 v48, v48, v50 clamp
	v_lshlrev_b16_e32 v50, 8, v2
	v_sub_i16 v9, v50, v9 clamp
	v_perm_b32 v9, v9, v48, s20
	v_and_b32_sdwa v48, v2, s19 dst_sel:DWORD dst_unused:UNUSED_PAD src0_sel:WORD_1 src1_sel:DWORD
	v_lshlrev_b16_sdwa v2, v33, v2 dst_sel:DWORD dst_unused:UNUSED_PAD src0_sel:DWORD src1_sel:WORD_1
	v_lshlrev_b16_e32 v50, 8, v58
	v_sub_i16 v48, v48, v57 clamp
	v_sub_i16 v2, v2, v50 clamp
	v_perm_b32 v2, v2, v48, s20
	v_lshl_or_b32 v2, v2, 16, v9
	v_xor_b32_e32 v9, v49, v63
	v_and_b32_e32 v48, 0xffffff00, v9
	v_lshlrev_b16_e32 v49, 8, v9
	v_lshlrev_b16_e32 v50, 8, v54
	v_sub_i16 v48, v48, v60 clamp
	v_sub_i16 v49, v49, v50 clamp
	v_perm_b32 v48, v49, v48, s20
	v_and_b32_sdwa v49, v9, s19 dst_sel:DWORD dst_unused:UNUSED_PAD src0_sel:WORD_1 src1_sel:DWORD
	v_lshlrev_b16_sdwa v9, v33, v9 dst_sel:DWORD dst_unused:UNUSED_PAD src0_sel:DWORD src1_sel:WORD_1
	v_lshlrev_b16_e32 v50, 8, v62
	v_sub_i16 v49, v49, v61 clamp
	v_sub_i16 v9, v9, v50 clamp
	v_perm_b32 v9, v9, v49, s20
	v_lshl_or_b32 v9, v9, 16, v48
	v_dot4_i32_i8 v3, v2, v3, 0
	v_dot4_i32_i8 v48, v9, v4, v3
	v_lshrrev_b32_e32 v4, 17, v53
	v_lshrrev_b32_e32 v49, 24, v53
	v_lshl_or_b32 v4, v49, 21, v4
	v_and_b32_e32 v49, 0x1800180, v4
	v_bfe_u32 v4, v4, 24, 1
	v_cmp_ne_u16_e32 vcc, 0, v4
	v_cmp_ne_u16_sdwa s[22:23], v49, v29 src0_sel:BYTE_1 src1_sel:DWORD
	v_lshrrev_b16_e32 v4, 7, v49
	v_lshlrev_b32_e32 v3, 2, v52
	v_lshrrev_b32_e32 v49, 26, v53
	v_bfe_i32 v50, v4, 0, 1
	v_cndmask_b32_e64 v4, 0, -1, s[22:23]
	v_cndmask_b32_e64 v52, 0, -1, vcc
	v_and_or_b32 v3, v3, s17, v51
	v_lshlrev_b16_e32 v51, 8, v4
	v_lshlrev_b16_e32 v52, 8, v52
	v_bfe_i32 v49, v49, 0, 1
	v_or_b32_sdwa v4, v50, v51 dst_sel:DWORD dst_unused:UNUSED_PAD src0_sel:BYTE_0 src1_sel:DWORD
	v_or_b32_sdwa v54, v49, v52 dst_sel:WORD_1 dst_unused:UNUSED_PAD src0_sel:BYTE_0 src1_sel:DWORD
	v_or_b32_sdwa v54, v4, v54 dst_sel:DWORD dst_unused:UNUSED_PAD src0_sel:WORD_0 src1_sel:DWORD
	v_lshrrev_b32_e32 v4, 21, v53
	v_lshrrev_b32_e32 v58, 31, v53
	v_lshrrev_b16_e32 v57, 8, v4
	v_cmp_ne_u16_e32 vcc, 0, v58
	v_lshrrev_b32_e32 v53, 30, v53
	v_lshrrev_b16_e32 v4, 7, v4
	v_bfe_i32 v57, v57, 0, 1
	v_cndmask_b32_e64 v59, 0, -1, vcc
	v_lshlrev_b16_e32 v57, 8, v57
	v_bfe_i32 v58, v4, 0, 1
	v_bfe_i32 v53, v53, 0, 1
	v_lshlrev_b16_e32 v59, 8, v59
	v_lshlrev_b32_e32 v3, 3, v3
	v_or_b32_sdwa v4, v58, v57 dst_sel:DWORD dst_unused:UNUSED_PAD src0_sel:BYTE_0 src1_sel:DWORD
	v_or_b32_sdwa v60, v53, v59 dst_sel:WORD_1 dst_unused:UNUSED_PAD src0_sel:BYTE_0 src1_sel:DWORD
	v_or_b32_sdwa v60, v4, v60 dst_sel:DWORD dst_unused:UNUSED_PAD src0_sel:WORD_0 src1_sel:DWORD
	global_load_dwordx2 v[3:4], v3, s[12:13]
	v_lshlrev_b16_e32 v50, 8, v50
	v_lshlrev_b16_e32 v49, 8, v49
	v_add_co_u32_e32 v13, vcc, 0x1200, v13
	v_addc_co_u32_e32 v14, vcc, 0, v14, vcc
	v_cmp_le_u32_e32 vcc, s9, v27
	s_or_b64 s[0:1], vcc, s[0:1]
	s_waitcnt vmcnt(0)
	v_xor_b32_e32 v3, v3, v54
	v_and_b32_e32 v54, 0xffffff00, v3
	v_sub_i16 v51, v54, v51 clamp
	v_lshlrev_b16_e32 v54, 8, v3
	v_sub_i16 v50, v54, v50 clamp
	v_perm_b32 v50, v50, v51, s20
	v_and_b32_sdwa v51, v3, s19 dst_sel:DWORD dst_unused:UNUSED_PAD src0_sel:WORD_1 src1_sel:DWORD
	v_lshlrev_b16_sdwa v3, v33, v3 dst_sel:DWORD dst_unused:UNUSED_PAD src0_sel:DWORD src1_sel:WORD_1
	v_sub_i16 v51, v51, v52 clamp
	v_sub_i16 v3, v3, v49 clamp
	v_perm_b32 v3, v3, v51, s20
	v_xor_b32_e32 v4, v4, v60
	v_lshl_or_b32 v3, v3, 16, v50
	v_and_b32_e32 v49, 0xffffff00, v4
	v_lshlrev_b16_e32 v50, 8, v4
	v_lshlrev_b16_e32 v51, 8, v58
	v_sub_i16 v49, v49, v57 clamp
	v_sub_i16 v50, v50, v51 clamp
	v_perm_b32 v49, v50, v49, s20
	v_and_b32_sdwa v50, v4, s19 dst_sel:DWORD dst_unused:UNUSED_PAD src0_sel:WORD_1 src1_sel:DWORD
	v_lshlrev_b16_sdwa v4, v33, v4 dst_sel:DWORD dst_unused:UNUSED_PAD src0_sel:DWORD src1_sel:WORD_1
	v_lshlrev_b16_e32 v51, 8, v53
	v_sub_i16 v50, v50, v59 clamp
	v_sub_i16 v4, v4, v51 clamp
	v_perm_b32 v4, v4, v50, s20
	v_lshl_or_b32 v4, v4, 16, v49
	v_dot4_i32_i8 v5, v3, v5, v48
	v_dot4_i32_i8 v48, v4, v46, v5
	v_lshrrev_b32_e32 v5, 4, v55
	v_and_b32_e32 v46, 15, v55
	v_mul_lo_u32 v49, v56, v46
	v_mul_lo_u32 v50, v48, v5
	v_add_u32_e32 v48, v48, v56
	v_lshrrev_b32_e32 v51, 31, v48
	v_add_u32_e32 v48, v48, v51
	v_ashrrev_i32_e32 v48, 1, v48
	v_add3_u32 v48, v50, v49, v48
	v_ashrrev_i32_e32 v49, 31, v48
	v_lshrrev_b32_e32 v49, 30, v49
	v_add_u32_e32 v48, v48, v49
	v_ashrrev_i32_e32 v48, 2, v48
	v_cvt_f32_i32_e32 v47, v48
	v_mad_u64_u32 v[55:56], s[12:13], v30, 36, v[10:11]
	v_add_u32_e32 v30, 0x80, v30
	v_fmac_f32_e32 v25, v18, v47
	global_load_dword v18, v[55:56], off offset:32
	global_load_dwordx4 v[47:50], v[55:56], off offset:16
	global_load_dwordx4 v[51:54], v[55:56], off
	s_waitcnt vmcnt(1)
	v_dot4_i32_i8 v56, v37, v48, 0
	s_waitcnt vmcnt(0)
	v_dot4_i32_i8 v55, v6, v52, 0
	v_dot4_i32_i8 v55, v34, v53, v55
	;; [unrolled: 1-line block ×7, first 2 shown]
	v_mul_lo_u32 v57, v55, v43
	v_mul_lo_u32 v58, v56, v42
	v_add_u32_e32 v55, v56, v55
	v_dot4_i32_i8 v52, v44, v52, 0
	v_dot4_i32_i8 v48, v2, v48, 0
	v_lshrrev_b32_e32 v56, 31, v55
	v_dot4_i32_i8 v52, v45, v53, v52
	v_dot4_i32_i8 v48, v9, v49, v48
	v_add_u32_e32 v55, v55, v56
	v_dot4_i32_i8 v52, v7, v54, v52
	v_dot4_i32_i8 v48, v3, v50, v48
	v_ashrrev_i32_e32 v55, 1, v55
	v_dot4_i32_i8 v47, v8, v47, v52
	v_dot4_i32_i8 v18, v4, v18, v48
	v_add3_u32 v55, v58, v57, v55
	v_mul_lo_u32 v48, v47, v46
	v_mul_lo_u32 v49, v18, v5
	v_add_u32_e32 v18, v18, v47
	v_ashrrev_i32_e32 v56, 31, v55
	v_lshrrev_b32_e32 v47, 31, v18
	v_lshrrev_b32_e32 v56, 30, v56
	v_add_u32_e32 v18, v18, v47
	v_add_u32_e32 v55, v55, v56
	v_ashrrev_i32_e32 v18, 1, v18
	v_cvt_f32_f16_e32 v51, v51
	v_ashrrev_i32_e32 v55, 2, v55
	v_add3_u32 v18, v49, v48, v18
	v_cvt_f32_i32_e32 v55, v55
	v_ashrrev_i32_e32 v47, 31, v18
	v_lshrrev_b32_e32 v47, 30, v47
	v_add_u32_e32 v18, v18, v47
	v_mul_f32_e32 v56, v39, v51
	v_ashrrev_i32_e32 v18, 2, v18
	v_fmac_f32_e32 v24, v56, v55
	v_cvt_f32_i32_e32 v18, v18
	v_mad_u64_u32 v[55:56], s[12:13], v31, 36, v[10:11]
	v_mul_f32_e32 v47, v17, v51
	v_fmac_f32_e32 v23, v47, v18
	global_load_dword v18, v[55:56], off offset:32
	global_load_dwordx4 v[47:50], v[55:56], off offset:16
	global_load_dwordx4 v[51:54], v[55:56], off
	v_add_u32_e32 v31, 0x80, v31
	s_waitcnt vmcnt(1)
	v_dot4_i32_i8 v56, v37, v48, 0
	s_waitcnt vmcnt(0)
	v_dot4_i32_i8 v55, v6, v52, 0
	v_dot4_i32_i8 v55, v34, v53, v55
	;; [unrolled: 1-line block ×7, first 2 shown]
	v_mul_lo_u32 v57, v55, v43
	v_mul_lo_u32 v58, v56, v42
	v_add_u32_e32 v55, v56, v55
	v_dot4_i32_i8 v52, v44, v52, 0
	v_dot4_i32_i8 v48, v2, v48, 0
	v_lshrrev_b32_e32 v56, 31, v55
	v_dot4_i32_i8 v52, v45, v53, v52
	v_dot4_i32_i8 v48, v9, v49, v48
	v_add_u32_e32 v55, v55, v56
	v_dot4_i32_i8 v52, v7, v54, v52
	v_dot4_i32_i8 v48, v3, v50, v48
	v_ashrrev_i32_e32 v55, 1, v55
	v_dot4_i32_i8 v47, v8, v47, v52
	v_dot4_i32_i8 v18, v4, v18, v48
	v_add3_u32 v55, v58, v57, v55
	v_mul_lo_u32 v48, v47, v46
	v_mul_lo_u32 v49, v18, v5
	v_add_u32_e32 v18, v18, v47
	v_ashrrev_i32_e32 v56, 31, v55
	v_lshrrev_b32_e32 v47, 31, v18
	v_lshrrev_b32_e32 v56, 30, v56
	v_add_u32_e32 v18, v18, v47
	v_add_u32_e32 v55, v55, v56
	v_ashrrev_i32_e32 v18, 1, v18
	v_cvt_f32_f16_e32 v51, v51
	v_ashrrev_i32_e32 v55, 2, v55
	v_add3_u32 v18, v49, v48, v18
	v_cvt_f32_i32_e32 v55, v55
	v_ashrrev_i32_e32 v47, 31, v18
	v_lshrrev_b32_e32 v47, 30, v47
	v_add_u32_e32 v18, v18, v47
	v_mul_f32_e32 v56, v39, v51
	v_ashrrev_i32_e32 v18, 2, v18
	v_fmac_f32_e32 v22, v56, v55
	v_cvt_f32_i32_e32 v18, v18
	v_mad_u64_u32 v[55:56], s[12:13], v12, 36, v[10:11]
	v_mul_f32_e32 v47, v17, v51
	v_fmac_f32_e32 v21, v47, v18
	global_load_dword v18, v[55:56], off offset:32
	global_load_dwordx4 v[47:50], v[55:56], off offset:16
	global_load_dwordx4 v[51:54], v[55:56], off
	v_add_u32_e32 v12, 0x80, v12
	s_waitcnt vmcnt(1)
	v_dot4_i32_i8 v2, v2, v48, 0
	s_waitcnt vmcnt(0)
	v_dot4_i32_i8 v6, v6, v52, 0
	v_dot4_i32_i8 v6, v34, v53, v6
	;; [unrolled: 1-line block ×8, first 2 shown]
	v_mul_lo_u32 v35, v6, v43
	v_mul_lo_u32 v36, v34, v42
	v_add_u32_e32 v6, v34, v6
	v_lshrrev_b32_e32 v34, 31, v6
	v_add_u32_e32 v6, v6, v34
	v_ashrrev_i32_e32 v6, 1, v6
	v_add3_u32 v6, v36, v35, v6
	v_ashrrev_i32_e32 v34, 31, v6
	v_lshrrev_b32_e32 v34, 30, v34
	v_add_u32_e32 v6, v6, v34
	v_cvt_f32_f16_e32 v51, v51
	v_ashrrev_i32_e32 v6, 2, v6
	v_cvt_f32_i32_e32 v6, v6
	v_dot4_i32_i8 v2, v9, v49, v2
	v_mul_f32_e32 v34, v39, v51
	v_dot4_i32_i8 v2, v3, v50, v2
	v_fmac_f32_e32 v20, v34, v6
	v_dot4_i32_i8 v6, v44, v52, 0
	v_dot4_i32_i8 v6, v45, v53, v6
	;; [unrolled: 1-line block ×5, first 2 shown]
	v_mul_lo_u32 v3, v6, v46
	v_mul_lo_u32 v4, v2, v5
	v_add_u32_e32 v2, v2, v6
	v_lshrrev_b32_e32 v5, 31, v2
	v_add_u32_e32 v2, v2, v5
	v_ashrrev_i32_e32 v2, 1, v2
	v_add3_u32 v2, v4, v3, v2
	v_ashrrev_i32_e32 v3, 31, v2
	v_lshrrev_b32_e32 v3, 30, v3
	v_add_u32_e32 v2, v2, v3
	v_ashrrev_i32_e32 v2, 2, v2
	v_cvt_f32_i32_e32 v2, v2
	v_mul_f32_e32 v3, v17, v51
	v_fmac_f32_e32 v19, v3, v2
	s_andn2_b64 exec, exec, s[0:1]
	s_cbranch_execnz .LBB187_2
; %bb.3:
	s_or_b64 exec, exec, s[0:1]
.LBB187_4:
	s_or_b64 exec, exec, s[10:11]
	v_cmp_eq_u32_e32 vcc, 0, v1
	v_cmp_ne_u32_e64 s[0:1], 0, v1
	v_lshlrev_b32_e32 v2, 2, v0
	s_and_saveexec_b64 s[10:11], s[0:1]
	s_cbranch_execz .LBB187_6
; %bb.5:
	v_lshl_or_b32 v1, v1, 11, v2
	v_add_u32_e32 v1, 0xfffff800, v1
	ds_write2st64_b32 v1, v26, v25 offset1:1
	ds_write2st64_b32 v1, v24, v23 offset0:2 offset1:3
	ds_write2st64_b32 v1, v22, v21 offset0:4 offset1:5
	;; [unrolled: 1-line block ×3, first 2 shown]
.LBB187_6:
	s_or_b64 exec, exec, s[10:11]
	s_waitcnt lgkmcnt(0)
	s_barrier
	s_and_saveexec_b64 s[0:1], vcc
	s_cbranch_execz .LBB187_15
; %bb.7:
	v_mbcnt_lo_u32_b32 v1, -1, 0
	v_mbcnt_hi_u32_b32 v7, -1, v1
	ds_read2st64_b32 v[5:6], v2 offset1:1
	v_and_b32_e32 v1, 64, v7
	v_add_u32_e32 v8, 64, v1
	v_xor_b32_e32 v1, 32, v7
	v_cmp_lt_i32_e32 vcc, v1, v8
	v_cndmask_b32_e32 v1, v7, v1, vcc
	v_lshlrev_b32_e32 v1, 2, v1
	s_waitcnt lgkmcnt(0)
	v_add_f32_e32 v10, v5, v26
	v_add_f32_e32 v6, v6, v25
	ds_bpermute_b32 v11, v1, v10
	ds_bpermute_b32 v12, v1, v6
	v_xor_b32_e32 v3, 16, v7
	v_cmp_lt_i32_e32 vcc, v3, v8
	v_cndmask_b32_e32 v3, v7, v3, vcc
	v_lshlrev_b32_e32 v3, 2, v3
	s_waitcnt lgkmcnt(1)
	v_add_f32_e32 v10, v10, v11
	s_waitcnt lgkmcnt(0)
	v_add_f32_e32 v6, v6, v12
	ds_bpermute_b32 v11, v3, v10
	ds_bpermute_b32 v12, v3, v6
	v_xor_b32_e32 v4, 8, v7
	v_cmp_lt_i32_e32 vcc, v4, v8
	v_cndmask_b32_e32 v4, v7, v4, vcc
	v_lshlrev_b32_e32 v4, 2, v4
	s_waitcnt lgkmcnt(1)
	v_add_f32_e32 v10, v10, v11
	s_waitcnt lgkmcnt(0)
	;; [unrolled: 10-line block ×3, first 2 shown]
	v_add_f32_e32 v12, v12, v13
	ds_bpermute_b32 v11, v5, v10
	ds_bpermute_b32 v13, v5, v12
	v_xor_b32_e32 v9, 2, v7
	v_cmp_lt_i32_e32 vcc, v9, v8
	v_cndmask_b32_e32 v9, v7, v9, vcc
	v_lshlrev_b32_e32 v6, 2, v9
	v_xor_b32_e32 v9, 1, v7
	v_cmp_lt_i32_e32 vcc, v9, v8
	s_waitcnt lgkmcnt(1)
	v_add_f32_e32 v8, v10, v11
	s_waitcnt lgkmcnt(0)
	v_add_f32_e32 v11, v12, v13
	ds_bpermute_b32 v10, v6, v8
	ds_bpermute_b32 v12, v6, v11
	s_load_dwordx2 s[0:1], s[4:5], 0x38
	v_cndmask_b32_e32 v7, v7, v9, vcc
	s_mul_i32 s4, s14, s7
	v_lshlrev_b32_e32 v9, 2, v7
	s_waitcnt lgkmcnt(0)
	v_add_f32_e32 v7, v8, v10
	v_add_f32_e32 v10, v11, v12
	s_mul_i32 s3, s18, s8
	s_add_i32 s4, s4, s6
	ds_bpermute_b32 v8, v9, v7
	ds_bpermute_b32 v11, v9, v10
	s_add_i32 s4, s4, s3
	s_mov_b32 s5, 0
	s_lshl_b64 s[4:5], s[4:5], 2
	s_add_u32 s4, s0, s4
	v_add_u32_e32 v12, s6, v0
	s_addc_u32 s5, s1, s5
	v_cmp_gt_u32_e32 vcc, 2, v0
	v_cmp_gt_u32_e64 s[0:1], s2, v12
	s_and_b64 s[0:1], vcc, s[0:1]
	s_waitcnt lgkmcnt(1)
	v_add_f32_e32 v7, v7, v8
	s_waitcnt lgkmcnt(0)
	v_add_f32_e32 v8, v10, v11
	s_and_saveexec_b64 s[6:7], s[0:1]
	s_cbranch_execz .LBB187_9
; %bb.8:
	v_cmp_eq_u32_e32 vcc, 1, v0
	v_cndmask_b32_e32 v10, v7, v8, vcc
	v_cmp_eq_u32_e32 vcc, 2, v0
	v_cndmask_b32_e32 v10, v10, v24, vcc
	;; [unrolled: 2-line block ×7, first 2 shown]
	global_store_dword v2, v10, s[4:5]
.LBB187_9:
	s_or_b64 exec, exec, s[6:7]
	ds_read2st64_b32 v[10:11], v2 offset0:2 offset1:3
	s_waitcnt lgkmcnt(0)
	v_add_f32_e32 v10, v10, v24
	v_add_f32_e32 v11, v11, v23
	ds_bpermute_b32 v12, v1, v10
	ds_bpermute_b32 v13, v1, v11
	s_waitcnt lgkmcnt(1)
	v_add_f32_e32 v10, v10, v12
	s_waitcnt lgkmcnt(0)
	v_add_f32_e32 v11, v11, v13
	ds_bpermute_b32 v12, v3, v10
	ds_bpermute_b32 v13, v3, v11
	s_waitcnt lgkmcnt(1)
	v_add_f32_e32 v10, v10, v12
	s_waitcnt lgkmcnt(0)
	;; [unrolled: 6-line block ×6, first 2 shown]
	v_add_f32_e32 v10, v12, v13
	s_and_saveexec_b64 s[6:7], s[0:1]
	s_cbranch_execz .LBB187_11
; %bb.10:
	v_add_u32_e32 v12, 2, v0
	v_cmp_eq_u32_e32 vcc, 1, v12
	v_cndmask_b32_e32 v13, v7, v8, vcc
	v_cmp_eq_u32_e32 vcc, 2, v12
	v_cndmask_b32_e32 v13, v13, v11, vcc
	;; [unrolled: 2-line block ×7, first 2 shown]
	v_add_u32_e32 v12, s2, v0
	v_mov_b32_e32 v13, 0
	v_lshlrev_b64 v[12:13], 2, v[12:13]
	v_mov_b32_e32 v15, s5
	v_add_co_u32_e32 v12, vcc, s4, v12
	v_addc_co_u32_e32 v13, vcc, v15, v13, vcc
	global_store_dword v[12:13], v14, off
.LBB187_11:
	s_or_b64 exec, exec, s[6:7]
	ds_read2st64_b32 v[12:13], v2 offset0:4 offset1:5
	s_waitcnt lgkmcnt(0)
	v_add_f32_e32 v12, v12, v22
	v_add_f32_e32 v13, v13, v21
	ds_bpermute_b32 v14, v1, v12
	ds_bpermute_b32 v15, v1, v13
	s_waitcnt lgkmcnt(1)
	v_add_f32_e32 v12, v12, v14
	s_waitcnt lgkmcnt(0)
	v_add_f32_e32 v13, v13, v15
	ds_bpermute_b32 v14, v3, v12
	ds_bpermute_b32 v15, v3, v13
	s_waitcnt lgkmcnt(1)
	v_add_f32_e32 v12, v12, v14
	s_waitcnt lgkmcnt(0)
	;; [unrolled: 6-line block ×6, first 2 shown]
	v_add_f32_e32 v12, v14, v15
	s_and_saveexec_b64 s[6:7], s[0:1]
	s_cbranch_execz .LBB187_13
; %bb.12:
	v_add_u32_e32 v14, 4, v0
	v_cmp_eq_u32_e32 vcc, 1, v14
	v_cndmask_b32_e32 v15, v7, v8, vcc
	v_cmp_eq_u32_e32 vcc, 2, v14
	v_cndmask_b32_e32 v15, v15, v11, vcc
	;; [unrolled: 2-line block ×7, first 2 shown]
	v_lshl_or_b32 v14, s2, 1, v0
	v_mov_b32_e32 v15, 0
	v_lshlrev_b64 v[14:15], 2, v[14:15]
	v_mov_b32_e32 v17, s5
	v_add_co_u32_e32 v14, vcc, s4, v14
	v_addc_co_u32_e32 v15, vcc, v17, v15, vcc
	global_store_dword v[14:15], v16, off
.LBB187_13:
	s_or_b64 exec, exec, s[6:7]
	ds_read2st64_b32 v[14:15], v2 offset0:6 offset1:7
	s_waitcnt lgkmcnt(0)
	v_add_f32_e32 v2, v14, v20
	v_add_f32_e32 v14, v15, v19
	ds_bpermute_b32 v15, v1, v2
	ds_bpermute_b32 v1, v1, v14
	s_waitcnt lgkmcnt(1)
	v_add_f32_e32 v2, v2, v15
	s_waitcnt lgkmcnt(0)
	v_add_f32_e32 v1, v14, v1
	ds_bpermute_b32 v14, v3, v2
	ds_bpermute_b32 v3, v3, v1
	s_waitcnt lgkmcnt(1)
	v_add_f32_e32 v2, v2, v14
	s_waitcnt lgkmcnt(0)
	;; [unrolled: 6-line block ×5, first 2 shown]
	v_add_f32_e32 v2, v3, v4
	ds_bpermute_b32 v3, v9, v1
	ds_bpermute_b32 v4, v9, v2
	s_and_b64 exec, exec, s[0:1]
	s_cbranch_execz .LBB187_15
; %bb.14:
	s_waitcnt lgkmcnt(1)
	v_add_f32_e32 v1, v1, v3
	v_add_u32_e32 v3, 6, v0
	v_cmp_eq_u32_e32 vcc, 1, v3
	s_waitcnt lgkmcnt(0)
	v_add_f32_e32 v2, v2, v4
	v_cndmask_b32_e32 v4, v7, v8, vcc
	v_cmp_eq_u32_e32 vcc, 2, v3
	v_cndmask_b32_e32 v4, v4, v11, vcc
	v_cmp_eq_u32_e32 vcc, 3, v3
	;; [unrolled: 2-line block ×5, first 2 shown]
	v_cndmask_b32_e32 v4, v4, v1, vcc
	v_mad_u64_u32 v[0:1], s[0:1], s2, 3, v[0:1]
	v_mov_b32_e32 v1, 0
	v_cmp_eq_u32_e32 vcc, 7, v3
	v_lshlrev_b64 v[0:1], 2, v[0:1]
	v_cndmask_b32_e32 v2, v4, v2, vcc
	v_mov_b32_e32 v3, s5
	v_add_co_u32_e32 v0, vcc, s4, v0
	v_addc_co_u32_e32 v1, vcc, v3, v1, vcc
	global_store_dword v[0:1], v2, off
.LBB187_15:
	s_endpgm
	.section	.rodata,"a",@progbits
	.p2align	6, 0x0
	.amdhsa_kernel _ZL13mul_mat_vec_qIL9ggml_type22ELi4ELb0ELb0EEvPKvS2_PKi31ggml_cuda_mm_fusion_args_devicePfj15HIP_vector_typeIjLj3EEjjjS8_jjjS8_jjjj
		.amdhsa_group_segment_fixed_size 2048
		.amdhsa_private_segment_fixed_size 0
		.amdhsa_kernarg_size 144
		.amdhsa_user_sgpr_count 6
		.amdhsa_user_sgpr_private_segment_buffer 1
		.amdhsa_user_sgpr_dispatch_ptr 0
		.amdhsa_user_sgpr_queue_ptr 0
		.amdhsa_user_sgpr_kernarg_segment_ptr 1
		.amdhsa_user_sgpr_dispatch_id 0
		.amdhsa_user_sgpr_flat_scratch_init 0
		.amdhsa_user_sgpr_private_segment_size 0
		.amdhsa_uses_dynamic_stack 0
		.amdhsa_system_sgpr_private_segment_wavefront_offset 0
		.amdhsa_system_sgpr_workgroup_id_x 1
		.amdhsa_system_sgpr_workgroup_id_y 1
		.amdhsa_system_sgpr_workgroup_id_z 1
		.amdhsa_system_sgpr_workgroup_info 0
		.amdhsa_system_vgpr_workitem_id 1
		.amdhsa_next_free_vgpr 65
		.amdhsa_next_free_sgpr 61
		.amdhsa_reserve_vcc 1
		.amdhsa_reserve_flat_scratch 0
		.amdhsa_float_round_mode_32 0
		.amdhsa_float_round_mode_16_64 0
		.amdhsa_float_denorm_mode_32 3
		.amdhsa_float_denorm_mode_16_64 3
		.amdhsa_dx10_clamp 1
		.amdhsa_ieee_mode 1
		.amdhsa_fp16_overflow 0
		.amdhsa_exception_fp_ieee_invalid_op 0
		.amdhsa_exception_fp_denorm_src 0
		.amdhsa_exception_fp_ieee_div_zero 0
		.amdhsa_exception_fp_ieee_overflow 0
		.amdhsa_exception_fp_ieee_underflow 0
		.amdhsa_exception_fp_ieee_inexact 0
		.amdhsa_exception_int_div_zero 0
	.end_amdhsa_kernel
	.section	.text._ZL13mul_mat_vec_qIL9ggml_type22ELi4ELb0ELb0EEvPKvS2_PKi31ggml_cuda_mm_fusion_args_devicePfj15HIP_vector_typeIjLj3EEjjjS8_jjjS8_jjjj,"axG",@progbits,_ZL13mul_mat_vec_qIL9ggml_type22ELi4ELb0ELb0EEvPKvS2_PKi31ggml_cuda_mm_fusion_args_devicePfj15HIP_vector_typeIjLj3EEjjjS8_jjjS8_jjjj,comdat
.Lfunc_end187:
	.size	_ZL13mul_mat_vec_qIL9ggml_type22ELi4ELb0ELb0EEvPKvS2_PKi31ggml_cuda_mm_fusion_args_devicePfj15HIP_vector_typeIjLj3EEjjjS8_jjjS8_jjjj, .Lfunc_end187-_ZL13mul_mat_vec_qIL9ggml_type22ELi4ELb0ELb0EEvPKvS2_PKi31ggml_cuda_mm_fusion_args_devicePfj15HIP_vector_typeIjLj3EEjjjS8_jjjS8_jjjj
                                        ; -- End function
	.set _ZL13mul_mat_vec_qIL9ggml_type22ELi4ELb0ELb0EEvPKvS2_PKi31ggml_cuda_mm_fusion_args_devicePfj15HIP_vector_typeIjLj3EEjjjS8_jjjS8_jjjj.num_vgpr, 65
	.set _ZL13mul_mat_vec_qIL9ggml_type22ELi4ELb0ELb0EEvPKvS2_PKi31ggml_cuda_mm_fusion_args_devicePfj15HIP_vector_typeIjLj3EEjjjS8_jjjS8_jjjj.num_agpr, 0
	.set _ZL13mul_mat_vec_qIL9ggml_type22ELi4ELb0ELb0EEvPKvS2_PKi31ggml_cuda_mm_fusion_args_devicePfj15HIP_vector_typeIjLj3EEjjjS8_jjjS8_jjjj.numbered_sgpr, 26
	.set _ZL13mul_mat_vec_qIL9ggml_type22ELi4ELb0ELb0EEvPKvS2_PKi31ggml_cuda_mm_fusion_args_devicePfj15HIP_vector_typeIjLj3EEjjjS8_jjjS8_jjjj.num_named_barrier, 0
	.set _ZL13mul_mat_vec_qIL9ggml_type22ELi4ELb0ELb0EEvPKvS2_PKi31ggml_cuda_mm_fusion_args_devicePfj15HIP_vector_typeIjLj3EEjjjS8_jjjS8_jjjj.private_seg_size, 0
	.set _ZL13mul_mat_vec_qIL9ggml_type22ELi4ELb0ELb0EEvPKvS2_PKi31ggml_cuda_mm_fusion_args_devicePfj15HIP_vector_typeIjLj3EEjjjS8_jjjS8_jjjj.uses_vcc, 1
	.set _ZL13mul_mat_vec_qIL9ggml_type22ELi4ELb0ELb0EEvPKvS2_PKi31ggml_cuda_mm_fusion_args_devicePfj15HIP_vector_typeIjLj3EEjjjS8_jjjS8_jjjj.uses_flat_scratch, 0
	.set _ZL13mul_mat_vec_qIL9ggml_type22ELi4ELb0ELb0EEvPKvS2_PKi31ggml_cuda_mm_fusion_args_devicePfj15HIP_vector_typeIjLj3EEjjjS8_jjjS8_jjjj.has_dyn_sized_stack, 0
	.set _ZL13mul_mat_vec_qIL9ggml_type22ELi4ELb0ELb0EEvPKvS2_PKi31ggml_cuda_mm_fusion_args_devicePfj15HIP_vector_typeIjLj3EEjjjS8_jjjS8_jjjj.has_recursion, 0
	.set _ZL13mul_mat_vec_qIL9ggml_type22ELi4ELb0ELb0EEvPKvS2_PKi31ggml_cuda_mm_fusion_args_devicePfj15HIP_vector_typeIjLj3EEjjjS8_jjjS8_jjjj.has_indirect_call, 0
	.section	.AMDGPU.csdata,"",@progbits
; Kernel info:
; codeLenInByte = 6940
; TotalNumSgprs: 30
; NumVgprs: 65
; ScratchSize: 0
; MemoryBound: 0
; FloatMode: 240
; IeeeMode: 1
; LDSByteSize: 2048 bytes/workgroup (compile time only)
; SGPRBlocks: 8
; VGPRBlocks: 16
; NumSGPRsForWavesPerEU: 65
; NumVGPRsForWavesPerEU: 65
; Occupancy: 3
; WaveLimiterHint : 0
; COMPUTE_PGM_RSRC2:SCRATCH_EN: 0
; COMPUTE_PGM_RSRC2:USER_SGPR: 6
; COMPUTE_PGM_RSRC2:TRAP_HANDLER: 0
; COMPUTE_PGM_RSRC2:TGID_X_EN: 1
; COMPUTE_PGM_RSRC2:TGID_Y_EN: 1
; COMPUTE_PGM_RSRC2:TGID_Z_EN: 1
; COMPUTE_PGM_RSRC2:TIDIG_COMP_CNT: 1
	.section	.text._ZL13mul_mat_vec_qIL9ggml_type22ELi5ELb0ELb0EEvPKvS2_PKi31ggml_cuda_mm_fusion_args_devicePfj15HIP_vector_typeIjLj3EEjjjS8_jjjS8_jjjj,"axG",@progbits,_ZL13mul_mat_vec_qIL9ggml_type22ELi5ELb0ELb0EEvPKvS2_PKi31ggml_cuda_mm_fusion_args_devicePfj15HIP_vector_typeIjLj3EEjjjS8_jjjS8_jjjj,comdat
	.globl	_ZL13mul_mat_vec_qIL9ggml_type22ELi5ELb0ELb0EEvPKvS2_PKi31ggml_cuda_mm_fusion_args_devicePfj15HIP_vector_typeIjLj3EEjjjS8_jjjS8_jjjj ; -- Begin function _ZL13mul_mat_vec_qIL9ggml_type22ELi5ELb0ELb0EEvPKvS2_PKi31ggml_cuda_mm_fusion_args_devicePfj15HIP_vector_typeIjLj3EEjjjS8_jjjS8_jjjj
	.p2align	8
	.type	_ZL13mul_mat_vec_qIL9ggml_type22ELi5ELb0ELb0EEvPKvS2_PKi31ggml_cuda_mm_fusion_args_devicePfj15HIP_vector_typeIjLj3EEjjjS8_jjjS8_jjjj,@function
_ZL13mul_mat_vec_qIL9ggml_type22ELi5ELb0ELb0EEvPKvS2_PKi31ggml_cuda_mm_fusion_args_devicePfj15HIP_vector_typeIjLj3EEjjjS8_jjjS8_jjjj: ; @_ZL13mul_mat_vec_qIL9ggml_type22ELi5ELb0ELb0EEvPKvS2_PKi31ggml_cuda_mm_fusion_args_devicePfj15HIP_vector_typeIjLj3EEjjjS8_jjjS8_jjjj
; %bb.0:
	s_load_dword s9, s[4:5], 0x40
	s_load_dwordx4 s[0:3], s[4:5], 0x50
	s_load_dword s25, s[4:5], 0x60
	s_load_dwordx4 s[12:15], s[4:5], 0x68
	s_load_dword s24, s[4:5], 0x78
	s_load_dwordx4 s[16:19], s[4:5], 0x80
	v_lshl_or_b32 v2, v1, 6, v0
	s_waitcnt lgkmcnt(0)
	s_lshr_b32 s9, s9, 8
	v_lshrrev_b32_e32 v26, 3, v2
	v_mov_b32_e32 v16, 0
	s_lshl_b32 s6, s6, 1
	v_cmp_gt_u32_e32 vcc, s9, v26
	v_mov_b32_e32 v17, v16
	v_mov_b32_e32 v18, v16
	;; [unrolled: 1-line block ×9, first 2 shown]
	s_and_saveexec_b64 s[10:11], vcc
	s_cbranch_execz .LBB188_4
; %bb.1:
	s_mul_hi_u32 s3, s3, s7
	s_add_i32 s3, s7, s3
	s_load_dwordx4 s[20:23], s[4:5], 0x0
	s_lshr_b32 s3, s3, s25
	s_mul_i32 s3, s3, s12
	s_mul_hi_u32 s12, s15, s8
	s_add_i32 s12, s8, s12
	s_lshr_b32 s12, s12, s24
	s_mul_i32 s19, s17, s8
	s_mul_i32 s15, s12, s16
	;; [unrolled: 1-line block ×3, first 2 shown]
	s_mul_hi_u32 s12, s19, 36
	s_waitcnt lgkmcnt(0)
	s_add_u32 s16, s22, s16
	s_addc_u32 s17, s23, s12
	s_mul_i32 s12, s13, s7
	s_mul_hi_u32 s13, s12, 36
	s_mul_i32 s12, s12, 36
	s_add_u32 s16, s16, s12
	s_addc_u32 s17, s17, s13
	s_add_i32 s24, s6, 1
	v_mov_b32_e32 v2, s12
	s_add_i32 s15, s15, s3
	s_mul_i32 s3, s6, s0
	s_mul_i32 s0, s0, s24
	s_movk_i32 s24, 0x120
	v_mov_b32_e32 v3, s13
	v_mad_u64_u32 v[2:3], s[12:13], v26, s24, v[2:3]
	v_and_b32_e32 v27, 7, v0
	v_mov_b32_e32 v5, s23
	v_mad_u64_u32 v[2:3], s[12:13], s19, 36, v[2:3]
	v_mad_u64_u32 v[12:13], s[16:17], v27, 36, s[16:17]
	;; [unrolled: 1-line block ×3, first 2 shown]
	v_lshlrev_b32_e32 v4, 1, v27
	v_mov_b32_e32 v14, s20
	v_add_co_u32_e32 v2, vcc, s22, v2
	v_addc_co_u32_e32 v3, vcc, v5, v3, vcc
	v_add_co_u32_e32 v10, vcc, 16, v2
	v_mov_b32_e32 v28, 0
	s_add_i32 s3, s15, s3
	s_add_i32 s0, s15, s0
	v_lshlrev_b32_e32 v29, 3, v26
	s_lshl_b32 s15, s1, 2
	s_mul_i32 s19, s1, 3
	s_lshl_b32 s24, s1, 1
	v_addc_co_u32_e32 v11, vcc, 0, v3, vcc
	s_mov_b64 s[12:13], 0
	s_movk_i32 s22, 0x52
	v_lshlrev_b32_e32 v30, 1, v4
	s_movk_i32 s23, 0x300
	s_movk_i32 s25, 0xff00
	s_mov_b32 s26, 0xc0c0105
	v_mov_b32_e32 v31, 8
	v_mov_b32_e32 v16, 0
	;; [unrolled: 1-line block ×12, first 2 shown]
.LBB188_2:                              ; =>This Inner Loop Header: Depth=1
	v_add_u32_e32 v32, s3, v26
	v_mad_i64_i32 v[41:42], s[16:17], v32, s22, v[14:15]
	global_load_dword v45, v[10:11], off offset:16
	global_load_dwordx4 v[2:5], v[10:11], off
	global_load_dwordx4 v[6:9], v[10:11], off offset:-16
	s_getpc_b64 s[16:17]
	s_add_u32 s16, s16, _ZL9iq2s_grid@rel32@lo+4
	s_addc_u32 s17, s17, _ZL9iq2s_grid@rel32@hi+12
	v_add_co_u32_e32 v32, vcc, v41, v30
	v_addc_co_u32_e32 v33, vcc, 0, v42, vcc
	v_add_co_u32_e32 v34, vcc, v41, v27
	global_load_dword v36, v[32:33], off offset:2
	v_addc_co_u32_e32 v35, vcc, 0, v42, vcc
	global_load_ubyte v38, v[34:35], off offset:66
	global_load_dword v39, v[32:33], off offset:34
	global_load_ubyte v43, v[34:35], off offset:74
	s_waitcnt vmcnt(4)
	v_cvt_f32_f16_e32 v46, v6
	global_load_ushort v41, v[41:42], off
	s_waitcnt vmcnt(4)
	v_and_b32_e32 v6, 0xff, v36
	v_lshrrev_b32_e32 v37, 24, v36
	s_waitcnt vmcnt(3)
	v_lshlrev_b32_e32 v32, 8, v38
	v_and_or_b32 v6, v32, s23, v6
	s_waitcnt vmcnt(2)
	v_and_b32_e32 v32, 0xff, v39
	v_lshlrev_b32_e32 v33, 21, v39
	v_lshl_or_b32 v33, v32, 7, v33
	v_and_b32_e32 v34, 0x1800180, v33
	v_bfe_u32 v33, v33, 24, 1
	v_cmp_ne_u16_e32 vcc, 0, v33
	v_cmp_ne_u16_sdwa s[20:21], v34, v28 src0_sel:BYTE_1 src1_sel:DWORD
	v_lshrrev_b16_e32 v33, 7, v34
	v_lshrrev_b32_e32 v34, 2, v39
	v_bfe_i32 v35, v33, 0, 1
	v_cndmask_b32_e64 v33, 0, -1, s[20:21]
	v_cndmask_b32_e64 v47, 0, -1, vcc
	v_lshlrev_b16_e32 v44, 8, v33
	v_lshlrev_b16_e32 v47, 8, v47
	v_bfe_i32 v34, v34, 0, 1
	v_or_b32_sdwa v33, v35, v44 dst_sel:DWORD dst_unused:UNUSED_PAD src0_sel:BYTE_0 src1_sel:DWORD
	v_or_b32_sdwa v48, v34, v47 dst_sel:WORD_1 dst_unused:UNUSED_PAD src0_sel:BYTE_0 src1_sel:DWORD
	v_or_b32_sdwa v48, v33, v48 dst_sel:DWORD dst_unused:UNUSED_PAD src0_sel:WORD_0 src1_sel:DWORD
	v_lshlrev_b32_e32 v33, 17, v39
	v_lshl_or_b32 v32, v32, 3, v33
	v_and_b32_e32 v33, 0x1800180, v32
	v_bfe_u32 v32, v32, 24, 1
	v_cmp_ne_u16_e32 vcc, 0, v32
	v_cmp_ne_u16_sdwa s[20:21], v33, v28 src0_sel:BYTE_1 src1_sel:DWORD
	v_lshrrev_b16_e32 v32, 7, v33
	v_lshrrev_b32_e32 v33, 6, v39
	v_bfe_i32 v49, v32, 0, 1
	v_cndmask_b32_e64 v32, 0, -1, s[20:21]
	v_cndmask_b32_e64 v51, 0, -1, vcc
	v_lshlrev_b16_e32 v50, 8, v32
	v_lshlrev_b16_e32 v51, 8, v51
	v_bfe_i32 v52, v33, 0, 1
	v_lshlrev_b32_e32 v6, 3, v6
	v_or_b32_sdwa v32, v49, v50 dst_sel:DWORD dst_unused:UNUSED_PAD src0_sel:BYTE_0 src1_sel:DWORD
	v_or_b32_sdwa v33, v52, v51 dst_sel:WORD_1 dst_unused:UNUSED_PAD src0_sel:BYTE_0 src1_sel:DWORD
	v_or_b32_sdwa v53, v32, v33 dst_sel:DWORD dst_unused:UNUSED_PAD src0_sel:WORD_0 src1_sel:DWORD
	global_load_dwordx2 v[32:33], v6, s[16:17]
	v_lshlrev_b16_e32 v35, 8, v35
	v_lshlrev_b16_e32 v34, 8, v34
	v_lshrrev_b32_e32 v40, 16, v39
	s_waitcnt vmcnt(1)
	v_cvt_f32_f16_e32 v41, v41
	v_mul_f32_e32 v42, v41, v46
	s_waitcnt vmcnt(0)
	v_xor_b32_e32 v6, v32, v48
	v_and_b32_e32 v32, 0xffffff00, v6
	v_sub_i16 v32, v32, v44 clamp
	v_lshlrev_b16_e32 v44, 8, v6
	v_sub_i16 v35, v44, v35 clamp
	v_perm_b32 v32, v35, v32, s26
	v_and_b32_sdwa v35, v6, s25 dst_sel:DWORD dst_unused:UNUSED_PAD src0_sel:WORD_1 src1_sel:DWORD
	v_lshlrev_b16_sdwa v6, v31, v6 dst_sel:DWORD dst_unused:UNUSED_PAD src0_sel:DWORD src1_sel:WORD_1
	v_sub_i16 v35, v35, v47 clamp
	v_sub_i16 v6, v6, v34 clamp
	v_perm_b32 v6, v6, v35, s26
	v_lshl_or_b32 v6, v6, 16, v32
	v_xor_b32_e32 v32, v33, v53
	v_and_b32_e32 v33, 0xffffff00, v32
	v_lshlrev_b16_e32 v34, 8, v32
	v_lshlrev_b16_e32 v35, 8, v49
	v_sub_i16 v33, v33, v50 clamp
	v_sub_i16 v34, v34, v35 clamp
	v_perm_b32 v33, v34, v33, s26
	v_and_b32_sdwa v34, v32, s25 dst_sel:DWORD dst_unused:UNUSED_PAD src0_sel:WORD_1 src1_sel:DWORD
	v_lshlrev_b16_sdwa v32, v31, v32 dst_sel:DWORD dst_unused:UNUSED_PAD src0_sel:DWORD src1_sel:WORD_1
	v_lshlrev_b16_e32 v35, 8, v52
	v_sub_i16 v34, v34, v51 clamp
	v_sub_i16 v32, v32, v35 clamp
	v_perm_b32 v32, v32, v34, s26
	v_lshl_or_b32 v32, v32, 16, v33
	v_dot4_i32_i8 v33, v6, v7, 0
	v_dot4_i32_i8 v35, v32, v8, v33
	v_bfe_u32 v33, v36, 8, 8
	v_lshlrev_b32_e32 v34, 6, v38
	v_and_or_b32 v33, v34, s23, v33
	v_lshrrev_b32_e32 v34, 1, v39
	v_and_b32_e32 v34, 0x180, v34
	v_lshrrev_b32_e32 v44, 11, v39
	v_cmp_ne_u16_sdwa s[20:21], v34, v28 src0_sel:BYTE_1 src1_sel:DWORD
	v_lshrrev_b16_e32 v34, 7, v34
	v_lshrrev_b32_e32 v47, 10, v39
	v_bfe_i32 v48, v34, 0, 1
	v_cndmask_b32_e64 v34, 0, -1, s[20:21]
	v_bfe_i32 v44, v44, 0, 1
	v_lshlrev_b16_e32 v49, 8, v34
	v_lshlrev_b16_e32 v44, 8, v44
	v_bfe_i32 v47, v47, 0, 1
	v_or_b32_sdwa v34, v48, v49 dst_sel:DWORD dst_unused:UNUSED_PAD src0_sel:BYTE_0 src1_sel:DWORD
	v_or_b32_sdwa v50, v47, v44 dst_sel:WORD_1 dst_unused:UNUSED_PAD src0_sel:BYTE_0 src1_sel:DWORD
	v_or_b32_sdwa v50, v34, v50 dst_sel:DWORD dst_unused:UNUSED_PAD src0_sel:WORD_0 src1_sel:DWORD
	v_lshrrev_b32_e32 v34, 5, v39
	v_and_b32_e32 v34, 0x180, v34
	v_lshrrev_b32_e32 v51, 15, v39
	v_cmp_ne_u16_sdwa s[20:21], v34, v28 src0_sel:BYTE_1 src1_sel:DWORD
	v_lshrrev_b16_e32 v34, 7, v34
	v_lshrrev_b32_e32 v52, 14, v39
	v_bfe_i32 v53, v34, 0, 1
	v_cndmask_b32_e64 v34, 0, -1, s[20:21]
	v_bfe_i32 v51, v51, 0, 1
	v_lshlrev_b16_e32 v54, 8, v34
	v_lshlrev_b16_e32 v51, 8, v51
	v_bfe_i32 v52, v52, 0, 1
	v_lshlrev_b32_e32 v33, 3, v33
	v_or_b32_sdwa v34, v53, v54 dst_sel:DWORD dst_unused:UNUSED_PAD src0_sel:BYTE_0 src1_sel:DWORD
	v_or_b32_sdwa v55, v52, v51 dst_sel:WORD_1 dst_unused:UNUSED_PAD src0_sel:BYTE_0 src1_sel:DWORD
	v_or_b32_sdwa v55, v34, v55 dst_sel:DWORD dst_unused:UNUSED_PAD src0_sel:WORD_0 src1_sel:DWORD
	global_load_dwordx2 v[33:34], v33, s[16:17]
	v_lshlrev_b16_e32 v48, 8, v48
	v_lshlrev_b16_e32 v47, 8, v47
	s_waitcnt vmcnt(0)
	v_xor_b32_e32 v33, v33, v50
	v_and_b32_e32 v50, 0xffffff00, v33
	v_sub_i16 v49, v50, v49 clamp
	v_lshlrev_b16_e32 v50, 8, v33
	v_sub_i16 v48, v50, v48 clamp
	v_perm_b32 v48, v48, v49, s26
	v_and_b32_sdwa v49, v33, s25 dst_sel:DWORD dst_unused:UNUSED_PAD src0_sel:WORD_1 src1_sel:DWORD
	v_lshlrev_b16_sdwa v33, v31, v33 dst_sel:DWORD dst_unused:UNUSED_PAD src0_sel:DWORD src1_sel:WORD_1
	v_sub_i16 v44, v49, v44 clamp
	v_sub_i16 v33, v33, v47 clamp
	v_perm_b32 v33, v33, v44, s26
	v_xor_b32_e32 v34, v34, v55
	v_lshl_or_b32 v33, v33, 16, v48
	v_and_b32_e32 v44, 0xffffff00, v34
	v_lshlrev_b16_e32 v47, 8, v34
	v_lshlrev_b16_e32 v48, 8, v53
	v_sub_i16 v44, v44, v54 clamp
	v_sub_i16 v47, v47, v48 clamp
	v_perm_b32 v44, v47, v44, s26
	v_and_b32_sdwa v47, v34, s25 dst_sel:DWORD dst_unused:UNUSED_PAD src0_sel:WORD_1 src1_sel:DWORD
	v_lshlrev_b16_sdwa v34, v31, v34 dst_sel:DWORD dst_unused:UNUSED_PAD src0_sel:DWORD src1_sel:WORD_1
	v_lshlrev_b16_e32 v48, 8, v52
	v_sub_i16 v47, v47, v51 clamp
	v_sub_i16 v34, v34, v48 clamp
	v_perm_b32 v34, v34, v47, s26
	v_lshl_or_b32 v34, v34, 16, v44
	v_dot4_i32_i8 v35, v33, v9, v35
	v_dot4_i32_i8 v44, v34, v2, v35
	v_bfe_u32 v35, v36, 16, 8
	v_lshlrev_b32_e32 v36, 4, v38
	v_and_or_b32 v35, v36, s23, v35
	v_lshrrev_b32_e32 v36, 9, v39
	v_lshl_or_b32 v36, v40, 21, v36
	v_and_b32_e32 v47, 0x1800180, v36
	v_bfe_u32 v36, v36, 24, 1
	v_cmp_ne_u16_e32 vcc, 0, v36
	v_cmp_ne_u16_sdwa s[20:21], v47, v28 src0_sel:BYTE_1 src1_sel:DWORD
	v_lshrrev_b16_e32 v36, 7, v47
	v_lshrrev_b32_e32 v47, 18, v39
	v_bfe_i32 v48, v36, 0, 1
	v_cndmask_b32_e64 v36, 0, -1, s[20:21]
	v_cndmask_b32_e64 v50, 0, -1, vcc
	v_lshlrev_b16_e32 v49, 8, v36
	v_lshlrev_b16_e32 v50, 8, v50
	v_bfe_i32 v47, v47, 0, 1
	v_or_b32_sdwa v36, v48, v49 dst_sel:DWORD dst_unused:UNUSED_PAD src0_sel:BYTE_0 src1_sel:DWORD
	v_or_b32_sdwa v51, v47, v50 dst_sel:WORD_1 dst_unused:UNUSED_PAD src0_sel:BYTE_0 src1_sel:DWORD
	v_or_b32_sdwa v51, v36, v51 dst_sel:DWORD dst_unused:UNUSED_PAD src0_sel:WORD_0 src1_sel:DWORD
	v_lshrrev_b32_e32 v36, 13, v39
	v_lshl_or_b32 v36, v40, 17, v36
	v_and_b32_e32 v40, 0x1800180, v36
	v_bfe_u32 v36, v36, 24, 1
	v_cmp_ne_u16_e32 vcc, 0, v36
	v_cmp_ne_u16_sdwa s[20:21], v40, v28 src0_sel:BYTE_1 src1_sel:DWORD
	v_lshrrev_b16_e32 v36, 7, v40
	v_lshrrev_b32_e32 v40, 22, v39
	v_bfe_i32 v52, v36, 0, 1
	v_cndmask_b32_e64 v36, 0, -1, s[20:21]
	v_cndmask_b32_e64 v54, 0, -1, vcc
	v_lshlrev_b16_e32 v53, 8, v36
	v_lshlrev_b16_e32 v54, 8, v54
	v_bfe_i32 v40, v40, 0, 1
	v_lshlrev_b32_e32 v35, 3, v35
	v_or_b32_sdwa v36, v52, v53 dst_sel:DWORD dst_unused:UNUSED_PAD src0_sel:BYTE_0 src1_sel:DWORD
	v_or_b32_sdwa v55, v40, v54 dst_sel:WORD_1 dst_unused:UNUSED_PAD src0_sel:BYTE_0 src1_sel:DWORD
	v_or_b32_sdwa v55, v36, v55 dst_sel:DWORD dst_unused:UNUSED_PAD src0_sel:WORD_0 src1_sel:DWORD
	global_load_dwordx2 v[35:36], v35, s[16:17]
	v_lshlrev_b16_e32 v48, 8, v48
	v_lshlrev_b16_e32 v47, 8, v47
	;; [unrolled: 1-line block ×3, first 2 shown]
	v_lshlrev_b32_e32 v38, 2, v38
	v_and_or_b32 v37, v38, s23, v37
	v_lshrrev_b32_e32 v38, 17, v39
	v_lshlrev_b32_e32 v37, 3, v37
	s_waitcnt vmcnt(0)
	v_xor_b32_e32 v35, v35, v51
	v_and_b32_e32 v51, 0xffffff00, v35
	v_sub_i16 v49, v51, v49 clamp
	v_lshlrev_b16_e32 v51, 8, v35
	v_sub_i16 v48, v51, v48 clamp
	v_perm_b32 v48, v48, v49, s26
	v_and_b32_sdwa v49, v35, s25 dst_sel:DWORD dst_unused:UNUSED_PAD src0_sel:WORD_1 src1_sel:DWORD
	v_lshlrev_b16_sdwa v35, v31, v35 dst_sel:DWORD dst_unused:UNUSED_PAD src0_sel:DWORD src1_sel:WORD_1
	v_sub_i16 v49, v49, v50 clamp
	v_sub_i16 v35, v35, v47 clamp
	v_perm_b32 v35, v35, v49, s26
	v_xor_b32_e32 v36, v36, v55
	v_lshl_or_b32 v35, v35, 16, v48
	v_and_b32_e32 v47, 0xffffff00, v36
	v_lshlrev_b16_e32 v48, 8, v36
	v_lshlrev_b16_e32 v49, 8, v52
	v_sub_i16 v47, v47, v53 clamp
	v_sub_i16 v48, v48, v49 clamp
	v_perm_b32 v47, v48, v47, s26
	v_and_b32_sdwa v48, v36, s25 dst_sel:DWORD dst_unused:UNUSED_PAD src0_sel:WORD_1 src1_sel:DWORD
	v_lshlrev_b16_sdwa v36, v31, v36 dst_sel:DWORD dst_unused:UNUSED_PAD src0_sel:DWORD src1_sel:WORD_1
	v_sub_i16 v48, v48, v54 clamp
	v_sub_i16 v36, v36, v40 clamp
	v_perm_b32 v36, v36, v48, s26
	v_lshl_or_b32 v36, v36, 16, v47
	v_lshrrev_b32_e32 v47, 24, v39
	v_lshl_or_b32 v38, v47, 21, v38
	v_and_b32_e32 v47, 0x1800180, v38
	v_bfe_u32 v38, v38, 24, 1
	v_cmp_ne_u16_e32 vcc, 0, v38
	v_cmp_ne_u16_sdwa s[20:21], v47, v28 src0_sel:BYTE_1 src1_sel:DWORD
	v_lshrrev_b16_e32 v38, 7, v47
	v_lshrrev_b32_e32 v47, 26, v39
	v_bfe_i32 v48, v38, 0, 1
	v_cndmask_b32_e64 v38, 0, -1, s[20:21]
	v_cndmask_b32_e64 v50, 0, -1, vcc
	v_lshlrev_b16_e32 v49, 8, v38
	v_lshlrev_b16_e32 v50, 8, v50
	v_bfe_i32 v47, v47, 0, 1
	v_or_b32_sdwa v38, v48, v49 dst_sel:DWORD dst_unused:UNUSED_PAD src0_sel:BYTE_0 src1_sel:DWORD
	v_or_b32_sdwa v51, v47, v50 dst_sel:WORD_1 dst_unused:UNUSED_PAD src0_sel:BYTE_0 src1_sel:DWORD
	v_or_b32_sdwa v51, v38, v51 dst_sel:DWORD dst_unused:UNUSED_PAD src0_sel:WORD_0 src1_sel:DWORD
	v_lshrrev_b32_e32 v38, 21, v39
	v_lshrrev_b32_e32 v53, 31, v39
	v_lshrrev_b16_e32 v52, 8, v38
	v_cmp_ne_u16_e32 vcc, 0, v53
	v_lshrrev_b32_e32 v39, 30, v39
	v_lshrrev_b16_e32 v38, 7, v38
	v_bfe_i32 v52, v52, 0, 1
	v_cndmask_b32_e64 v54, 0, -1, vcc
	v_lshlrev_b16_e32 v52, 8, v52
	v_bfe_i32 v53, v38, 0, 1
	v_bfe_i32 v39, v39, 0, 1
	v_lshlrev_b16_e32 v54, 8, v54
	v_or_b32_sdwa v38, v53, v52 dst_sel:DWORD dst_unused:UNUSED_PAD src0_sel:BYTE_0 src1_sel:DWORD
	v_or_b32_sdwa v55, v39, v54 dst_sel:WORD_1 dst_unused:UNUSED_PAD src0_sel:BYTE_0 src1_sel:DWORD
	v_or_b32_sdwa v55, v38, v55 dst_sel:DWORD dst_unused:UNUSED_PAD src0_sel:WORD_0 src1_sel:DWORD
	global_load_dwordx2 v[37:38], v37, s[16:17]
	v_lshlrev_b16_e32 v48, 8, v48
	v_lshlrev_b16_e32 v47, 8, v47
	;; [unrolled: 1-line block ×3, first 2 shown]
	v_dot4_i32_i8 v40, v35, v3, 0
	v_dot4_i32_i8 v40, v36, v4, v40
	s_waitcnt vmcnt(0)
	v_xor_b32_e32 v37, v37, v51
	v_and_b32_e32 v51, 0xffffff00, v37
	v_sub_i16 v49, v51, v49 clamp
	v_lshlrev_b16_e32 v51, 8, v37
	v_sub_i16 v48, v51, v48 clamp
	v_perm_b32 v48, v48, v49, s26
	v_and_b32_sdwa v49, v37, s25 dst_sel:DWORD dst_unused:UNUSED_PAD src0_sel:WORD_1 src1_sel:DWORD
	v_lshlrev_b16_sdwa v37, v31, v37 dst_sel:DWORD dst_unused:UNUSED_PAD src0_sel:DWORD src1_sel:WORD_1
	v_sub_i16 v49, v49, v50 clamp
	v_sub_i16 v37, v37, v47 clamp
	v_perm_b32 v37, v37, v49, s26
	v_xor_b32_e32 v38, v38, v55
	v_lshl_or_b32 v37, v37, 16, v48
	v_and_b32_e32 v47, 0xffffff00, v38
	v_lshlrev_b16_e32 v48, 8, v38
	v_lshlrev_b16_e32 v49, 8, v53
	v_sub_i16 v47, v47, v52 clamp
	v_sub_i16 v48, v48, v49 clamp
	v_perm_b32 v47, v48, v47, s26
	v_and_b32_sdwa v48, v38, s25 dst_sel:DWORD dst_unused:UNUSED_PAD src0_sel:WORD_1 src1_sel:DWORD
	v_lshlrev_b16_sdwa v38, v31, v38 dst_sel:DWORD dst_unused:UNUSED_PAD src0_sel:DWORD src1_sel:WORD_1
	v_sub_i16 v48, v48, v54 clamp
	v_sub_i16 v38, v38, v39 clamp
	v_perm_b32 v38, v38, v48, s26
	v_lshl_or_b32 v38, v38, 16, v47
	v_dot4_i32_i8 v39, v37, v5, v40
	v_dot4_i32_i8 v47, v38, v45, v39
	v_lshrrev_b32_e32 v39, 4, v43
	v_and_b32_e32 v40, 15, v43
	v_mul_lo_u32 v43, v44, v40
	v_mul_lo_u32 v48, v47, v39
	v_add_u32_e32 v44, v47, v44
	v_lshrrev_b32_e32 v47, 31, v44
	v_add_u32_e32 v44, v44, v47
	v_ashrrev_i32_e32 v44, 1, v44
	v_add3_u32 v43, v48, v43, v44
	v_ashrrev_i32_e32 v44, 31, v43
	v_lshrrev_b32_e32 v44, 30, v44
	v_add_u32_e32 v43, v43, v44
	v_ashrrev_i32_e32 v43, 2, v43
	v_cvt_f32_i32_e32 v43, v43
	v_fmac_f32_e32 v25, v42, v43
	v_add_u32_e32 v42, s0, v26
	v_mad_i64_i32 v[47:48], s[20:21], v42, s22, v[14:15]
	v_add_u32_e32 v26, 8, v26
	v_add_co_u32_e32 v42, vcc, v47, v30
	v_addc_co_u32_e32 v43, vcc, 0, v48, vcc
	v_add_co_u32_e32 v49, vcc, v47, v27
	global_load_dword v44, v[42:43], off offset:2
	v_addc_co_u32_e32 v50, vcc, 0, v48, vcc
	global_load_ubyte v52, v[49:50], off offset:66
	global_load_dword v53, v[42:43], off offset:34
	global_load_ubyte v55, v[49:50], off offset:74
	s_waitcnt vmcnt(3)
	v_and_b32_e32 v42, 0xff, v44
	v_lshrrev_b32_e32 v51, 24, v44
	s_waitcnt vmcnt(2)
	v_lshlrev_b32_e32 v43, 8, v52
	v_and_or_b32 v42, v43, s23, v42
	s_waitcnt vmcnt(1)
	v_and_b32_e32 v43, 0xff, v53
	v_lshlrev_b32_e32 v49, 21, v53
	v_lshl_or_b32 v49, v43, 7, v49
	v_and_b32_e32 v50, 0x1800180, v49
	v_bfe_u32 v49, v49, 24, 1
	v_cmp_ne_u16_e32 vcc, 0, v49
	v_cmp_ne_u16_sdwa s[20:21], v50, v28 src0_sel:BYTE_1 src1_sel:DWORD
	v_lshrrev_b16_e32 v49, 7, v50
	v_lshrrev_b32_e32 v50, 2, v53
	v_cndmask_b32_e64 v56, 0, -1, s[20:21]
	v_cndmask_b32_e64 v58, 0, -1, vcc
	v_bfe_i32 v49, v49, 0, 1
	v_lshlrev_b16_e32 v56, 8, v56
	v_lshlrev_b16_e32 v58, 8, v58
	v_bfe_i32 v50, v50, 0, 1
	v_or_b32_sdwa v57, v49, v56 dst_sel:DWORD dst_unused:UNUSED_PAD src0_sel:BYTE_0 src1_sel:DWORD
	v_or_b32_sdwa v59, v50, v58 dst_sel:WORD_1 dst_unused:UNUSED_PAD src0_sel:BYTE_0 src1_sel:DWORD
	v_or_b32_sdwa v57, v57, v59 dst_sel:DWORD dst_unused:UNUSED_PAD src0_sel:WORD_0 src1_sel:DWORD
	v_lshlrev_b32_e32 v59, 17, v53
	v_lshl_or_b32 v43, v43, 3, v59
	v_and_b32_e32 v59, 0x1800180, v43
	v_bfe_u32 v43, v43, 24, 1
	v_cmp_ne_u16_e32 vcc, 0, v43
	v_cmp_ne_u16_sdwa s[20:21], v59, v28 src0_sel:BYTE_1 src1_sel:DWORD
	v_lshrrev_b16_e32 v43, 7, v59
	v_lshrrev_b32_e32 v59, 6, v53
	v_bfe_i32 v60, v43, 0, 1
	v_cndmask_b32_e64 v43, 0, -1, s[20:21]
	v_cndmask_b32_e64 v62, 0, -1, vcc
	v_lshlrev_b16_e32 v61, 8, v43
	v_lshlrev_b16_e32 v62, 8, v62
	v_bfe_i32 v59, v59, 0, 1
	v_lshlrev_b32_e32 v42, 3, v42
	v_or_b32_sdwa v43, v60, v61 dst_sel:DWORD dst_unused:UNUSED_PAD src0_sel:BYTE_0 src1_sel:DWORD
	v_or_b32_sdwa v63, v59, v62 dst_sel:WORD_1 dst_unused:UNUSED_PAD src0_sel:BYTE_0 src1_sel:DWORD
	v_or_b32_sdwa v63, v43, v63 dst_sel:DWORD dst_unused:UNUSED_PAD src0_sel:WORD_0 src1_sel:DWORD
	global_load_dwordx2 v[42:43], v42, s[16:17]
	v_lshlrev_b16_e32 v49, 8, v49
	v_lshlrev_b16_e32 v50, 8, v50
	v_lshrrev_b32_e32 v54, 16, v53
	s_waitcnt vmcnt(0)
	v_xor_b32_e32 v42, v42, v57
	v_and_b32_e32 v57, 0xffffff00, v42
	v_sub_i16 v56, v57, v56 clamp
	v_lshlrev_b16_e32 v57, 8, v42
	v_sub_i16 v49, v57, v49 clamp
	v_perm_b32 v49, v49, v56, s26
	v_and_b32_sdwa v56, v42, s25 dst_sel:DWORD dst_unused:UNUSED_PAD src0_sel:WORD_1 src1_sel:DWORD
	v_lshlrev_b16_sdwa v42, v31, v42 dst_sel:DWORD dst_unused:UNUSED_PAD src0_sel:DWORD src1_sel:WORD_1
	v_sub_i16 v56, v56, v58 clamp
	v_sub_i16 v42, v42, v50 clamp
	v_perm_b32 v42, v42, v56, s26
	v_xor_b32_e32 v43, v43, v63
	v_lshl_or_b32 v42, v42, 16, v49
	v_and_b32_e32 v49, 0xffffff00, v43
	v_lshlrev_b16_e32 v50, 8, v43
	v_lshlrev_b16_e32 v56, 8, v60
	v_sub_i16 v49, v49, v61 clamp
	v_sub_i16 v50, v50, v56 clamp
	v_perm_b32 v49, v50, v49, s26
	v_and_b32_sdwa v50, v43, s25 dst_sel:DWORD dst_unused:UNUSED_PAD src0_sel:WORD_1 src1_sel:DWORD
	v_lshlrev_b16_sdwa v43, v31, v43 dst_sel:DWORD dst_unused:UNUSED_PAD src0_sel:DWORD src1_sel:WORD_1
	v_lshlrev_b16_e32 v56, 8, v59
	v_sub_i16 v50, v50, v62 clamp
	v_sub_i16 v43, v43, v56 clamp
	v_perm_b32 v43, v43, v50, s26
	v_lshl_or_b32 v43, v43, 16, v49
	v_dot4_i32_i8 v7, v42, v7, 0
	v_dot4_i32_i8 v49, v43, v8, v7
	v_bfe_u32 v7, v44, 8, 8
	v_lshlrev_b32_e32 v8, 6, v52
	v_and_or_b32 v7, v8, s23, v7
	v_lshrrev_b32_e32 v8, 1, v53
	v_and_b32_e32 v8, 0x180, v8
	v_lshrrev_b32_e32 v50, 11, v53
	v_cmp_ne_u16_sdwa s[20:21], v8, v28 src0_sel:BYTE_1 src1_sel:DWORD
	v_lshrrev_b16_e32 v8, 7, v8
	v_lshrrev_b32_e32 v56, 10, v53
	v_bfe_i32 v57, v8, 0, 1
	v_cndmask_b32_e64 v8, 0, -1, s[20:21]
	v_bfe_i32 v50, v50, 0, 1
	v_lshlrev_b16_e32 v58, 8, v8
	v_lshlrev_b16_e32 v50, 8, v50
	v_bfe_i32 v56, v56, 0, 1
	v_or_b32_sdwa v8, v57, v58 dst_sel:DWORD dst_unused:UNUSED_PAD src0_sel:BYTE_0 src1_sel:DWORD
	v_or_b32_sdwa v59, v56, v50 dst_sel:WORD_1 dst_unused:UNUSED_PAD src0_sel:BYTE_0 src1_sel:DWORD
	v_or_b32_sdwa v59, v8, v59 dst_sel:DWORD dst_unused:UNUSED_PAD src0_sel:WORD_0 src1_sel:DWORD
	v_lshrrev_b32_e32 v8, 5, v53
	v_and_b32_e32 v8, 0x180, v8
	v_lshrrev_b32_e32 v60, 15, v53
	v_cmp_ne_u16_sdwa s[20:21], v8, v28 src0_sel:BYTE_1 src1_sel:DWORD
	v_lshrrev_b16_e32 v8, 7, v8
	v_lshrrev_b32_e32 v61, 14, v53
	v_bfe_i32 v62, v8, 0, 1
	v_cndmask_b32_e64 v8, 0, -1, s[20:21]
	v_bfe_i32 v60, v60, 0, 1
	v_lshlrev_b16_e32 v63, 8, v8
	v_lshlrev_b16_e32 v60, 8, v60
	v_bfe_i32 v61, v61, 0, 1
	v_lshlrev_b32_e32 v7, 3, v7
	v_or_b32_sdwa v8, v62, v63 dst_sel:DWORD dst_unused:UNUSED_PAD src0_sel:BYTE_0 src1_sel:DWORD
	v_or_b32_sdwa v64, v61, v60 dst_sel:WORD_1 dst_unused:UNUSED_PAD src0_sel:BYTE_0 src1_sel:DWORD
	v_or_b32_sdwa v64, v8, v64 dst_sel:DWORD dst_unused:UNUSED_PAD src0_sel:WORD_0 src1_sel:DWORD
	global_load_dwordx2 v[7:8], v7, s[16:17]
	v_lshlrev_b16_e32 v57, 8, v57
	v_lshlrev_b16_e32 v56, 8, v56
	s_waitcnt vmcnt(0)
	v_xor_b32_e32 v7, v7, v59
	v_and_b32_e32 v59, 0xffffff00, v7
	v_sub_i16 v58, v59, v58 clamp
	v_lshlrev_b16_e32 v59, 8, v7
	v_sub_i16 v57, v59, v57 clamp
	v_perm_b32 v57, v57, v58, s26
	v_and_b32_sdwa v58, v7, s25 dst_sel:DWORD dst_unused:UNUSED_PAD src0_sel:WORD_1 src1_sel:DWORD
	v_lshlrev_b16_sdwa v7, v31, v7 dst_sel:DWORD dst_unused:UNUSED_PAD src0_sel:DWORD src1_sel:WORD_1
	v_sub_i16 v50, v58, v50 clamp
	v_sub_i16 v7, v7, v56 clamp
	v_perm_b32 v7, v7, v50, s26
	v_xor_b32_e32 v8, v8, v64
	v_lshl_or_b32 v7, v7, 16, v57
	v_and_b32_e32 v50, 0xffffff00, v8
	v_lshlrev_b16_e32 v56, 8, v8
	v_lshlrev_b16_e32 v57, 8, v62
	v_sub_i16 v50, v50, v63 clamp
	v_sub_i16 v56, v56, v57 clamp
	v_perm_b32 v50, v56, v50, s26
	v_and_b32_sdwa v56, v8, s25 dst_sel:DWORD dst_unused:UNUSED_PAD src0_sel:WORD_1 src1_sel:DWORD
	v_lshlrev_b16_sdwa v8, v31, v8 dst_sel:DWORD dst_unused:UNUSED_PAD src0_sel:DWORD src1_sel:WORD_1
	v_lshlrev_b16_e32 v57, 8, v61
	v_sub_i16 v56, v56, v60 clamp
	v_sub_i16 v8, v8, v57 clamp
	v_perm_b32 v8, v8, v56, s26
	v_lshl_or_b32 v8, v8, 16, v50
	v_dot4_i32_i8 v9, v7, v9, v49
	v_dot4_i32_i8 v2, v8, v2, v9
	v_bfe_u32 v9, v44, 16, 8
	v_lshlrev_b32_e32 v44, 4, v52
	v_and_or_b32 v9, v44, s23, v9
	v_lshrrev_b32_e32 v44, 9, v53
	v_lshl_or_b32 v44, v54, 21, v44
	v_and_b32_e32 v49, 0x1800180, v44
	v_bfe_u32 v44, v44, 24, 1
	v_cmp_ne_u16_e32 vcc, 0, v44
	v_cmp_ne_u16_sdwa s[20:21], v49, v28 src0_sel:BYTE_1 src1_sel:DWORD
	v_lshrrev_b16_e32 v44, 7, v49
	v_lshrrev_b32_e32 v49, 18, v53
	v_cndmask_b32_e64 v50, 0, -1, s[20:21]
	v_cndmask_b32_e64 v57, 0, -1, vcc
	v_bfe_i32 v44, v44, 0, 1
	v_lshlrev_b16_e32 v56, 8, v50
	v_lshlrev_b16_e32 v57, 8, v57
	v_bfe_i32 v58, v49, 0, 1
	v_or_b32_sdwa v50, v44, v56 dst_sel:DWORD dst_unused:UNUSED_PAD src0_sel:BYTE_0 src1_sel:DWORD
	v_or_b32_sdwa v49, v58, v57 dst_sel:WORD_1 dst_unused:UNUSED_PAD src0_sel:BYTE_0 src1_sel:DWORD
	v_or_b32_sdwa v59, v50, v49 dst_sel:DWORD dst_unused:UNUSED_PAD src0_sel:WORD_0 src1_sel:DWORD
	v_lshrrev_b32_e32 v49, 13, v53
	v_lshl_or_b32 v49, v54, 17, v49
	v_and_b32_e32 v50, 0x1800180, v49
	v_bfe_u32 v49, v49, 24, 1
	v_cmp_ne_u16_e32 vcc, 0, v49
	v_cmp_ne_u16_sdwa s[20:21], v50, v28 src0_sel:BYTE_1 src1_sel:DWORD
	v_lshrrev_b16_e32 v49, 7, v50
	v_lshrrev_b32_e32 v50, 22, v53
	v_bfe_i32 v54, v49, 0, 1
	v_cndmask_b32_e64 v49, 0, -1, s[20:21]
	v_cndmask_b32_e64 v61, 0, -1, vcc
	v_lshlrev_b16_e32 v60, 8, v49
	v_lshlrev_b16_e32 v61, 8, v61
	v_bfe_i32 v62, v50, 0, 1
	v_lshlrev_b32_e32 v9, 3, v9
	v_or_b32_sdwa v49, v54, v60 dst_sel:DWORD dst_unused:UNUSED_PAD src0_sel:BYTE_0 src1_sel:DWORD
	v_or_b32_sdwa v50, v62, v61 dst_sel:WORD_1 dst_unused:UNUSED_PAD src0_sel:BYTE_0 src1_sel:DWORD
	v_or_b32_sdwa v63, v49, v50 dst_sel:DWORD dst_unused:UNUSED_PAD src0_sel:WORD_0 src1_sel:DWORD
	global_load_dwordx2 v[49:50], v9, s[16:17]
	v_lshlrev_b16_e32 v44, 8, v44
	v_lshlrev_b16_e32 v54, 8, v54
	s_waitcnt vmcnt(0)
	v_xor_b32_e32 v9, v49, v59
	v_and_b32_e32 v49, 0xffffff00, v9
	v_sub_i16 v49, v49, v56 clamp
	v_lshlrev_b16_e32 v56, 8, v9
	v_sub_i16 v44, v56, v44 clamp
	v_perm_b32 v44, v44, v49, s26
	v_and_b32_sdwa v49, v9, s25 dst_sel:DWORD dst_unused:UNUSED_PAD src0_sel:WORD_1 src1_sel:DWORD
	v_lshlrev_b16_sdwa v9, v31, v9 dst_sel:DWORD dst_unused:UNUSED_PAD src0_sel:DWORD src1_sel:WORD_1
	v_lshlrev_b16_e32 v56, 8, v58
	v_sub_i16 v49, v49, v57 clamp
	v_sub_i16 v9, v9, v56 clamp
	v_perm_b32 v9, v9, v49, s26
	v_lshl_or_b32 v9, v9, 16, v44
	v_xor_b32_e32 v44, v50, v63
	v_and_b32_e32 v49, 0xffffff00, v44
	v_lshlrev_b16_e32 v50, 8, v44
	v_sub_i16 v49, v49, v60 clamp
	v_sub_i16 v50, v50, v54 clamp
	v_perm_b32 v49, v50, v49, s26
	v_and_b32_sdwa v50, v44, s25 dst_sel:DWORD dst_unused:UNUSED_PAD src0_sel:WORD_1 src1_sel:DWORD
	v_lshlrev_b16_sdwa v44, v31, v44 dst_sel:DWORD dst_unused:UNUSED_PAD src0_sel:DWORD src1_sel:WORD_1
	v_lshlrev_b16_e32 v54, 8, v62
	v_sub_i16 v50, v50, v61 clamp
	v_sub_i16 v44, v44, v54 clamp
	v_perm_b32 v44, v44, v50, s26
	v_lshl_or_b32 v44, v44, 16, v49
	v_dot4_i32_i8 v3, v9, v3, 0
	v_dot4_i32_i8 v49, v44, v4, v3
	v_lshrrev_b32_e32 v4, 17, v53
	v_lshrrev_b32_e32 v50, 24, v53
	v_lshl_or_b32 v4, v50, 21, v4
	v_and_b32_e32 v50, 0x1800180, v4
	v_bfe_u32 v4, v4, 24, 1
	v_lshlrev_b32_e32 v3, 2, v52
	v_cmp_ne_u16_e32 vcc, 0, v4
	v_cmp_ne_u16_sdwa s[20:21], v50, v28 src0_sel:BYTE_1 src1_sel:DWORD
	v_lshrrev_b16_e32 v4, 7, v50
	v_and_or_b32 v3, v3, s23, v51
	v_lshrrev_b32_e32 v50, 26, v53
	v_bfe_i32 v51, v4, 0, 1
	v_cndmask_b32_e64 v4, 0, -1, s[20:21]
	v_cndmask_b32_e64 v54, 0, -1, vcc
	v_lshlrev_b16_e32 v52, 8, v4
	v_lshlrev_b16_e32 v54, 8, v54
	v_bfe_i32 v50, v50, 0, 1
	v_or_b32_sdwa v4, v51, v52 dst_sel:DWORD dst_unused:UNUSED_PAD src0_sel:BYTE_0 src1_sel:DWORD
	v_or_b32_sdwa v56, v50, v54 dst_sel:WORD_1 dst_unused:UNUSED_PAD src0_sel:BYTE_0 src1_sel:DWORD
	v_or_b32_sdwa v56, v4, v56 dst_sel:DWORD dst_unused:UNUSED_PAD src0_sel:WORD_0 src1_sel:DWORD
	v_lshrrev_b32_e32 v4, 21, v53
	v_lshrrev_b32_e32 v58, 31, v53
	v_lshrrev_b16_e32 v57, 8, v4
	v_cmp_ne_u16_e32 vcc, 0, v58
	v_lshrrev_b32_e32 v53, 30, v53
	v_lshrrev_b16_e32 v4, 7, v4
	v_bfe_i32 v57, v57, 0, 1
	v_cndmask_b32_e64 v59, 0, -1, vcc
	v_lshlrev_b16_e32 v57, 8, v57
	v_bfe_i32 v58, v4, 0, 1
	v_bfe_i32 v53, v53, 0, 1
	v_lshlrev_b16_e32 v59, 8, v59
	v_lshlrev_b32_e32 v3, 3, v3
	v_or_b32_sdwa v4, v58, v57 dst_sel:DWORD dst_unused:UNUSED_PAD src0_sel:BYTE_0 src1_sel:DWORD
	v_or_b32_sdwa v60, v53, v59 dst_sel:WORD_1 dst_unused:UNUSED_PAD src0_sel:BYTE_0 src1_sel:DWORD
	v_or_b32_sdwa v60, v4, v60 dst_sel:DWORD dst_unused:UNUSED_PAD src0_sel:WORD_0 src1_sel:DWORD
	global_load_dwordx2 v[3:4], v3, s[16:17]
	v_lshlrev_b16_e32 v51, 8, v51
	v_lshlrev_b16_e32 v50, 8, v50
	v_add_co_u32_e32 v10, vcc, 0x900, v10
	v_addc_co_u32_e32 v11, vcc, 0, v11, vcc
	v_cmp_le_u32_e32 vcc, s9, v26
	s_or_b64 s[12:13], vcc, s[12:13]
	s_waitcnt vmcnt(0)
	v_xor_b32_e32 v3, v3, v56
	v_and_b32_e32 v56, 0xffffff00, v3
	v_sub_i16 v52, v56, v52 clamp
	v_lshlrev_b16_e32 v56, 8, v3
	v_sub_i16 v51, v56, v51 clamp
	v_perm_b32 v51, v51, v52, s26
	v_and_b32_sdwa v52, v3, s25 dst_sel:DWORD dst_unused:UNUSED_PAD src0_sel:WORD_1 src1_sel:DWORD
	v_lshlrev_b16_sdwa v3, v31, v3 dst_sel:DWORD dst_unused:UNUSED_PAD src0_sel:DWORD src1_sel:WORD_1
	v_sub_i16 v52, v52, v54 clamp
	v_sub_i16 v3, v3, v50 clamp
	v_perm_b32 v3, v3, v52, s26
	v_xor_b32_e32 v4, v4, v60
	v_lshl_or_b32 v3, v3, 16, v51
	v_and_b32_e32 v50, 0xffffff00, v4
	v_lshlrev_b16_e32 v51, 8, v4
	v_lshlrev_b16_e32 v52, 8, v58
	v_sub_i16 v50, v50, v57 clamp
	v_sub_i16 v51, v51, v52 clamp
	v_perm_b32 v50, v51, v50, s26
	v_and_b32_sdwa v51, v4, s25 dst_sel:DWORD dst_unused:UNUSED_PAD src0_sel:WORD_1 src1_sel:DWORD
	v_lshlrev_b16_sdwa v4, v31, v4 dst_sel:DWORD dst_unused:UNUSED_PAD src0_sel:DWORD src1_sel:WORD_1
	v_lshlrev_b16_e32 v52, 8, v53
	v_sub_i16 v51, v51, v59 clamp
	v_sub_i16 v4, v4, v52 clamp
	v_perm_b32 v4, v4, v51, s26
	v_lshl_or_b32 v4, v4, 16, v50
	v_dot4_i32_i8 v5, v3, v5, v49
	v_dot4_i32_i8 v49, v4, v45, v5
	v_lshrrev_b32_e32 v5, 4, v55
	v_and_b32_e32 v45, 15, v55
	v_mul_lo_u32 v50, v2, v45
	v_mul_lo_u32 v51, v49, v5
	v_add_u32_e32 v2, v49, v2
	v_lshrrev_b32_e32 v49, 31, v2
	v_add_u32_e32 v2, v2, v49
	v_ashrrev_i32_e32 v2, 1, v2
	v_add3_u32 v2, v51, v50, v2
	v_ashrrev_i32_e32 v49, 31, v2
	v_lshrrev_b32_e32 v49, 30, v49
	v_add_u32_e32 v2, v2, v49
	v_ashrrev_i32_e32 v49, 2, v2
	global_load_ushort v2, v[47:48], off
	v_cvt_f32_i32_e32 v47, v49
	s_waitcnt vmcnt(0)
	v_cvt_f32_f16_e32 v2, v2
	v_mul_f32_e32 v46, v2, v46
	v_fmac_f32_e32 v24, v46, v47
	v_add_u32_e32 v46, s1, v29
	v_mad_u64_u32 v[54:55], s[16:17], v46, 36, v[12:13]
	global_load_dword v56, v[54:55], off offset:32
	global_load_dwordx4 v[46:49], v[54:55], off offset:16
	global_load_dwordx4 v[50:53], v[54:55], off
	s_waitcnt vmcnt(1)
	v_dot4_i32_i8 v55, v35, v47, 0
	s_waitcnt vmcnt(0)
	v_dot4_i32_i8 v54, v6, v51, 0
	v_dot4_i32_i8 v51, v42, v51, 0
	v_dot4_i32_i8 v47, v9, v47, 0
	v_dot4_i32_i8 v54, v32, v52, v54
	v_dot4_i32_i8 v51, v43, v52, v51
	v_dot4_i32_i8 v47, v44, v48, v47
	v_dot4_i32_i8 v54, v33, v53, v54
	v_dot4_i32_i8 v55, v36, v48, v55
	v_dot4_i32_i8 v51, v7, v53, v51
	v_dot4_i32_i8 v47, v3, v49, v47
	v_dot4_i32_i8 v54, v34, v46, v54
	v_dot4_i32_i8 v55, v37, v49, v55
	v_dot4_i32_i8 v46, v8, v46, v51
	v_dot4_i32_i8 v47, v4, v56, v47
	v_dot4_i32_i8 v55, v38, v56, v55
	v_mul_lo_u32 v48, v46, v45
	v_mul_lo_u32 v49, v47, v5
	v_add_u32_e32 v46, v47, v46
	v_mul_lo_u32 v57, v54, v40
	v_mul_lo_u32 v58, v55, v39
	v_add_u32_e32 v54, v55, v54
	v_lshrrev_b32_e32 v47, 31, v46
	v_lshrrev_b32_e32 v55, 31, v54
	v_add_u32_e32 v46, v46, v47
	v_add_u32_e32 v54, v54, v55
	v_ashrrev_i32_e32 v46, 1, v46
	v_ashrrev_i32_e32 v54, 1, v54
	v_add3_u32 v46, v49, v48, v46
	v_add3_u32 v54, v58, v57, v54
	v_ashrrev_i32_e32 v47, 31, v46
	v_ashrrev_i32_e32 v55, 31, v54
	v_lshrrev_b32_e32 v47, 30, v47
	v_lshrrev_b32_e32 v55, 30, v55
	v_add_u32_e32 v46, v46, v47
	v_cvt_f32_f16_e32 v50, v50
	v_add_u32_e32 v54, v54, v55
	v_ashrrev_i32_e32 v46, 2, v46
	v_ashrrev_i32_e32 v54, 2, v54
	v_cvt_f32_i32_e32 v46, v46
	v_cvt_f32_i32_e32 v54, v54
	v_mul_f32_e32 v47, v2, v50
	v_mul_f32_e32 v55, v41, v50
	v_fmac_f32_e32 v22, v47, v46
	v_add_u32_e32 v46, s24, v29
	v_fmac_f32_e32 v23, v55, v54
	v_mad_u64_u32 v[54:55], s[16:17], v46, 36, v[12:13]
	global_load_dword v56, v[54:55], off offset:32
	global_load_dwordx4 v[46:49], v[54:55], off offset:16
	global_load_dwordx4 v[50:53], v[54:55], off
	s_waitcnt vmcnt(1)
	v_dot4_i32_i8 v55, v35, v47, 0
	s_waitcnt vmcnt(0)
	v_dot4_i32_i8 v54, v6, v51, 0
	v_dot4_i32_i8 v51, v42, v51, 0
	v_dot4_i32_i8 v47, v9, v47, 0
	v_dot4_i32_i8 v54, v32, v52, v54
	v_dot4_i32_i8 v51, v43, v52, v51
	v_dot4_i32_i8 v47, v44, v48, v47
	v_dot4_i32_i8 v54, v33, v53, v54
	v_dot4_i32_i8 v55, v36, v48, v55
	v_dot4_i32_i8 v51, v7, v53, v51
	v_dot4_i32_i8 v47, v3, v49, v47
	v_dot4_i32_i8 v54, v34, v46, v54
	v_dot4_i32_i8 v55, v37, v49, v55
	v_dot4_i32_i8 v46, v8, v46, v51
	v_dot4_i32_i8 v47, v4, v56, v47
	v_dot4_i32_i8 v55, v38, v56, v55
	v_mul_lo_u32 v48, v46, v45
	v_mul_lo_u32 v49, v47, v5
	v_add_u32_e32 v46, v47, v46
	v_mul_lo_u32 v57, v54, v40
	v_mul_lo_u32 v58, v55, v39
	v_add_u32_e32 v54, v55, v54
	v_lshrrev_b32_e32 v47, 31, v46
	v_lshrrev_b32_e32 v55, 31, v54
	v_add_u32_e32 v46, v46, v47
	v_add_u32_e32 v54, v54, v55
	v_ashrrev_i32_e32 v46, 1, v46
	v_ashrrev_i32_e32 v54, 1, v54
	v_add3_u32 v46, v49, v48, v46
	v_add3_u32 v54, v58, v57, v54
	v_ashrrev_i32_e32 v47, 31, v46
	v_ashrrev_i32_e32 v55, 31, v54
	v_lshrrev_b32_e32 v47, 30, v47
	v_lshrrev_b32_e32 v55, 30, v55
	v_add_u32_e32 v46, v46, v47
	v_cvt_f32_f16_e32 v50, v50
	v_add_u32_e32 v54, v54, v55
	v_ashrrev_i32_e32 v46, 2, v46
	v_ashrrev_i32_e32 v54, 2, v54
	v_cvt_f32_i32_e32 v46, v46
	v_cvt_f32_i32_e32 v54, v54
	v_mul_f32_e32 v47, v2, v50
	v_mul_f32_e32 v55, v41, v50
	v_fmac_f32_e32 v20, v47, v46
	v_add_u32_e32 v46, s19, v29
	v_fmac_f32_e32 v21, v55, v54
	;; [unrolled: 52-line block ×3, first 2 shown]
	v_mad_u64_u32 v[55:56], s[16:17], v46, 36, v[12:13]
	global_load_dword v57, v[55:56], off offset:32
	global_load_dwordx4 v[47:50], v[55:56], off offset:16
	global_load_dwordx4 v[51:54], v[55:56], off
	v_add_u32_e32 v29, 64, v29
	s_waitcnt vmcnt(0)
	v_dot4_i32_i8 v6, v6, v52, 0
	v_dot4_i32_i8 v6, v32, v53, v6
	;; [unrolled: 1-line block ×8, first 2 shown]
	v_mul_lo_u32 v33, v6, v40
	v_mul_lo_u32 v34, v32, v39
	v_add_u32_e32 v6, v32, v6
	v_lshrrev_b32_e32 v32, 31, v6
	v_add_u32_e32 v6, v6, v32
	v_ashrrev_i32_e32 v6, 1, v6
	v_add3_u32 v6, v34, v33, v6
	v_ashrrev_i32_e32 v32, 31, v6
	v_lshrrev_b32_e32 v32, 30, v32
	v_add_u32_e32 v6, v6, v32
	v_cvt_f32_f16_e32 v46, v51
	v_ashrrev_i32_e32 v6, 2, v6
	v_cvt_f32_i32_e32 v6, v6
	v_mul_f32_e32 v32, v41, v46
	v_mul_f32_e32 v2, v2, v46
	v_fmac_f32_e32 v17, v32, v6
	v_dot4_i32_i8 v6, v42, v52, 0
	v_dot4_i32_i8 v6, v43, v53, v6
	;; [unrolled: 1-line block ×8, first 2 shown]
	v_mul_lo_u32 v4, v6, v45
	v_mul_lo_u32 v5, v3, v5
	v_add_u32_e32 v3, v3, v6
	v_lshrrev_b32_e32 v6, 31, v3
	v_add_u32_e32 v3, v3, v6
	v_ashrrev_i32_e32 v3, 1, v3
	v_add3_u32 v3, v5, v4, v3
	v_ashrrev_i32_e32 v4, 31, v3
	v_lshrrev_b32_e32 v4, 30, v4
	v_add_u32_e32 v3, v3, v4
	v_ashrrev_i32_e32 v3, 2, v3
	v_cvt_f32_i32_e32 v3, v3
	v_fmac_f32_e32 v16, v2, v3
	s_andn2_b64 exec, exec, s[12:13]
	s_cbranch_execnz .LBB188_2
; %bb.3:
	s_or_b64 exec, exec, s[12:13]
.LBB188_4:
	s_or_b64 exec, exec, s[10:11]
	s_mov_b32 s1, 0
	v_cmp_eq_u32_e32 vcc, 0, v1
	; wave barrier
	s_and_saveexec_b64 s[10:11], vcc
	s_cbranch_execz .LBB188_15
; %bb.5:
	v_mbcnt_lo_u32_b32 v1, -1, 0
	v_mbcnt_hi_u32_b32 v6, -1, v1
	v_and_b32_e32 v1, 64, v6
	v_add_u32_e32 v7, 64, v1
	v_xor_b32_e32 v1, 32, v6
	v_cmp_lt_i32_e32 vcc, v1, v7
	v_cndmask_b32_e32 v1, v6, v1, vcc
	v_lshlrev_b32_e32 v1, 2, v1
	ds_bpermute_b32 v5, v1, v25
	ds_bpermute_b32 v8, v1, v24
	v_xor_b32_e32 v2, 16, v6
	v_cmp_lt_i32_e32 vcc, v2, v7
	v_cndmask_b32_e32 v2, v6, v2, vcc
	v_lshlrev_b32_e32 v2, 2, v2
	s_waitcnt lgkmcnt(1)
	v_add_f32_e32 v5, v25, v5
	s_waitcnt lgkmcnt(0)
	v_add_f32_e32 v8, v24, v8
	ds_bpermute_b32 v10, v2, v5
	ds_bpermute_b32 v11, v2, v8
	v_xor_b32_e32 v3, 8, v6
	v_cmp_lt_i32_e32 vcc, v3, v7
	v_cndmask_b32_e32 v3, v6, v3, vcc
	v_lshlrev_b32_e32 v3, 2, v3
	s_waitcnt lgkmcnt(1)
	v_add_f32_e32 v10, v5, v10
	s_waitcnt lgkmcnt(0)
	v_add_f32_e32 v8, v8, v11
	;; [unrolled: 10-line block ×3, first 2 shown]
	ds_bpermute_b32 v12, v4, v10
	ds_bpermute_b32 v11, v4, v8
	v_xor_b32_e32 v9, 2, v6
	v_cmp_lt_i32_e32 vcc, v9, v7
	v_cndmask_b32_e32 v9, v6, v9, vcc
	v_lshlrev_b32_e32 v5, 2, v9
	v_xor_b32_e32 v9, 1, v6
	v_cmp_lt_i32_e32 vcc, v9, v7
	s_waitcnt lgkmcnt(1)
	v_add_f32_e32 v7, v10, v12
	s_waitcnt lgkmcnt(0)
	v_add_f32_e32 v10, v8, v11
	v_cndmask_b32_e32 v6, v6, v9, vcc
	ds_bpermute_b32 v9, v5, v7
	ds_bpermute_b32 v11, v5, v10
	s_load_dwordx2 s[4:5], s[4:5], 0x38
	s_mul_i32 s3, s14, s7
	v_lshlrev_b32_e32 v8, 2, v6
	s_waitcnt lgkmcnt(0)
	v_add_f32_e32 v6, v7, v9
	v_add_f32_e32 v9, v10, v11
	s_mul_i32 s0, s18, s8
	s_add_i32 s3, s3, s6
	ds_bpermute_b32 v7, v8, v6
	ds_bpermute_b32 v10, v8, v9
	s_add_i32 s0, s3, s0
	s_lshl_b64 s[0:1], s[0:1], 2
	s_add_u32 s4, s4, s0
	v_add_u32_e32 v11, s6, v0
	s_addc_u32 s5, s5, s1
	v_cmp_gt_u32_e32 vcc, 2, v0
	v_cmp_gt_u32_e64 s[0:1], s2, v11
	s_and_b64 s[0:1], vcc, s[0:1]
	s_waitcnt lgkmcnt(1)
	v_add_f32_e32 v6, v6, v7
	s_waitcnt lgkmcnt(0)
	v_add_f32_e32 v7, v9, v10
	s_and_saveexec_b64 s[6:7], s[0:1]
	s_cbranch_execz .LBB188_7
; %bb.6:
	v_cmp_eq_u32_e32 vcc, 1, v0
	v_cndmask_b32_e32 v9, v6, v7, vcc
	v_cmp_eq_u32_e32 vcc, 2, v0
	v_cndmask_b32_e32 v9, v9, v23, vcc
	;; [unrolled: 2-line block ×9, first 2 shown]
	v_lshlrev_b32_e32 v10, 2, v0
	global_store_dword v10, v9, s[4:5]
.LBB188_7:
	s_or_b64 exec, exec, s[6:7]
	ds_bpermute_b32 v9, v1, v23
	ds_bpermute_b32 v10, v1, v22
	s_waitcnt lgkmcnt(1)
	v_add_f32_e32 v9, v23, v9
	s_waitcnt lgkmcnt(0)
	v_add_f32_e32 v10, v22, v10
	ds_bpermute_b32 v11, v2, v9
	ds_bpermute_b32 v12, v2, v10
	s_waitcnt lgkmcnt(1)
	v_add_f32_e32 v9, v9, v11
	s_waitcnt lgkmcnt(0)
	v_add_f32_e32 v10, v10, v12
	;; [unrolled: 6-line block ×6, first 2 shown]
	s_and_saveexec_b64 s[6:7], s[0:1]
	s_cbranch_execz .LBB188_9
; %bb.8:
	v_add_u32_e32 v11, 2, v0
	v_cmp_eq_u32_e32 vcc, 1, v11
	v_cndmask_b32_e32 v12, v6, v7, vcc
	v_cmp_eq_u32_e32 vcc, 2, v11
	v_cndmask_b32_e32 v12, v12, v10, vcc
	;; [unrolled: 2-line block ×9, first 2 shown]
	v_add_u32_e32 v11, s2, v0
	v_mov_b32_e32 v12, 0
	v_lshlrev_b64 v[11:12], 2, v[11:12]
	v_mov_b32_e32 v14, s5
	v_add_co_u32_e32 v11, vcc, s4, v11
	v_addc_co_u32_e32 v12, vcc, v14, v12, vcc
	global_store_dword v[11:12], v13, off
.LBB188_9:
	s_or_b64 exec, exec, s[6:7]
	ds_bpermute_b32 v11, v1, v21
	ds_bpermute_b32 v12, v1, v20
	s_waitcnt lgkmcnt(1)
	v_add_f32_e32 v11, v21, v11
	s_waitcnt lgkmcnt(0)
	v_add_f32_e32 v12, v20, v12
	ds_bpermute_b32 v13, v2, v11
	ds_bpermute_b32 v14, v2, v12
	s_waitcnt lgkmcnt(1)
	v_add_f32_e32 v11, v11, v13
	s_waitcnt lgkmcnt(0)
	v_add_f32_e32 v12, v12, v14
	ds_bpermute_b32 v13, v3, v11
	ds_bpermute_b32 v14, v3, v12
	s_waitcnt lgkmcnt(1)
	v_add_f32_e32 v11, v11, v13
	s_waitcnt lgkmcnt(0)
	v_add_f32_e32 v12, v12, v14
	ds_bpermute_b32 v13, v4, v11
	ds_bpermute_b32 v14, v4, v12
	s_waitcnt lgkmcnt(1)
	v_add_f32_e32 v11, v11, v13
	s_waitcnt lgkmcnt(0)
	v_add_f32_e32 v12, v12, v14
	ds_bpermute_b32 v13, v5, v11
	ds_bpermute_b32 v14, v5, v12
	s_waitcnt lgkmcnt(1)
	v_add_f32_e32 v11, v11, v13
	s_waitcnt lgkmcnt(0)
	v_add_f32_e32 v13, v12, v14
	ds_bpermute_b32 v12, v8, v11
	ds_bpermute_b32 v14, v8, v13
	s_waitcnt lgkmcnt(1)
	v_add_f32_e32 v12, v11, v12
	s_waitcnt lgkmcnt(0)
	v_add_f32_e32 v11, v13, v14
	s_and_saveexec_b64 s[6:7], s[0:1]
	s_cbranch_execz .LBB188_11
; %bb.10:
	v_add_u32_e32 v13, 4, v0
	v_cmp_eq_u32_e32 vcc, 1, v13
	v_cndmask_b32_e32 v14, v6, v7, vcc
	v_cmp_eq_u32_e32 vcc, 2, v13
	v_cndmask_b32_e32 v14, v14, v10, vcc
	;; [unrolled: 2-line block ×9, first 2 shown]
	v_lshl_or_b32 v13, s2, 1, v0
	v_mov_b32_e32 v14, 0
	v_lshlrev_b64 v[13:14], 2, v[13:14]
	v_mov_b32_e32 v20, s5
	v_add_co_u32_e32 v13, vcc, s4, v13
	v_addc_co_u32_e32 v14, vcc, v20, v14, vcc
	global_store_dword v[13:14], v15, off
.LBB188_11:
	s_or_b64 exec, exec, s[6:7]
	ds_bpermute_b32 v13, v1, v19
	ds_bpermute_b32 v14, v1, v18
	s_waitcnt lgkmcnt(1)
	v_add_f32_e32 v13, v19, v13
	s_waitcnt lgkmcnt(0)
	v_add_f32_e32 v14, v18, v14
	ds_bpermute_b32 v15, v2, v13
	ds_bpermute_b32 v18, v2, v14
	s_waitcnt lgkmcnt(1)
	v_add_f32_e32 v13, v13, v15
	s_waitcnt lgkmcnt(0)
	v_add_f32_e32 v14, v14, v18
	;; [unrolled: 6-line block ×6, first 2 shown]
	s_and_saveexec_b64 s[6:7], s[0:1]
	s_cbranch_execz .LBB188_13
; %bb.12:
	v_add_u32_e32 v15, 6, v0
	v_cmp_eq_u32_e32 vcc, 1, v15
	v_cndmask_b32_e32 v18, v6, v7, vcc
	v_cmp_eq_u32_e32 vcc, 2, v15
	v_cndmask_b32_e32 v18, v18, v10, vcc
	;; [unrolled: 2-line block ×8, first 2 shown]
	v_mad_u64_u32 v[18:19], s[8:9], s2, 3, v[0:1]
	v_mov_b32_e32 v19, 0
	v_cmp_eq_u32_e32 vcc, 9, v15
	v_lshlrev_b64 v[18:19], 2, v[18:19]
	v_cndmask_b32_e32 v15, v20, v16, vcc
	v_mov_b32_e32 v20, s5
	v_add_co_u32_e32 v18, vcc, s4, v18
	v_addc_co_u32_e32 v19, vcc, v20, v19, vcc
	global_store_dword v[18:19], v15, off
.LBB188_13:
	s_or_b64 exec, exec, s[6:7]
	ds_bpermute_b32 v15, v1, v17
	ds_bpermute_b32 v1, v1, v16
	s_waitcnt lgkmcnt(1)
	v_add_f32_e32 v15, v17, v15
	s_waitcnt lgkmcnt(0)
	v_add_f32_e32 v1, v16, v1
	ds_bpermute_b32 v16, v2, v15
	ds_bpermute_b32 v2, v2, v1
	s_waitcnt lgkmcnt(1)
	v_add_f32_e32 v15, v15, v16
	s_waitcnt lgkmcnt(0)
	v_add_f32_e32 v1, v1, v2
	ds_bpermute_b32 v2, v3, v15
	ds_bpermute_b32 v3, v3, v1
	s_waitcnt lgkmcnt(1)
	v_add_f32_e32 v2, v15, v2
	s_waitcnt lgkmcnt(0)
	v_add_f32_e32 v1, v1, v3
	ds_bpermute_b32 v3, v4, v2
	ds_bpermute_b32 v4, v4, v1
	s_waitcnt lgkmcnt(1)
	v_add_f32_e32 v2, v2, v3
	s_waitcnt lgkmcnt(0)
	v_add_f32_e32 v3, v1, v4
	ds_bpermute_b32 v1, v5, v2
	ds_bpermute_b32 v4, v5, v3
	s_waitcnt lgkmcnt(1)
	v_add_f32_e32 v1, v2, v1
	s_waitcnt lgkmcnt(0)
	v_add_f32_e32 v2, v3, v4
	ds_bpermute_b32 v3, v8, v1
	ds_bpermute_b32 v4, v8, v2
	s_and_b64 exec, exec, s[0:1]
	s_cbranch_execz .LBB188_15
; %bb.14:
	s_waitcnt lgkmcnt(1)
	v_add_f32_e32 v1, v1, v3
	v_add_u32_e32 v3, 8, v0
	v_cmp_eq_u32_e32 vcc, 1, v3
	s_waitcnt lgkmcnt(0)
	v_add_f32_e32 v2, v2, v4
	v_cndmask_b32_e32 v4, v6, v7, vcc
	v_cmp_eq_u32_e32 vcc, 2, v3
	v_cndmask_b32_e32 v4, v4, v10, vcc
	v_cmp_eq_u32_e32 vcc, 3, v3
	;; [unrolled: 2-line block ×8, first 2 shown]
	v_cndmask_b32_e32 v2, v1, v2, vcc
	v_lshl_or_b32 v0, s2, 2, v0
	v_mov_b32_e32 v1, 0
	v_lshlrev_b64 v[0:1], 2, v[0:1]
	v_mov_b32_e32 v3, s5
	v_add_co_u32_e32 v0, vcc, s4, v0
	v_addc_co_u32_e32 v1, vcc, v3, v1, vcc
	global_store_dword v[0:1], v2, off
.LBB188_15:
	s_endpgm
	.section	.rodata,"a",@progbits
	.p2align	6, 0x0
	.amdhsa_kernel _ZL13mul_mat_vec_qIL9ggml_type22ELi5ELb0ELb0EEvPKvS2_PKi31ggml_cuda_mm_fusion_args_devicePfj15HIP_vector_typeIjLj3EEjjjS8_jjjS8_jjjj
		.amdhsa_group_segment_fixed_size 0
		.amdhsa_private_segment_fixed_size 0
		.amdhsa_kernarg_size 144
		.amdhsa_user_sgpr_count 6
		.amdhsa_user_sgpr_private_segment_buffer 1
		.amdhsa_user_sgpr_dispatch_ptr 0
		.amdhsa_user_sgpr_queue_ptr 0
		.amdhsa_user_sgpr_kernarg_segment_ptr 1
		.amdhsa_user_sgpr_dispatch_id 0
		.amdhsa_user_sgpr_flat_scratch_init 0
		.amdhsa_user_sgpr_private_segment_size 0
		.amdhsa_uses_dynamic_stack 0
		.amdhsa_system_sgpr_private_segment_wavefront_offset 0
		.amdhsa_system_sgpr_workgroup_id_x 1
		.amdhsa_system_sgpr_workgroup_id_y 1
		.amdhsa_system_sgpr_workgroup_id_z 1
		.amdhsa_system_sgpr_workgroup_info 0
		.amdhsa_system_vgpr_workitem_id 1
		.amdhsa_next_free_vgpr 65
		.amdhsa_next_free_sgpr 27
		.amdhsa_reserve_vcc 1
		.amdhsa_reserve_flat_scratch 0
		.amdhsa_float_round_mode_32 0
		.amdhsa_float_round_mode_16_64 0
		.amdhsa_float_denorm_mode_32 3
		.amdhsa_float_denorm_mode_16_64 3
		.amdhsa_dx10_clamp 1
		.amdhsa_ieee_mode 1
		.amdhsa_fp16_overflow 0
		.amdhsa_exception_fp_ieee_invalid_op 0
		.amdhsa_exception_fp_denorm_src 0
		.amdhsa_exception_fp_ieee_div_zero 0
		.amdhsa_exception_fp_ieee_overflow 0
		.amdhsa_exception_fp_ieee_underflow 0
		.amdhsa_exception_fp_ieee_inexact 0
		.amdhsa_exception_int_div_zero 0
	.end_amdhsa_kernel
	.section	.text._ZL13mul_mat_vec_qIL9ggml_type22ELi5ELb0ELb0EEvPKvS2_PKi31ggml_cuda_mm_fusion_args_devicePfj15HIP_vector_typeIjLj3EEjjjS8_jjjS8_jjjj,"axG",@progbits,_ZL13mul_mat_vec_qIL9ggml_type22ELi5ELb0ELb0EEvPKvS2_PKi31ggml_cuda_mm_fusion_args_devicePfj15HIP_vector_typeIjLj3EEjjjS8_jjjS8_jjjj,comdat
.Lfunc_end188:
	.size	_ZL13mul_mat_vec_qIL9ggml_type22ELi5ELb0ELb0EEvPKvS2_PKi31ggml_cuda_mm_fusion_args_devicePfj15HIP_vector_typeIjLj3EEjjjS8_jjjS8_jjjj, .Lfunc_end188-_ZL13mul_mat_vec_qIL9ggml_type22ELi5ELb0ELb0EEvPKvS2_PKi31ggml_cuda_mm_fusion_args_devicePfj15HIP_vector_typeIjLj3EEjjjS8_jjjS8_jjjj
                                        ; -- End function
	.set _ZL13mul_mat_vec_qIL9ggml_type22ELi5ELb0ELb0EEvPKvS2_PKi31ggml_cuda_mm_fusion_args_devicePfj15HIP_vector_typeIjLj3EEjjjS8_jjjS8_jjjj.num_vgpr, 65
	.set _ZL13mul_mat_vec_qIL9ggml_type22ELi5ELb0ELb0EEvPKvS2_PKi31ggml_cuda_mm_fusion_args_devicePfj15HIP_vector_typeIjLj3EEjjjS8_jjjS8_jjjj.num_agpr, 0
	.set _ZL13mul_mat_vec_qIL9ggml_type22ELi5ELb0ELb0EEvPKvS2_PKi31ggml_cuda_mm_fusion_args_devicePfj15HIP_vector_typeIjLj3EEjjjS8_jjjS8_jjjj.numbered_sgpr, 27
	.set _ZL13mul_mat_vec_qIL9ggml_type22ELi5ELb0ELb0EEvPKvS2_PKi31ggml_cuda_mm_fusion_args_devicePfj15HIP_vector_typeIjLj3EEjjjS8_jjjS8_jjjj.num_named_barrier, 0
	.set _ZL13mul_mat_vec_qIL9ggml_type22ELi5ELb0ELb0EEvPKvS2_PKi31ggml_cuda_mm_fusion_args_devicePfj15HIP_vector_typeIjLj3EEjjjS8_jjjS8_jjjj.private_seg_size, 0
	.set _ZL13mul_mat_vec_qIL9ggml_type22ELi5ELb0ELb0EEvPKvS2_PKi31ggml_cuda_mm_fusion_args_devicePfj15HIP_vector_typeIjLj3EEjjjS8_jjjS8_jjjj.uses_vcc, 1
	.set _ZL13mul_mat_vec_qIL9ggml_type22ELi5ELb0ELb0EEvPKvS2_PKi31ggml_cuda_mm_fusion_args_devicePfj15HIP_vector_typeIjLj3EEjjjS8_jjjS8_jjjj.uses_flat_scratch, 0
	.set _ZL13mul_mat_vec_qIL9ggml_type22ELi5ELb0ELb0EEvPKvS2_PKi31ggml_cuda_mm_fusion_args_devicePfj15HIP_vector_typeIjLj3EEjjjS8_jjjS8_jjjj.has_dyn_sized_stack, 0
	.set _ZL13mul_mat_vec_qIL9ggml_type22ELi5ELb0ELb0EEvPKvS2_PKi31ggml_cuda_mm_fusion_args_devicePfj15HIP_vector_typeIjLj3EEjjjS8_jjjS8_jjjj.has_recursion, 0
	.set _ZL13mul_mat_vec_qIL9ggml_type22ELi5ELb0ELb0EEvPKvS2_PKi31ggml_cuda_mm_fusion_args_devicePfj15HIP_vector_typeIjLj3EEjjjS8_jjjS8_jjjj.has_indirect_call, 0
	.section	.AMDGPU.csdata,"",@progbits
; Kernel info:
; codeLenInByte = 7480
; TotalNumSgprs: 31
; NumVgprs: 65
; ScratchSize: 0
; MemoryBound: 0
; FloatMode: 240
; IeeeMode: 1
; LDSByteSize: 0 bytes/workgroup (compile time only)
; SGPRBlocks: 3
; VGPRBlocks: 16
; NumSGPRsForWavesPerEU: 31
; NumVGPRsForWavesPerEU: 65
; Occupancy: 3
; WaveLimiterHint : 0
; COMPUTE_PGM_RSRC2:SCRATCH_EN: 0
; COMPUTE_PGM_RSRC2:USER_SGPR: 6
; COMPUTE_PGM_RSRC2:TRAP_HANDLER: 0
; COMPUTE_PGM_RSRC2:TGID_X_EN: 1
; COMPUTE_PGM_RSRC2:TGID_Y_EN: 1
; COMPUTE_PGM_RSRC2:TGID_Z_EN: 1
; COMPUTE_PGM_RSRC2:TIDIG_COMP_CNT: 1
	.section	.text._ZL13mul_mat_vec_qIL9ggml_type22ELi6ELb0ELb0EEvPKvS2_PKi31ggml_cuda_mm_fusion_args_devicePfj15HIP_vector_typeIjLj3EEjjjS8_jjjS8_jjjj,"axG",@progbits,_ZL13mul_mat_vec_qIL9ggml_type22ELi6ELb0ELb0EEvPKvS2_PKi31ggml_cuda_mm_fusion_args_devicePfj15HIP_vector_typeIjLj3EEjjjS8_jjjS8_jjjj,comdat
	.globl	_ZL13mul_mat_vec_qIL9ggml_type22ELi6ELb0ELb0EEvPKvS2_PKi31ggml_cuda_mm_fusion_args_devicePfj15HIP_vector_typeIjLj3EEjjjS8_jjjS8_jjjj ; -- Begin function _ZL13mul_mat_vec_qIL9ggml_type22ELi6ELb0ELb0EEvPKvS2_PKi31ggml_cuda_mm_fusion_args_devicePfj15HIP_vector_typeIjLj3EEjjjS8_jjjS8_jjjj
	.p2align	8
	.type	_ZL13mul_mat_vec_qIL9ggml_type22ELi6ELb0ELb0EEvPKvS2_PKi31ggml_cuda_mm_fusion_args_devicePfj15HIP_vector_typeIjLj3EEjjjS8_jjjS8_jjjj,@function
_ZL13mul_mat_vec_qIL9ggml_type22ELi6ELb0ELb0EEvPKvS2_PKi31ggml_cuda_mm_fusion_args_devicePfj15HIP_vector_typeIjLj3EEjjjS8_jjjS8_jjjj: ; @_ZL13mul_mat_vec_qIL9ggml_type22ELi6ELb0ELb0EEvPKvS2_PKi31ggml_cuda_mm_fusion_args_devicePfj15HIP_vector_typeIjLj3EEjjjS8_jjjS8_jjjj
; %bb.0:
	s_load_dword s9, s[4:5], 0x40
	s_load_dwordx4 s[0:3], s[4:5], 0x50
	s_load_dword s25, s[4:5], 0x60
	s_load_dwordx4 s[12:15], s[4:5], 0x68
	;; [unrolled: 2-line block ×3, first 2 shown]
	v_lshl_or_b32 v2, v1, 6, v0
	s_waitcnt lgkmcnt(0)
	s_lshr_b32 s9, s9, 8
	v_lshrrev_b32_e32 v30, 3, v2
	v_mov_b32_e32 v18, 0
	s_lshl_b32 s6, s6, 1
	v_cmp_gt_u32_e32 vcc, s9, v30
	v_mov_b32_e32 v19, v18
	v_mov_b32_e32 v20, v18
	;; [unrolled: 1-line block ×11, first 2 shown]
	s_and_saveexec_b64 s[10:11], vcc
	s_cbranch_execz .LBB189_4
; %bb.1:
	s_mul_hi_u32 s3, s3, s7
	s_add_i32 s3, s7, s3
	s_load_dwordx4 s[20:23], s[4:5], 0x0
	s_lshr_b32 s3, s3, s25
	s_mul_i32 s3, s3, s12
	s_mul_hi_u32 s12, s15, s8
	s_add_i32 s12, s8, s12
	s_lshr_b32 s12, s12, s24
	s_mul_i32 s19, s17, s8
	s_mul_i32 s15, s12, s16
	;; [unrolled: 1-line block ×3, first 2 shown]
	s_mul_hi_u32 s12, s19, 36
	s_waitcnt lgkmcnt(0)
	s_add_u32 s16, s22, s16
	s_addc_u32 s17, s23, s12
	s_mul_i32 s12, s13, s7
	s_mul_hi_u32 s13, s12, 36
	s_mul_i32 s12, s12, 36
	s_add_u32 s16, s16, s12
	s_addc_u32 s17, s17, s13
	s_add_i32 s24, s6, 1
	s_add_i32 s15, s15, s3
	s_mul_i32 s3, s6, s0
	s_mul_i32 s0, s0, s24
	v_mov_b32_e32 v2, s12
	s_add_i32 s3, s15, s3
	s_add_i32 s0, s15, s0
	s_movk_i32 s15, 0x120
	v_mov_b32_e32 v3, s13
	v_mad_u64_u32 v[2:3], s[12:13], v30, s15, v[2:3]
	v_and_b32_e32 v31, 7, v0
	v_mov_b32_e32 v5, s23
	v_mad_u64_u32 v[2:3], s[12:13], s19, 36, v[2:3]
	v_mad_u64_u32 v[12:13], s[16:17], v31, 36, s[16:17]
	;; [unrolled: 1-line block ×3, first 2 shown]
	v_lshlrev_b32_e32 v4, 1, v31
	v_mov_b32_e32 v14, s20
	v_add_co_u32_e32 v2, vcc, s22, v2
	v_addc_co_u32_e32 v3, vcc, v5, v3, vcc
	v_add_co_u32_e32 v10, vcc, 16, v2
	v_mov_b32_e32 v32, 0
	v_lshlrev_b32_e32 v33, 3, v30
	s_mul_i32 s15, s1, 5
	s_lshl_b32 s19, s1, 2
	s_mul_i32 s24, s1, 3
	s_lshl_b32 s25, s1, 1
	v_addc_co_u32_e32 v11, vcc, 0, v3, vcc
	s_mov_b64 s[12:13], 0
	s_movk_i32 s22, 0x52
	v_lshlrev_b32_e32 v34, 1, v4
	s_movk_i32 s23, 0x300
	s_movk_i32 s26, 0xff00
	s_mov_b32 s27, 0xc0c0105
	v_mov_b32_e32 v35, 8
	v_mov_b32_e32 v18, 0
	;; [unrolled: 1-line block ×14, first 2 shown]
.LBB189_2:                              ; =>This Inner Loop Header: Depth=1
	v_add_u32_e32 v16, s3, v30
	v_mad_i64_i32 v[16:17], s[16:17], v16, s22, v[14:15]
	global_load_dword v48, v[10:11], off offset:16
	global_load_dwordx4 v[2:5], v[10:11], off
	global_load_dwordx4 v[6:9], v[10:11], off offset:-16
	s_getpc_b64 s[16:17]
	s_add_u32 s16, s16, _ZL9iq2s_grid@rel32@lo+4
	s_addc_u32 s17, s17, _ZL9iq2s_grid@rel32@hi+12
	v_add_co_u32_e32 v36, vcc, v16, v34
	v_addc_co_u32_e32 v37, vcc, 0, v17, vcc
	v_add_co_u32_e32 v38, vcc, v16, v31
	global_load_dword v40, v[36:37], off offset:2
	v_addc_co_u32_e32 v39, vcc, 0, v17, vcc
	global_load_ubyte v42, v[38:39], off offset:66
	global_load_dword v43, v[36:37], off offset:34
	global_load_ubyte v45, v[38:39], off offset:74
	s_waitcnt vmcnt(4)
	v_cvt_f32_f16_e32 v49, v6
	global_load_ushort v16, v[16:17], off
	s_waitcnt vmcnt(4)
	v_and_b32_e32 v6, 0xff, v40
	v_lshrrev_b32_e32 v41, 24, v40
	s_waitcnt vmcnt(3)
	v_lshlrev_b32_e32 v36, 8, v42
	v_and_or_b32 v6, v36, s23, v6
	s_waitcnt vmcnt(2)
	v_and_b32_e32 v36, 0xff, v43
	v_lshlrev_b32_e32 v37, 21, v43
	v_lshl_or_b32 v37, v36, 7, v37
	v_and_b32_e32 v38, 0x1800180, v37
	v_bfe_u32 v37, v37, 24, 1
	v_cmp_ne_u16_e32 vcc, 0, v37
	v_cmp_ne_u16_sdwa s[20:21], v38, v32 src0_sel:BYTE_1 src1_sel:DWORD
	v_lshrrev_b16_e32 v37, 7, v38
	v_lshrrev_b32_e32 v38, 2, v43
	v_bfe_i32 v39, v37, 0, 1
	v_cndmask_b32_e64 v37, 0, -1, s[20:21]
	v_cndmask_b32_e64 v47, 0, -1, vcc
	v_lshlrev_b16_e32 v46, 8, v37
	v_lshlrev_b16_e32 v47, 8, v47
	v_bfe_i32 v38, v38, 0, 1
	v_or_b32_sdwa v37, v39, v46 dst_sel:DWORD dst_unused:UNUSED_PAD src0_sel:BYTE_0 src1_sel:DWORD
	v_or_b32_sdwa v50, v38, v47 dst_sel:WORD_1 dst_unused:UNUSED_PAD src0_sel:BYTE_0 src1_sel:DWORD
	v_or_b32_sdwa v50, v37, v50 dst_sel:DWORD dst_unused:UNUSED_PAD src0_sel:WORD_0 src1_sel:DWORD
	v_lshlrev_b32_e32 v37, 17, v43
	v_lshl_or_b32 v36, v36, 3, v37
	v_and_b32_e32 v37, 0x1800180, v36
	v_bfe_u32 v36, v36, 24, 1
	v_cmp_ne_u16_e32 vcc, 0, v36
	v_cmp_ne_u16_sdwa s[20:21], v37, v32 src0_sel:BYTE_1 src1_sel:DWORD
	v_lshrrev_b16_e32 v36, 7, v37
	v_lshrrev_b32_e32 v37, 6, v43
	v_bfe_i32 v51, v36, 0, 1
	v_cndmask_b32_e64 v36, 0, -1, s[20:21]
	v_cndmask_b32_e64 v53, 0, -1, vcc
	v_lshlrev_b16_e32 v52, 8, v36
	v_lshlrev_b16_e32 v53, 8, v53
	v_bfe_i32 v54, v37, 0, 1
	v_lshlrev_b32_e32 v6, 3, v6
	v_or_b32_sdwa v36, v51, v52 dst_sel:DWORD dst_unused:UNUSED_PAD src0_sel:BYTE_0 src1_sel:DWORD
	v_or_b32_sdwa v37, v54, v53 dst_sel:WORD_1 dst_unused:UNUSED_PAD src0_sel:BYTE_0 src1_sel:DWORD
	v_or_b32_sdwa v55, v36, v37 dst_sel:DWORD dst_unused:UNUSED_PAD src0_sel:WORD_0 src1_sel:DWORD
	global_load_dwordx2 v[36:37], v6, s[16:17]
	v_lshlrev_b16_e32 v39, 8, v39
	v_lshlrev_b16_e32 v38, 8, v38
	v_lshrrev_b32_e32 v44, 16, v43
	s_waitcnt vmcnt(0)
	v_xor_b32_e32 v6, v36, v50
	v_and_b32_e32 v36, 0xffffff00, v6
	v_sub_i16 v36, v36, v46 clamp
	v_lshlrev_b16_e32 v46, 8, v6
	v_sub_i16 v39, v46, v39 clamp
	v_perm_b32 v36, v39, v36, s27
	v_and_b32_sdwa v39, v6, s26 dst_sel:DWORD dst_unused:UNUSED_PAD src0_sel:WORD_1 src1_sel:DWORD
	v_lshlrev_b16_sdwa v6, v35, v6 dst_sel:DWORD dst_unused:UNUSED_PAD src0_sel:DWORD src1_sel:WORD_1
	v_sub_i16 v39, v39, v47 clamp
	v_sub_i16 v6, v6, v38 clamp
	v_perm_b32 v6, v6, v39, s27
	v_lshl_or_b32 v6, v6, 16, v36
	v_xor_b32_e32 v36, v37, v55
	v_and_b32_e32 v37, 0xffffff00, v36
	v_lshlrev_b16_e32 v38, 8, v36
	v_lshlrev_b16_e32 v39, 8, v51
	v_sub_i16 v37, v37, v52 clamp
	v_sub_i16 v38, v38, v39 clamp
	v_perm_b32 v37, v38, v37, s27
	v_and_b32_sdwa v38, v36, s26 dst_sel:DWORD dst_unused:UNUSED_PAD src0_sel:WORD_1 src1_sel:DWORD
	v_lshlrev_b16_sdwa v36, v35, v36 dst_sel:DWORD dst_unused:UNUSED_PAD src0_sel:DWORD src1_sel:WORD_1
	v_lshlrev_b16_e32 v39, 8, v54
	v_sub_i16 v38, v38, v53 clamp
	v_sub_i16 v36, v36, v39 clamp
	v_perm_b32 v36, v36, v38, s27
	v_lshl_or_b32 v36, v36, 16, v37
	v_dot4_i32_i8 v37, v6, v7, 0
	v_dot4_i32_i8 v39, v36, v8, v37
	v_bfe_u32 v37, v40, 8, 8
	v_lshlrev_b32_e32 v38, 6, v42
	v_and_or_b32 v37, v38, s23, v37
	v_lshrrev_b32_e32 v38, 1, v43
	v_and_b32_e32 v38, 0x180, v38
	v_lshrrev_b32_e32 v46, 11, v43
	v_cmp_ne_u16_sdwa s[20:21], v38, v32 src0_sel:BYTE_1 src1_sel:DWORD
	v_lshrrev_b16_e32 v38, 7, v38
	v_lshrrev_b32_e32 v47, 10, v43
	v_bfe_i32 v50, v38, 0, 1
	v_cndmask_b32_e64 v38, 0, -1, s[20:21]
	v_bfe_i32 v46, v46, 0, 1
	v_lshlrev_b16_e32 v51, 8, v38
	v_lshlrev_b16_e32 v46, 8, v46
	v_bfe_i32 v47, v47, 0, 1
	v_or_b32_sdwa v38, v50, v51 dst_sel:DWORD dst_unused:UNUSED_PAD src0_sel:BYTE_0 src1_sel:DWORD
	v_or_b32_sdwa v52, v47, v46 dst_sel:WORD_1 dst_unused:UNUSED_PAD src0_sel:BYTE_0 src1_sel:DWORD
	v_or_b32_sdwa v52, v38, v52 dst_sel:DWORD dst_unused:UNUSED_PAD src0_sel:WORD_0 src1_sel:DWORD
	v_lshrrev_b32_e32 v38, 5, v43
	v_and_b32_e32 v38, 0x180, v38
	v_lshrrev_b32_e32 v53, 15, v43
	v_cmp_ne_u16_sdwa s[20:21], v38, v32 src0_sel:BYTE_1 src1_sel:DWORD
	v_lshrrev_b16_e32 v38, 7, v38
	v_lshrrev_b32_e32 v54, 14, v43
	v_bfe_i32 v55, v38, 0, 1
	v_cndmask_b32_e64 v38, 0, -1, s[20:21]
	v_bfe_i32 v53, v53, 0, 1
	v_lshlrev_b16_e32 v56, 8, v38
	v_lshlrev_b16_e32 v53, 8, v53
	v_bfe_i32 v54, v54, 0, 1
	v_lshlrev_b32_e32 v37, 3, v37
	v_or_b32_sdwa v38, v55, v56 dst_sel:DWORD dst_unused:UNUSED_PAD src0_sel:BYTE_0 src1_sel:DWORD
	v_or_b32_sdwa v57, v54, v53 dst_sel:WORD_1 dst_unused:UNUSED_PAD src0_sel:BYTE_0 src1_sel:DWORD
	v_or_b32_sdwa v57, v38, v57 dst_sel:DWORD dst_unused:UNUSED_PAD src0_sel:WORD_0 src1_sel:DWORD
	global_load_dwordx2 v[37:38], v37, s[16:17]
	v_lshlrev_b16_e32 v50, 8, v50
	v_lshlrev_b16_e32 v47, 8, v47
	s_waitcnt vmcnt(0)
	v_xor_b32_e32 v37, v37, v52
	v_and_b32_e32 v52, 0xffffff00, v37
	v_sub_i16 v51, v52, v51 clamp
	v_lshlrev_b16_e32 v52, 8, v37
	v_sub_i16 v50, v52, v50 clamp
	v_perm_b32 v50, v50, v51, s27
	v_and_b32_sdwa v51, v37, s26 dst_sel:DWORD dst_unused:UNUSED_PAD src0_sel:WORD_1 src1_sel:DWORD
	v_lshlrev_b16_sdwa v37, v35, v37 dst_sel:DWORD dst_unused:UNUSED_PAD src0_sel:DWORD src1_sel:WORD_1
	v_sub_i16 v46, v51, v46 clamp
	v_sub_i16 v37, v37, v47 clamp
	v_perm_b32 v37, v37, v46, s27
	v_xor_b32_e32 v38, v38, v57
	v_lshl_or_b32 v37, v37, 16, v50
	v_and_b32_e32 v46, 0xffffff00, v38
	v_lshlrev_b16_e32 v47, 8, v38
	v_lshlrev_b16_e32 v50, 8, v55
	v_sub_i16 v46, v46, v56 clamp
	v_sub_i16 v47, v47, v50 clamp
	v_perm_b32 v46, v47, v46, s27
	v_and_b32_sdwa v47, v38, s26 dst_sel:DWORD dst_unused:UNUSED_PAD src0_sel:WORD_1 src1_sel:DWORD
	v_lshlrev_b16_sdwa v38, v35, v38 dst_sel:DWORD dst_unused:UNUSED_PAD src0_sel:DWORD src1_sel:WORD_1
	v_lshlrev_b16_e32 v50, 8, v54
	v_sub_i16 v47, v47, v53 clamp
	v_sub_i16 v38, v38, v50 clamp
	v_perm_b32 v38, v38, v47, s27
	v_lshl_or_b32 v38, v38, 16, v46
	v_dot4_i32_i8 v39, v37, v9, v39
	v_dot4_i32_i8 v46, v38, v2, v39
	v_bfe_u32 v39, v40, 16, 8
	v_lshlrev_b32_e32 v40, 4, v42
	v_and_or_b32 v39, v40, s23, v39
	v_lshrrev_b32_e32 v40, 9, v43
	v_lshl_or_b32 v40, v44, 21, v40
	v_and_b32_e32 v47, 0x1800180, v40
	v_bfe_u32 v40, v40, 24, 1
	v_cmp_ne_u16_e32 vcc, 0, v40
	v_cmp_ne_u16_sdwa s[20:21], v47, v32 src0_sel:BYTE_1 src1_sel:DWORD
	v_lshrrev_b16_e32 v40, 7, v47
	v_lshrrev_b32_e32 v47, 18, v43
	v_bfe_i32 v50, v40, 0, 1
	v_cndmask_b32_e64 v40, 0, -1, s[20:21]
	v_cndmask_b32_e64 v52, 0, -1, vcc
	v_lshlrev_b16_e32 v51, 8, v40
	v_lshlrev_b16_e32 v52, 8, v52
	v_bfe_i32 v47, v47, 0, 1
	v_or_b32_sdwa v40, v50, v51 dst_sel:DWORD dst_unused:UNUSED_PAD src0_sel:BYTE_0 src1_sel:DWORD
	v_or_b32_sdwa v53, v47, v52 dst_sel:WORD_1 dst_unused:UNUSED_PAD src0_sel:BYTE_0 src1_sel:DWORD
	v_or_b32_sdwa v53, v40, v53 dst_sel:DWORD dst_unused:UNUSED_PAD src0_sel:WORD_0 src1_sel:DWORD
	v_lshrrev_b32_e32 v40, 13, v43
	v_lshl_or_b32 v40, v44, 17, v40
	v_and_b32_e32 v44, 0x1800180, v40
	v_bfe_u32 v40, v40, 24, 1
	v_cmp_ne_u16_e32 vcc, 0, v40
	v_cmp_ne_u16_sdwa s[20:21], v44, v32 src0_sel:BYTE_1 src1_sel:DWORD
	v_lshrrev_b16_e32 v40, 7, v44
	v_lshrrev_b32_e32 v44, 22, v43
	v_bfe_i32 v54, v40, 0, 1
	v_cndmask_b32_e64 v40, 0, -1, s[20:21]
	v_cndmask_b32_e64 v56, 0, -1, vcc
	v_lshlrev_b16_e32 v55, 8, v40
	v_lshlrev_b16_e32 v56, 8, v56
	v_bfe_i32 v44, v44, 0, 1
	v_lshlrev_b32_e32 v39, 3, v39
	v_or_b32_sdwa v40, v54, v55 dst_sel:DWORD dst_unused:UNUSED_PAD src0_sel:BYTE_0 src1_sel:DWORD
	v_or_b32_sdwa v57, v44, v56 dst_sel:WORD_1 dst_unused:UNUSED_PAD src0_sel:BYTE_0 src1_sel:DWORD
	v_or_b32_sdwa v57, v40, v57 dst_sel:DWORD dst_unused:UNUSED_PAD src0_sel:WORD_0 src1_sel:DWORD
	global_load_dwordx2 v[39:40], v39, s[16:17]
	v_lshlrev_b16_e32 v50, 8, v50
	v_lshlrev_b16_e32 v47, 8, v47
	;; [unrolled: 1-line block ×3, first 2 shown]
	v_lshlrev_b32_e32 v42, 2, v42
	v_and_or_b32 v41, v42, s23, v41
	v_lshrrev_b32_e32 v42, 17, v43
	v_lshlrev_b32_e32 v41, 3, v41
	s_waitcnt vmcnt(0)
	v_xor_b32_e32 v39, v39, v53
	v_and_b32_e32 v53, 0xffffff00, v39
	v_sub_i16 v51, v53, v51 clamp
	v_lshlrev_b16_e32 v53, 8, v39
	v_sub_i16 v50, v53, v50 clamp
	v_perm_b32 v50, v50, v51, s27
	v_and_b32_sdwa v51, v39, s26 dst_sel:DWORD dst_unused:UNUSED_PAD src0_sel:WORD_1 src1_sel:DWORD
	v_lshlrev_b16_sdwa v39, v35, v39 dst_sel:DWORD dst_unused:UNUSED_PAD src0_sel:DWORD src1_sel:WORD_1
	v_sub_i16 v51, v51, v52 clamp
	v_sub_i16 v39, v39, v47 clamp
	v_perm_b32 v39, v39, v51, s27
	v_xor_b32_e32 v40, v40, v57
	v_lshl_or_b32 v39, v39, 16, v50
	v_and_b32_e32 v47, 0xffffff00, v40
	v_lshlrev_b16_e32 v50, 8, v40
	v_lshlrev_b16_e32 v51, 8, v54
	v_sub_i16 v47, v47, v55 clamp
	v_sub_i16 v50, v50, v51 clamp
	v_perm_b32 v47, v50, v47, s27
	v_and_b32_sdwa v50, v40, s26 dst_sel:DWORD dst_unused:UNUSED_PAD src0_sel:WORD_1 src1_sel:DWORD
	v_lshlrev_b16_sdwa v40, v35, v40 dst_sel:DWORD dst_unused:UNUSED_PAD src0_sel:DWORD src1_sel:WORD_1
	v_sub_i16 v50, v50, v56 clamp
	v_sub_i16 v40, v40, v44 clamp
	v_perm_b32 v40, v40, v50, s27
	v_lshl_or_b32 v40, v40, 16, v47
	v_lshrrev_b32_e32 v47, 24, v43
	v_lshl_or_b32 v42, v47, 21, v42
	v_and_b32_e32 v47, 0x1800180, v42
	v_bfe_u32 v42, v42, 24, 1
	v_cmp_ne_u16_e32 vcc, 0, v42
	v_cmp_ne_u16_sdwa s[20:21], v47, v32 src0_sel:BYTE_1 src1_sel:DWORD
	v_lshrrev_b16_e32 v42, 7, v47
	v_lshrrev_b32_e32 v47, 26, v43
	v_bfe_i32 v50, v42, 0, 1
	v_cndmask_b32_e64 v42, 0, -1, s[20:21]
	v_cndmask_b32_e64 v52, 0, -1, vcc
	v_lshlrev_b16_e32 v51, 8, v42
	v_lshlrev_b16_e32 v52, 8, v52
	v_bfe_i32 v47, v47, 0, 1
	v_or_b32_sdwa v42, v50, v51 dst_sel:DWORD dst_unused:UNUSED_PAD src0_sel:BYTE_0 src1_sel:DWORD
	v_or_b32_sdwa v53, v47, v52 dst_sel:WORD_1 dst_unused:UNUSED_PAD src0_sel:BYTE_0 src1_sel:DWORD
	v_or_b32_sdwa v53, v42, v53 dst_sel:DWORD dst_unused:UNUSED_PAD src0_sel:WORD_0 src1_sel:DWORD
	v_lshrrev_b32_e32 v42, 21, v43
	v_lshrrev_b32_e32 v55, 31, v43
	v_lshrrev_b16_e32 v54, 8, v42
	v_cmp_ne_u16_e32 vcc, 0, v55
	v_lshrrev_b32_e32 v43, 30, v43
	v_lshrrev_b16_e32 v42, 7, v42
	v_bfe_i32 v54, v54, 0, 1
	v_cndmask_b32_e64 v56, 0, -1, vcc
	v_lshlrev_b16_e32 v54, 8, v54
	v_bfe_i32 v55, v42, 0, 1
	v_bfe_i32 v43, v43, 0, 1
	v_lshlrev_b16_e32 v56, 8, v56
	v_or_b32_sdwa v42, v55, v54 dst_sel:DWORD dst_unused:UNUSED_PAD src0_sel:BYTE_0 src1_sel:DWORD
	v_or_b32_sdwa v57, v43, v56 dst_sel:WORD_1 dst_unused:UNUSED_PAD src0_sel:BYTE_0 src1_sel:DWORD
	v_or_b32_sdwa v57, v42, v57 dst_sel:DWORD dst_unused:UNUSED_PAD src0_sel:WORD_0 src1_sel:DWORD
	global_load_dwordx2 v[41:42], v41, s[16:17]
	v_lshlrev_b16_e32 v50, 8, v50
	v_lshlrev_b16_e32 v47, 8, v47
	;; [unrolled: 1-line block ×3, first 2 shown]
	v_dot4_i32_i8 v44, v39, v3, 0
	v_dot4_i32_i8 v44, v40, v4, v44
	s_waitcnt vmcnt(0)
	v_xor_b32_e32 v41, v41, v53
	v_and_b32_e32 v53, 0xffffff00, v41
	v_sub_i16 v51, v53, v51 clamp
	v_lshlrev_b16_e32 v53, 8, v41
	v_sub_i16 v50, v53, v50 clamp
	v_perm_b32 v50, v50, v51, s27
	v_and_b32_sdwa v51, v41, s26 dst_sel:DWORD dst_unused:UNUSED_PAD src0_sel:WORD_1 src1_sel:DWORD
	v_lshlrev_b16_sdwa v41, v35, v41 dst_sel:DWORD dst_unused:UNUSED_PAD src0_sel:DWORD src1_sel:WORD_1
	v_sub_i16 v51, v51, v52 clamp
	v_sub_i16 v41, v41, v47 clamp
	v_perm_b32 v41, v41, v51, s27
	v_xor_b32_e32 v42, v42, v57
	v_lshl_or_b32 v41, v41, 16, v50
	v_and_b32_e32 v47, 0xffffff00, v42
	v_lshlrev_b16_e32 v50, 8, v42
	v_lshlrev_b16_e32 v51, 8, v55
	v_sub_i16 v47, v47, v54 clamp
	v_sub_i16 v50, v50, v51 clamp
	v_perm_b32 v47, v50, v47, s27
	v_and_b32_sdwa v50, v42, s26 dst_sel:DWORD dst_unused:UNUSED_PAD src0_sel:WORD_1 src1_sel:DWORD
	v_lshlrev_b16_sdwa v42, v35, v42 dst_sel:DWORD dst_unused:UNUSED_PAD src0_sel:DWORD src1_sel:WORD_1
	v_sub_i16 v50, v50, v56 clamp
	v_sub_i16 v42, v42, v43 clamp
	v_perm_b32 v42, v42, v50, s27
	v_lshl_or_b32 v42, v42, 16, v47
	v_dot4_i32_i8 v43, v41, v5, v44
	v_dot4_i32_i8 v47, v42, v48, v43
	v_lshrrev_b32_e32 v43, 4, v45
	v_and_b32_e32 v44, 15, v45
	v_mul_lo_u32 v45, v46, v44
	v_mul_lo_u32 v50, v47, v43
	v_add_u32_e32 v46, v47, v46
	v_lshrrev_b32_e32 v47, 31, v46
	v_add_u32_e32 v46, v46, v47
	v_ashrrev_i32_e32 v46, 1, v46
	v_add3_u32 v45, v50, v45, v46
	v_ashrrev_i32_e32 v46, 31, v45
	v_lshrrev_b32_e32 v46, 30, v46
	v_add_u32_e32 v45, v45, v46
	v_ashrrev_i32_e32 v46, 2, v45
	v_cvt_f32_f16_e32 v45, v16
	v_cvt_f32_i32_e32 v17, v46
	v_mul_f32_e32 v16, v45, v49
	v_fmac_f32_e32 v29, v16, v17
	v_add_u32_e32 v16, s0, v30
	v_mad_i64_i32 v[16:17], s[20:21], v16, s22, v[14:15]
	v_add_u32_e32 v30, 8, v30
	v_add_co_u32_e32 v46, vcc, v16, v34
	v_addc_co_u32_e32 v47, vcc, 0, v17, vcc
	v_add_co_u32_e32 v50, vcc, v16, v31
	global_load_dword v52, v[46:47], off offset:2
	v_addc_co_u32_e32 v51, vcc, 0, v17, vcc
	global_load_ubyte v54, v[50:51], off offset:66
	global_load_dword v55, v[46:47], off offset:34
	global_load_ubyte v57, v[50:51], off offset:74
	s_waitcnt vmcnt(3)
	v_and_b32_e32 v46, 0xff, v52
	global_load_ushort v16, v[16:17], off
	s_waitcnt vmcnt(3)
	v_lshlrev_b32_e32 v47, 8, v54
	v_and_or_b32 v46, v47, s23, v46
	s_waitcnt vmcnt(2)
	v_and_b32_e32 v47, 0xff, v55
	v_lshlrev_b32_e32 v50, 21, v55
	v_lshl_or_b32 v50, v47, 7, v50
	v_and_b32_e32 v51, 0x1800180, v50
	v_bfe_u32 v50, v50, 24, 1
	v_cmp_ne_u16_e32 vcc, 0, v50
	v_cmp_ne_u16_sdwa s[20:21], v51, v32 src0_sel:BYTE_1 src1_sel:DWORD
	v_lshrrev_b16_e32 v50, 7, v51
	v_lshrrev_b32_e32 v51, 2, v55
	v_cndmask_b32_e64 v58, 0, -1, s[20:21]
	v_cndmask_b32_e64 v60, 0, -1, vcc
	v_bfe_i32 v50, v50, 0, 1
	v_lshlrev_b16_e32 v58, 8, v58
	v_lshlrev_b16_e32 v60, 8, v60
	v_bfe_i32 v51, v51, 0, 1
	v_or_b32_sdwa v59, v50, v58 dst_sel:DWORD dst_unused:UNUSED_PAD src0_sel:BYTE_0 src1_sel:DWORD
	v_or_b32_sdwa v61, v51, v60 dst_sel:WORD_1 dst_unused:UNUSED_PAD src0_sel:BYTE_0 src1_sel:DWORD
	v_or_b32_sdwa v59, v59, v61 dst_sel:DWORD dst_unused:UNUSED_PAD src0_sel:WORD_0 src1_sel:DWORD
	v_lshlrev_b32_e32 v61, 17, v55
	v_lshl_or_b32 v47, v47, 3, v61
	v_and_b32_e32 v61, 0x1800180, v47
	v_bfe_u32 v47, v47, 24, 1
	v_cmp_ne_u16_e32 vcc, 0, v47
	v_cmp_ne_u16_sdwa s[20:21], v61, v32 src0_sel:BYTE_1 src1_sel:DWORD
	v_lshrrev_b16_e32 v47, 7, v61
	v_lshrrev_b32_e32 v61, 6, v55
	v_bfe_i32 v62, v47, 0, 1
	v_cndmask_b32_e64 v47, 0, -1, s[20:21]
	v_cndmask_b32_e64 v64, 0, -1, vcc
	v_lshlrev_b16_e32 v63, 8, v47
	v_lshlrev_b16_e32 v64, 8, v64
	v_bfe_i32 v61, v61, 0, 1
	v_lshlrev_b32_e32 v46, 3, v46
	v_or_b32_sdwa v47, v62, v63 dst_sel:DWORD dst_unused:UNUSED_PAD src0_sel:BYTE_0 src1_sel:DWORD
	v_or_b32_sdwa v65, v61, v64 dst_sel:WORD_1 dst_unused:UNUSED_PAD src0_sel:BYTE_0 src1_sel:DWORD
	v_or_b32_sdwa v65, v47, v65 dst_sel:DWORD dst_unused:UNUSED_PAD src0_sel:WORD_0 src1_sel:DWORD
	global_load_dwordx2 v[46:47], v46, s[16:17]
	v_lshlrev_b16_e32 v50, 8, v50
	v_lshlrev_b16_e32 v51, 8, v51
	v_lshrrev_b32_e32 v56, 16, v55
	v_lshrrev_b32_e32 v53, 24, v52
	s_waitcnt vmcnt(1)
	v_cvt_f32_f16_e32 v16, v16
	v_mul_f32_e32 v17, v16, v49
	s_waitcnt vmcnt(0)
	v_xor_b32_e32 v46, v46, v59
	v_and_b32_e32 v59, 0xffffff00, v46
	v_sub_i16 v58, v59, v58 clamp
	v_lshlrev_b16_e32 v59, 8, v46
	v_sub_i16 v50, v59, v50 clamp
	v_perm_b32 v50, v50, v58, s27
	v_and_b32_sdwa v58, v46, s26 dst_sel:DWORD dst_unused:UNUSED_PAD src0_sel:WORD_1 src1_sel:DWORD
	v_lshlrev_b16_sdwa v46, v35, v46 dst_sel:DWORD dst_unused:UNUSED_PAD src0_sel:DWORD src1_sel:WORD_1
	v_sub_i16 v58, v58, v60 clamp
	v_sub_i16 v46, v46, v51 clamp
	v_perm_b32 v46, v46, v58, s27
	v_xor_b32_e32 v47, v47, v65
	v_lshl_or_b32 v46, v46, 16, v50
	v_and_b32_e32 v50, 0xffffff00, v47
	v_lshlrev_b16_e32 v51, 8, v47
	v_lshlrev_b16_e32 v58, 8, v62
	v_sub_i16 v50, v50, v63 clamp
	v_sub_i16 v51, v51, v58 clamp
	v_perm_b32 v50, v51, v50, s27
	v_and_b32_sdwa v51, v47, s26 dst_sel:DWORD dst_unused:UNUSED_PAD src0_sel:WORD_1 src1_sel:DWORD
	v_lshlrev_b16_sdwa v47, v35, v47 dst_sel:DWORD dst_unused:UNUSED_PAD src0_sel:DWORD src1_sel:WORD_1
	v_lshlrev_b16_e32 v58, 8, v61
	v_sub_i16 v51, v51, v64 clamp
	v_sub_i16 v47, v47, v58 clamp
	v_perm_b32 v47, v47, v51, s27
	v_lshl_or_b32 v47, v47, 16, v50
	v_dot4_i32_i8 v7, v46, v7, 0
	v_dot4_i32_i8 v50, v47, v8, v7
	v_bfe_u32 v7, v52, 8, 8
	v_lshlrev_b32_e32 v8, 6, v54
	v_and_or_b32 v7, v8, s23, v7
	v_lshrrev_b32_e32 v8, 1, v55
	v_and_b32_e32 v8, 0x180, v8
	v_lshrrev_b32_e32 v51, 11, v55
	v_cmp_ne_u16_sdwa s[20:21], v8, v32 src0_sel:BYTE_1 src1_sel:DWORD
	v_lshrrev_b16_e32 v8, 7, v8
	v_lshrrev_b32_e32 v58, 10, v55
	v_bfe_i32 v59, v8, 0, 1
	v_cndmask_b32_e64 v8, 0, -1, s[20:21]
	v_bfe_i32 v51, v51, 0, 1
	v_lshlrev_b16_e32 v60, 8, v8
	v_lshlrev_b16_e32 v51, 8, v51
	v_bfe_i32 v58, v58, 0, 1
	v_or_b32_sdwa v8, v59, v60 dst_sel:DWORD dst_unused:UNUSED_PAD src0_sel:BYTE_0 src1_sel:DWORD
	v_or_b32_sdwa v61, v58, v51 dst_sel:WORD_1 dst_unused:UNUSED_PAD src0_sel:BYTE_0 src1_sel:DWORD
	v_or_b32_sdwa v61, v8, v61 dst_sel:DWORD dst_unused:UNUSED_PAD src0_sel:WORD_0 src1_sel:DWORD
	v_lshrrev_b32_e32 v8, 5, v55
	v_and_b32_e32 v8, 0x180, v8
	v_lshrrev_b32_e32 v62, 15, v55
	v_cmp_ne_u16_sdwa s[20:21], v8, v32 src0_sel:BYTE_1 src1_sel:DWORD
	v_lshrrev_b16_e32 v8, 7, v8
	v_lshrrev_b32_e32 v63, 14, v55
	v_bfe_i32 v64, v8, 0, 1
	v_cndmask_b32_e64 v8, 0, -1, s[20:21]
	v_bfe_i32 v62, v62, 0, 1
	v_lshlrev_b16_e32 v65, 8, v8
	v_lshlrev_b16_e32 v62, 8, v62
	v_bfe_i32 v63, v63, 0, 1
	v_lshlrev_b32_e32 v7, 3, v7
	v_or_b32_sdwa v8, v64, v65 dst_sel:DWORD dst_unused:UNUSED_PAD src0_sel:BYTE_0 src1_sel:DWORD
	v_or_b32_sdwa v66, v63, v62 dst_sel:WORD_1 dst_unused:UNUSED_PAD src0_sel:BYTE_0 src1_sel:DWORD
	v_or_b32_sdwa v66, v8, v66 dst_sel:DWORD dst_unused:UNUSED_PAD src0_sel:WORD_0 src1_sel:DWORD
	global_load_dwordx2 v[7:8], v7, s[16:17]
	v_lshlrev_b16_e32 v59, 8, v59
	v_lshlrev_b16_e32 v58, 8, v58
	s_waitcnt vmcnt(0)
	v_xor_b32_e32 v7, v7, v61
	v_and_b32_e32 v61, 0xffffff00, v7
	v_sub_i16 v60, v61, v60 clamp
	v_lshlrev_b16_e32 v61, 8, v7
	v_sub_i16 v59, v61, v59 clamp
	v_perm_b32 v59, v59, v60, s27
	v_and_b32_sdwa v60, v7, s26 dst_sel:DWORD dst_unused:UNUSED_PAD src0_sel:WORD_1 src1_sel:DWORD
	v_lshlrev_b16_sdwa v7, v35, v7 dst_sel:DWORD dst_unused:UNUSED_PAD src0_sel:DWORD src1_sel:WORD_1
	v_sub_i16 v51, v60, v51 clamp
	v_sub_i16 v7, v7, v58 clamp
	v_perm_b32 v7, v7, v51, s27
	v_xor_b32_e32 v8, v8, v66
	v_lshl_or_b32 v7, v7, 16, v59
	v_and_b32_e32 v51, 0xffffff00, v8
	v_lshlrev_b16_e32 v58, 8, v8
	v_lshlrev_b16_e32 v59, 8, v64
	v_sub_i16 v51, v51, v65 clamp
	v_sub_i16 v58, v58, v59 clamp
	v_perm_b32 v51, v58, v51, s27
	v_and_b32_sdwa v58, v8, s26 dst_sel:DWORD dst_unused:UNUSED_PAD src0_sel:WORD_1 src1_sel:DWORD
	v_lshlrev_b16_sdwa v8, v35, v8 dst_sel:DWORD dst_unused:UNUSED_PAD src0_sel:DWORD src1_sel:WORD_1
	v_lshlrev_b16_e32 v59, 8, v63
	v_sub_i16 v58, v58, v62 clamp
	v_sub_i16 v8, v8, v59 clamp
	v_perm_b32 v8, v8, v58, s27
	v_lshl_or_b32 v8, v8, 16, v51
	v_dot4_i32_i8 v9, v7, v9, v50
	v_dot4_i32_i8 v58, v8, v2, v9
	v_bfe_u32 v2, v52, 16, 8
	v_lshlrev_b32_e32 v9, 4, v54
	v_and_or_b32 v2, v9, s23, v2
	v_lshrrev_b32_e32 v9, 9, v55
	v_lshl_or_b32 v9, v56, 21, v9
	v_and_b32_e32 v50, 0x1800180, v9
	v_bfe_u32 v9, v9, 24, 1
	v_cmp_ne_u16_e32 vcc, 0, v9
	v_cmp_ne_u16_sdwa s[20:21], v50, v32 src0_sel:BYTE_1 src1_sel:DWORD
	v_lshrrev_b16_e32 v9, 7, v50
	v_lshrrev_b32_e32 v50, 18, v55
	v_cndmask_b32_e64 v51, 0, -1, s[20:21]
	v_cndmask_b32_e64 v59, 0, -1, vcc
	v_bfe_i32 v9, v9, 0, 1
	v_lshlrev_b16_e32 v52, 8, v51
	v_lshlrev_b16_e32 v59, 8, v59
	v_bfe_i32 v60, v50, 0, 1
	v_or_b32_sdwa v51, v9, v52 dst_sel:DWORD dst_unused:UNUSED_PAD src0_sel:BYTE_0 src1_sel:DWORD
	v_or_b32_sdwa v50, v60, v59 dst_sel:WORD_1 dst_unused:UNUSED_PAD src0_sel:BYTE_0 src1_sel:DWORD
	v_or_b32_sdwa v61, v51, v50 dst_sel:DWORD dst_unused:UNUSED_PAD src0_sel:WORD_0 src1_sel:DWORD
	v_lshrrev_b32_e32 v50, 13, v55
	v_lshl_or_b32 v50, v56, 17, v50
	v_and_b32_e32 v51, 0x1800180, v50
	v_bfe_u32 v50, v50, 24, 1
	v_cmp_ne_u16_e32 vcc, 0, v50
	v_cmp_ne_u16_sdwa s[20:21], v51, v32 src0_sel:BYTE_1 src1_sel:DWORD
	v_lshrrev_b16_e32 v50, 7, v51
	v_lshrrev_b32_e32 v51, 22, v55
	v_bfe_i32 v56, v50, 0, 1
	v_cndmask_b32_e64 v50, 0, -1, s[20:21]
	v_cndmask_b32_e64 v63, 0, -1, vcc
	v_lshlrev_b16_e32 v62, 8, v50
	v_lshlrev_b16_e32 v63, 8, v63
	v_bfe_i32 v64, v51, 0, 1
	v_lshlrev_b32_e32 v2, 3, v2
	v_or_b32_sdwa v50, v56, v62 dst_sel:DWORD dst_unused:UNUSED_PAD src0_sel:BYTE_0 src1_sel:DWORD
	v_or_b32_sdwa v51, v64, v63 dst_sel:WORD_1 dst_unused:UNUSED_PAD src0_sel:BYTE_0 src1_sel:DWORD
	v_or_b32_sdwa v65, v50, v51 dst_sel:DWORD dst_unused:UNUSED_PAD src0_sel:WORD_0 src1_sel:DWORD
	global_load_dwordx2 v[50:51], v2, s[16:17]
	v_lshlrev_b16_e32 v9, 8, v9
	s_waitcnt vmcnt(0)
	v_xor_b32_e32 v2, v50, v61
	v_and_b32_e32 v50, 0xffffff00, v2
	v_sub_i16 v50, v50, v52 clamp
	v_lshlrev_b16_e32 v52, 8, v2
	v_sub_i16 v9, v52, v9 clamp
	v_perm_b32 v9, v9, v50, s27
	v_and_b32_sdwa v50, v2, s26 dst_sel:DWORD dst_unused:UNUSED_PAD src0_sel:WORD_1 src1_sel:DWORD
	v_lshlrev_b16_sdwa v2, v35, v2 dst_sel:DWORD dst_unused:UNUSED_PAD src0_sel:DWORD src1_sel:WORD_1
	v_lshlrev_b16_e32 v52, 8, v60
	v_sub_i16 v50, v50, v59 clamp
	v_sub_i16 v2, v2, v52 clamp
	v_perm_b32 v2, v2, v50, s27
	v_lshl_or_b32 v2, v2, 16, v9
	v_xor_b32_e32 v9, v51, v65
	v_and_b32_e32 v50, 0xffffff00, v9
	v_lshlrev_b16_e32 v51, 8, v9
	v_lshlrev_b16_e32 v52, 8, v56
	v_sub_i16 v50, v50, v62 clamp
	v_sub_i16 v51, v51, v52 clamp
	v_perm_b32 v50, v51, v50, s27
	v_and_b32_sdwa v51, v9, s26 dst_sel:DWORD dst_unused:UNUSED_PAD src0_sel:WORD_1 src1_sel:DWORD
	v_lshlrev_b16_sdwa v9, v35, v9 dst_sel:DWORD dst_unused:UNUSED_PAD src0_sel:DWORD src1_sel:WORD_1
	v_lshlrev_b16_e32 v52, 8, v64
	v_sub_i16 v51, v51, v63 clamp
	v_sub_i16 v9, v9, v52 clamp
	v_perm_b32 v9, v9, v51, s27
	v_lshl_or_b32 v9, v9, 16, v50
	v_dot4_i32_i8 v3, v2, v3, 0
	v_dot4_i32_i8 v50, v9, v4, v3
	v_lshrrev_b32_e32 v4, 17, v55
	v_lshrrev_b32_e32 v51, 24, v55
	v_lshl_or_b32 v4, v51, 21, v4
	v_and_b32_e32 v51, 0x1800180, v4
	v_bfe_u32 v4, v4, 24, 1
	v_cmp_ne_u16_e32 vcc, 0, v4
	v_cmp_ne_u16_sdwa s[20:21], v51, v32 src0_sel:BYTE_1 src1_sel:DWORD
	v_lshrrev_b16_e32 v4, 7, v51
	v_lshlrev_b32_e32 v3, 2, v54
	v_lshrrev_b32_e32 v51, 26, v55
	v_bfe_i32 v52, v4, 0, 1
	v_cndmask_b32_e64 v4, 0, -1, s[20:21]
	v_cndmask_b32_e64 v54, 0, -1, vcc
	v_and_or_b32 v3, v3, s23, v53
	v_lshlrev_b16_e32 v53, 8, v4
	v_lshlrev_b16_e32 v54, 8, v54
	v_bfe_i32 v51, v51, 0, 1
	v_or_b32_sdwa v4, v52, v53 dst_sel:DWORD dst_unused:UNUSED_PAD src0_sel:BYTE_0 src1_sel:DWORD
	v_or_b32_sdwa v56, v51, v54 dst_sel:WORD_1 dst_unused:UNUSED_PAD src0_sel:BYTE_0 src1_sel:DWORD
	v_or_b32_sdwa v56, v4, v56 dst_sel:DWORD dst_unused:UNUSED_PAD src0_sel:WORD_0 src1_sel:DWORD
	v_lshrrev_b32_e32 v4, 21, v55
	v_lshrrev_b32_e32 v60, 31, v55
	v_lshrrev_b16_e32 v59, 8, v4
	v_cmp_ne_u16_e32 vcc, 0, v60
	v_lshrrev_b32_e32 v55, 30, v55
	v_lshrrev_b16_e32 v4, 7, v4
	v_bfe_i32 v59, v59, 0, 1
	v_cndmask_b32_e64 v61, 0, -1, vcc
	v_lshlrev_b16_e32 v59, 8, v59
	v_bfe_i32 v60, v4, 0, 1
	v_bfe_i32 v55, v55, 0, 1
	v_lshlrev_b16_e32 v61, 8, v61
	v_lshlrev_b32_e32 v3, 3, v3
	v_or_b32_sdwa v4, v60, v59 dst_sel:DWORD dst_unused:UNUSED_PAD src0_sel:BYTE_0 src1_sel:DWORD
	v_or_b32_sdwa v62, v55, v61 dst_sel:WORD_1 dst_unused:UNUSED_PAD src0_sel:BYTE_0 src1_sel:DWORD
	v_or_b32_sdwa v62, v4, v62 dst_sel:DWORD dst_unused:UNUSED_PAD src0_sel:WORD_0 src1_sel:DWORD
	global_load_dwordx2 v[3:4], v3, s[16:17]
	v_lshlrev_b16_e32 v52, 8, v52
	v_lshlrev_b16_e32 v51, 8, v51
	v_add_co_u32_e32 v10, vcc, 0x900, v10
	v_addc_co_u32_e32 v11, vcc, 0, v11, vcc
	v_cmp_le_u32_e32 vcc, s9, v30
	s_or_b64 s[12:13], vcc, s[12:13]
	s_waitcnt vmcnt(0)
	v_xor_b32_e32 v3, v3, v56
	v_and_b32_e32 v56, 0xffffff00, v3
	v_sub_i16 v53, v56, v53 clamp
	v_lshlrev_b16_e32 v56, 8, v3
	v_sub_i16 v52, v56, v52 clamp
	v_perm_b32 v52, v52, v53, s27
	v_and_b32_sdwa v53, v3, s26 dst_sel:DWORD dst_unused:UNUSED_PAD src0_sel:WORD_1 src1_sel:DWORD
	v_lshlrev_b16_sdwa v3, v35, v3 dst_sel:DWORD dst_unused:UNUSED_PAD src0_sel:DWORD src1_sel:WORD_1
	v_sub_i16 v53, v53, v54 clamp
	v_sub_i16 v3, v3, v51 clamp
	v_perm_b32 v3, v3, v53, s27
	v_xor_b32_e32 v4, v4, v62
	v_lshl_or_b32 v3, v3, 16, v52
	v_and_b32_e32 v51, 0xffffff00, v4
	v_lshlrev_b16_e32 v52, 8, v4
	v_lshlrev_b16_e32 v53, 8, v60
	v_sub_i16 v51, v51, v59 clamp
	v_sub_i16 v52, v52, v53 clamp
	v_perm_b32 v51, v52, v51, s27
	v_and_b32_sdwa v52, v4, s26 dst_sel:DWORD dst_unused:UNUSED_PAD src0_sel:WORD_1 src1_sel:DWORD
	v_lshlrev_b16_sdwa v4, v35, v4 dst_sel:DWORD dst_unused:UNUSED_PAD src0_sel:DWORD src1_sel:WORD_1
	v_lshlrev_b16_e32 v53, 8, v55
	v_sub_i16 v52, v52, v61 clamp
	v_sub_i16 v4, v4, v53 clamp
	v_perm_b32 v4, v4, v52, s27
	v_lshl_or_b32 v4, v4, 16, v51
	v_dot4_i32_i8 v5, v3, v5, v50
	v_dot4_i32_i8 v50, v4, v48, v5
	v_lshrrev_b32_e32 v5, 4, v57
	v_and_b32_e32 v48, 15, v57
	v_mul_lo_u32 v51, v58, v48
	v_mul_lo_u32 v52, v50, v5
	v_add_u32_e32 v50, v50, v58
	v_lshrrev_b32_e32 v53, 31, v50
	v_add_u32_e32 v50, v50, v53
	v_ashrrev_i32_e32 v50, 1, v50
	v_add3_u32 v50, v52, v51, v50
	v_ashrrev_i32_e32 v51, 31, v50
	v_lshrrev_b32_e32 v51, 30, v51
	v_add_u32_e32 v50, v50, v51
	v_ashrrev_i32_e32 v50, 2, v50
	v_cvt_f32_i32_e32 v49, v50
	v_fmac_f32_e32 v28, v17, v49
	v_add_u32_e32 v17, s1, v33
	v_mad_u64_u32 v[57:58], s[16:17], v17, 36, v[12:13]
	global_load_dword v17, v[57:58], off offset:32
	global_load_dwordx4 v[49:52], v[57:58], off offset:16
	global_load_dwordx4 v[53:56], v[57:58], off
	s_waitcnt vmcnt(1)
	v_dot4_i32_i8 v58, v39, v50, 0
	s_waitcnt vmcnt(0)
	v_dot4_i32_i8 v57, v6, v54, 0
	v_dot4_i32_i8 v54, v46, v54, 0
	v_dot4_i32_i8 v50, v2, v50, 0
	v_dot4_i32_i8 v57, v36, v55, v57
	v_dot4_i32_i8 v58, v40, v51, v58
	v_dot4_i32_i8 v54, v47, v55, v54
	v_dot4_i32_i8 v50, v9, v51, v50
	v_dot4_i32_i8 v57, v37, v56, v57
	v_dot4_i32_i8 v58, v41, v52, v58
	v_dot4_i32_i8 v54, v7, v56, v54
	v_dot4_i32_i8 v50, v3, v52, v50
	v_dot4_i32_i8 v57, v38, v49, v57
	v_dot4_i32_i8 v58, v42, v17, v58
	v_dot4_i32_i8 v49, v8, v49, v54
	v_dot4_i32_i8 v17, v4, v17, v50
	v_mul_lo_u32 v50, v49, v48
	v_mul_lo_u32 v51, v17, v5
	v_add_u32_e32 v17, v17, v49
	v_mul_lo_u32 v59, v57, v44
	v_mul_lo_u32 v60, v58, v43
	v_add_u32_e32 v57, v58, v57
	v_lshrrev_b32_e32 v49, 31, v17
	v_lshrrev_b32_e32 v58, 31, v57
	v_add_u32_e32 v17, v17, v49
	v_add_u32_e32 v57, v57, v58
	v_ashrrev_i32_e32 v17, 1, v17
	v_ashrrev_i32_e32 v57, 1, v57
	v_add3_u32 v17, v51, v50, v17
	v_add3_u32 v57, v60, v59, v57
	v_ashrrev_i32_e32 v49, 31, v17
	v_ashrrev_i32_e32 v58, 31, v57
	v_lshrrev_b32_e32 v49, 30, v49
	v_lshrrev_b32_e32 v58, 30, v58
	v_add_u32_e32 v17, v17, v49
	v_cvt_f32_f16_e32 v53, v53
	v_add_u32_e32 v57, v57, v58
	v_ashrrev_i32_e32 v17, 2, v17
	v_ashrrev_i32_e32 v57, 2, v57
	v_cvt_f32_i32_e32 v17, v17
	v_cvt_f32_i32_e32 v57, v57
	v_mul_f32_e32 v49, v16, v53
	v_mul_f32_e32 v58, v45, v53
	v_fmac_f32_e32 v26, v49, v17
	v_add_u32_e32 v17, s25, v33
	v_fmac_f32_e32 v27, v58, v57
	v_mad_u64_u32 v[57:58], s[16:17], v17, 36, v[12:13]
	global_load_dword v17, v[57:58], off offset:32
	global_load_dwordx4 v[49:52], v[57:58], off offset:16
	global_load_dwordx4 v[53:56], v[57:58], off
	s_waitcnt vmcnt(1)
	v_dot4_i32_i8 v58, v39, v50, 0
	s_waitcnt vmcnt(0)
	v_dot4_i32_i8 v57, v6, v54, 0
	v_dot4_i32_i8 v54, v46, v54, 0
	v_dot4_i32_i8 v50, v2, v50, 0
	v_dot4_i32_i8 v57, v36, v55, v57
	v_dot4_i32_i8 v58, v40, v51, v58
	v_dot4_i32_i8 v54, v47, v55, v54
	v_dot4_i32_i8 v50, v9, v51, v50
	v_dot4_i32_i8 v57, v37, v56, v57
	v_dot4_i32_i8 v58, v41, v52, v58
	v_dot4_i32_i8 v54, v7, v56, v54
	v_dot4_i32_i8 v50, v3, v52, v50
	v_dot4_i32_i8 v57, v38, v49, v57
	v_dot4_i32_i8 v58, v42, v17, v58
	v_dot4_i32_i8 v49, v8, v49, v54
	v_dot4_i32_i8 v17, v4, v17, v50
	v_mul_lo_u32 v50, v49, v48
	v_mul_lo_u32 v51, v17, v5
	v_add_u32_e32 v17, v17, v49
	v_mul_lo_u32 v59, v57, v44
	v_mul_lo_u32 v60, v58, v43
	v_add_u32_e32 v57, v58, v57
	v_lshrrev_b32_e32 v49, 31, v17
	v_lshrrev_b32_e32 v58, 31, v57
	v_add_u32_e32 v17, v17, v49
	v_add_u32_e32 v57, v57, v58
	v_ashrrev_i32_e32 v17, 1, v17
	v_ashrrev_i32_e32 v57, 1, v57
	v_add3_u32 v17, v51, v50, v17
	v_add3_u32 v57, v60, v59, v57
	v_ashrrev_i32_e32 v49, 31, v17
	v_ashrrev_i32_e32 v58, 31, v57
	v_lshrrev_b32_e32 v49, 30, v49
	v_lshrrev_b32_e32 v58, 30, v58
	v_add_u32_e32 v17, v17, v49
	v_cvt_f32_f16_e32 v53, v53
	v_add_u32_e32 v57, v57, v58
	v_ashrrev_i32_e32 v17, 2, v17
	v_ashrrev_i32_e32 v57, 2, v57
	v_cvt_f32_i32_e32 v17, v17
	v_cvt_f32_i32_e32 v57, v57
	v_mul_f32_e32 v49, v16, v53
	v_mul_f32_e32 v58, v45, v53
	v_fmac_f32_e32 v24, v49, v17
	v_add_u32_e32 v17, s24, v33
	v_fmac_f32_e32 v25, v58, v57
	;; [unrolled: 52-line block ×4, first 2 shown]
	v_mad_u64_u32 v[57:58], s[16:17], v17, 36, v[12:13]
	global_load_dword v59, v[57:58], off offset:32
	global_load_dwordx4 v[49:52], v[57:58], off offset:16
	global_load_dwordx4 v[53:56], v[57:58], off
	v_add_u32_e32 v33, 64, v33
	s_waitcnt vmcnt(1)
	v_dot4_i32_i8 v2, v2, v50, 0
	s_waitcnt vmcnt(0)
	v_dot4_i32_i8 v6, v6, v54, 0
	v_dot4_i32_i8 v6, v36, v55, v6
	;; [unrolled: 1-line block ×8, first 2 shown]
	v_mul_lo_u32 v37, v6, v44
	v_mul_lo_u32 v38, v36, v43
	v_add_u32_e32 v6, v36, v6
	v_lshrrev_b32_e32 v36, 31, v6
	v_add_u32_e32 v6, v6, v36
	v_ashrrev_i32_e32 v6, 1, v6
	v_add3_u32 v6, v38, v37, v6
	v_ashrrev_i32_e32 v36, 31, v6
	v_lshrrev_b32_e32 v36, 30, v36
	v_add_u32_e32 v6, v6, v36
	v_cvt_f32_f16_e32 v17, v53
	v_ashrrev_i32_e32 v6, 2, v6
	v_cvt_f32_i32_e32 v6, v6
	v_dot4_i32_i8 v2, v9, v51, v2
	v_mul_f32_e32 v36, v45, v17
	v_dot4_i32_i8 v2, v3, v52, v2
	v_fmac_f32_e32 v19, v36, v6
	v_dot4_i32_i8 v6, v46, v54, 0
	v_dot4_i32_i8 v6, v47, v55, v6
	;; [unrolled: 1-line block ×5, first 2 shown]
	v_mul_lo_u32 v3, v6, v48
	v_mul_lo_u32 v4, v2, v5
	v_add_u32_e32 v2, v2, v6
	v_lshrrev_b32_e32 v5, 31, v2
	v_add_u32_e32 v2, v2, v5
	v_ashrrev_i32_e32 v2, 1, v2
	v_add3_u32 v2, v4, v3, v2
	v_ashrrev_i32_e32 v3, 31, v2
	v_lshrrev_b32_e32 v3, 30, v3
	v_add_u32_e32 v2, v2, v3
	v_ashrrev_i32_e32 v2, 2, v2
	v_cvt_f32_i32_e32 v2, v2
	v_mul_f32_e32 v3, v16, v17
	v_fmac_f32_e32 v18, v3, v2
	s_andn2_b64 exec, exec, s[12:13]
	s_cbranch_execnz .LBB189_2
; %bb.3:
	s_or_b64 exec, exec, s[12:13]
.LBB189_4:
	s_or_b64 exec, exec, s[10:11]
	s_mov_b32 s1, 0
	v_cmp_eq_u32_e32 vcc, 0, v1
	; wave barrier
	s_and_saveexec_b64 s[10:11], vcc
	s_cbranch_execz .LBB189_17
; %bb.5:
	v_mbcnt_lo_u32_b32 v1, -1, 0
	v_mbcnt_hi_u32_b32 v6, -1, v1
	v_and_b32_e32 v1, 64, v6
	v_add_u32_e32 v7, 64, v1
	v_xor_b32_e32 v1, 32, v6
	v_cmp_lt_i32_e32 vcc, v1, v7
	v_cndmask_b32_e32 v1, v6, v1, vcc
	v_lshlrev_b32_e32 v1, 2, v1
	ds_bpermute_b32 v5, v1, v29
	ds_bpermute_b32 v8, v1, v28
	v_xor_b32_e32 v2, 16, v6
	v_cmp_lt_i32_e32 vcc, v2, v7
	v_cndmask_b32_e32 v2, v6, v2, vcc
	v_lshlrev_b32_e32 v2, 2, v2
	s_waitcnt lgkmcnt(1)
	v_add_f32_e32 v5, v29, v5
	s_waitcnt lgkmcnt(0)
	v_add_f32_e32 v8, v28, v8
	ds_bpermute_b32 v10, v2, v5
	ds_bpermute_b32 v11, v2, v8
	v_xor_b32_e32 v3, 8, v6
	v_cmp_lt_i32_e32 vcc, v3, v7
	v_cndmask_b32_e32 v3, v6, v3, vcc
	v_lshlrev_b32_e32 v3, 2, v3
	s_waitcnt lgkmcnt(1)
	v_add_f32_e32 v10, v5, v10
	s_waitcnt lgkmcnt(0)
	v_add_f32_e32 v8, v8, v11
	;; [unrolled: 10-line block ×3, first 2 shown]
	ds_bpermute_b32 v12, v4, v10
	ds_bpermute_b32 v11, v4, v8
	v_xor_b32_e32 v9, 2, v6
	v_cmp_lt_i32_e32 vcc, v9, v7
	v_cndmask_b32_e32 v9, v6, v9, vcc
	v_lshlrev_b32_e32 v5, 2, v9
	v_xor_b32_e32 v9, 1, v6
	v_cmp_lt_i32_e32 vcc, v9, v7
	s_waitcnt lgkmcnt(1)
	v_add_f32_e32 v7, v10, v12
	s_waitcnt lgkmcnt(0)
	v_add_f32_e32 v10, v8, v11
	v_cndmask_b32_e32 v6, v6, v9, vcc
	ds_bpermute_b32 v9, v5, v7
	ds_bpermute_b32 v11, v5, v10
	s_load_dwordx2 s[4:5], s[4:5], 0x38
	s_mul_i32 s3, s14, s7
	v_lshlrev_b32_e32 v8, 2, v6
	s_waitcnt lgkmcnt(0)
	v_add_f32_e32 v6, v7, v9
	v_add_f32_e32 v9, v10, v11
	s_mul_i32 s0, s18, s8
	s_add_i32 s3, s3, s6
	ds_bpermute_b32 v7, v8, v6
	ds_bpermute_b32 v10, v8, v9
	s_add_i32 s0, s3, s0
	s_lshl_b64 s[0:1], s[0:1], 2
	s_add_u32 s4, s4, s0
	v_add_u32_e32 v11, s6, v0
	s_addc_u32 s5, s5, s1
	v_cmp_gt_u32_e32 vcc, 2, v0
	v_cmp_gt_u32_e64 s[0:1], s2, v11
	s_and_b64 s[0:1], vcc, s[0:1]
	s_waitcnt lgkmcnt(1)
	v_add_f32_e32 v6, v6, v7
	s_waitcnt lgkmcnt(0)
	v_add_f32_e32 v7, v9, v10
	s_and_saveexec_b64 s[6:7], s[0:1]
	s_cbranch_execz .LBB189_7
; %bb.6:
	v_cmp_eq_u32_e32 vcc, 1, v0
	v_cndmask_b32_e32 v9, v6, v7, vcc
	v_cmp_eq_u32_e32 vcc, 2, v0
	v_cndmask_b32_e32 v9, v9, v27, vcc
	;; [unrolled: 2-line block ×11, first 2 shown]
	v_lshlrev_b32_e32 v10, 2, v0
	global_store_dword v10, v9, s[4:5]
.LBB189_7:
	s_or_b64 exec, exec, s[6:7]
	ds_bpermute_b32 v9, v1, v27
	ds_bpermute_b32 v10, v1, v26
	s_waitcnt lgkmcnt(1)
	v_add_f32_e32 v9, v27, v9
	s_waitcnt lgkmcnt(0)
	v_add_f32_e32 v10, v26, v10
	ds_bpermute_b32 v11, v2, v9
	ds_bpermute_b32 v12, v2, v10
	s_waitcnt lgkmcnt(1)
	v_add_f32_e32 v9, v9, v11
	s_waitcnt lgkmcnt(0)
	v_add_f32_e32 v10, v10, v12
	ds_bpermute_b32 v11, v3, v9
	ds_bpermute_b32 v12, v3, v10
	s_waitcnt lgkmcnt(1)
	v_add_f32_e32 v9, v9, v11
	s_waitcnt lgkmcnt(0)
	v_add_f32_e32 v10, v10, v12
	ds_bpermute_b32 v11, v4, v9
	ds_bpermute_b32 v12, v4, v10
	s_waitcnt lgkmcnt(1)
	v_add_f32_e32 v9, v9, v11
	s_waitcnt lgkmcnt(0)
	v_add_f32_e32 v10, v10, v12
	ds_bpermute_b32 v11, v5, v9
	ds_bpermute_b32 v12, v5, v10
	s_waitcnt lgkmcnt(1)
	v_add_f32_e32 v9, v9, v11
	s_waitcnt lgkmcnt(0)
	v_add_f32_e32 v11, v10, v12
	ds_bpermute_b32 v10, v8, v9
	ds_bpermute_b32 v12, v8, v11
	s_waitcnt lgkmcnt(1)
	v_add_f32_e32 v10, v9, v10
	s_waitcnt lgkmcnt(0)
	v_add_f32_e32 v9, v11, v12
	s_and_saveexec_b64 s[6:7], s[0:1]
	s_cbranch_execz .LBB189_9
; %bb.8:
	v_add_u32_e32 v11, 2, v0
	v_cmp_eq_u32_e32 vcc, 1, v11
	v_cndmask_b32_e32 v12, v6, v7, vcc
	v_cmp_eq_u32_e32 vcc, 2, v11
	v_cndmask_b32_e32 v12, v12, v10, vcc
	;; [unrolled: 2-line block ×11, first 2 shown]
	v_add_u32_e32 v11, s2, v0
	v_mov_b32_e32 v12, 0
	v_lshlrev_b64 v[11:12], 2, v[11:12]
	v_mov_b32_e32 v14, s5
	v_add_co_u32_e32 v11, vcc, s4, v11
	v_addc_co_u32_e32 v12, vcc, v14, v12, vcc
	global_store_dword v[11:12], v13, off
.LBB189_9:
	s_or_b64 exec, exec, s[6:7]
	ds_bpermute_b32 v11, v1, v25
	ds_bpermute_b32 v12, v1, v24
	s_waitcnt lgkmcnt(1)
	v_add_f32_e32 v11, v25, v11
	s_waitcnt lgkmcnt(0)
	v_add_f32_e32 v12, v24, v12
	ds_bpermute_b32 v13, v2, v11
	ds_bpermute_b32 v14, v2, v12
	s_waitcnt lgkmcnt(1)
	v_add_f32_e32 v11, v11, v13
	s_waitcnt lgkmcnt(0)
	v_add_f32_e32 v12, v12, v14
	ds_bpermute_b32 v13, v3, v11
	ds_bpermute_b32 v14, v3, v12
	s_waitcnt lgkmcnt(1)
	v_add_f32_e32 v11, v11, v13
	s_waitcnt lgkmcnt(0)
	v_add_f32_e32 v12, v12, v14
	ds_bpermute_b32 v13, v4, v11
	ds_bpermute_b32 v14, v4, v12
	s_waitcnt lgkmcnt(1)
	v_add_f32_e32 v11, v11, v13
	s_waitcnt lgkmcnt(0)
	v_add_f32_e32 v12, v12, v14
	ds_bpermute_b32 v13, v5, v11
	ds_bpermute_b32 v14, v5, v12
	s_waitcnt lgkmcnt(1)
	v_add_f32_e32 v11, v11, v13
	s_waitcnt lgkmcnt(0)
	v_add_f32_e32 v13, v12, v14
	ds_bpermute_b32 v12, v8, v11
	ds_bpermute_b32 v14, v8, v13
	s_waitcnt lgkmcnt(1)
	v_add_f32_e32 v12, v11, v12
	s_waitcnt lgkmcnt(0)
	v_add_f32_e32 v11, v13, v14
	s_and_saveexec_b64 s[6:7], s[0:1]
	s_cbranch_execz .LBB189_11
; %bb.10:
	v_add_u32_e32 v13, 4, v0
	v_cmp_eq_u32_e32 vcc, 1, v13
	v_cndmask_b32_e32 v14, v6, v7, vcc
	v_cmp_eq_u32_e32 vcc, 2, v13
	v_cndmask_b32_e32 v14, v14, v10, vcc
	;; [unrolled: 2-line block ×11, first 2 shown]
	v_lshl_or_b32 v13, s2, 1, v0
	v_mov_b32_e32 v14, 0
	v_lshlrev_b64 v[13:14], 2, v[13:14]
	v_mov_b32_e32 v16, s5
	v_add_co_u32_e32 v13, vcc, s4, v13
	v_addc_co_u32_e32 v14, vcc, v16, v14, vcc
	global_store_dword v[13:14], v15, off
.LBB189_11:
	s_or_b64 exec, exec, s[6:7]
	ds_bpermute_b32 v13, v1, v23
	ds_bpermute_b32 v14, v1, v22
	s_waitcnt lgkmcnt(1)
	v_add_f32_e32 v13, v23, v13
	s_waitcnt lgkmcnt(0)
	v_add_f32_e32 v14, v22, v14
	ds_bpermute_b32 v15, v2, v13
	ds_bpermute_b32 v16, v2, v14
	s_waitcnt lgkmcnt(1)
	v_add_f32_e32 v13, v13, v15
	s_waitcnt lgkmcnt(0)
	v_add_f32_e32 v14, v14, v16
	;; [unrolled: 6-line block ×6, first 2 shown]
	s_and_saveexec_b64 s[6:7], s[0:1]
	s_cbranch_execz .LBB189_13
; %bb.12:
	v_add_u32_e32 v17, 6, v0
	v_cmp_eq_u32_e32 vcc, 1, v17
	v_cndmask_b32_e32 v15, v6, v7, vcc
	v_cmp_eq_u32_e32 vcc, 2, v17
	v_cndmask_b32_e32 v15, v15, v10, vcc
	v_cmp_eq_u32_e32 vcc, 3, v17
	v_cndmask_b32_e32 v15, v15, v9, vcc
	v_cmp_eq_u32_e32 vcc, 4, v17
	v_cndmask_b32_e32 v15, v15, v12, vcc
	v_cmp_eq_u32_e32 vcc, 5, v17
	v_cndmask_b32_e32 v15, v15, v11, vcc
	v_cmp_eq_u32_e32 vcc, 6, v17
	v_cndmask_b32_e32 v15, v15, v14, vcc
	v_cmp_eq_u32_e32 vcc, 7, v17
	v_cndmask_b32_e32 v15, v15, v13, vcc
	v_cmp_eq_u32_e32 vcc, 8, v17
	v_cndmask_b32_e32 v15, v15, v21, vcc
	v_cmp_eq_u32_e32 vcc, 9, v17
	v_cndmask_b32_e32 v15, v15, v20, vcc
	v_cmp_eq_u32_e32 vcc, 10, v17
	v_cndmask_b32_e32 v22, v15, v19, vcc
	v_mad_u64_u32 v[15:16], s[8:9], s2, 3, v[0:1]
	v_mov_b32_e32 v16, 0
	v_cmp_eq_u32_e32 vcc, 11, v17
	v_lshlrev_b64 v[15:16], 2, v[15:16]
	v_cndmask_b32_e32 v17, v22, v18, vcc
	v_mov_b32_e32 v22, s5
	v_add_co_u32_e32 v15, vcc, s4, v15
	v_addc_co_u32_e32 v16, vcc, v22, v16, vcc
	global_store_dword v[15:16], v17, off
.LBB189_13:
	s_or_b64 exec, exec, s[6:7]
	ds_bpermute_b32 v15, v1, v21
	ds_bpermute_b32 v16, v1, v20
	s_waitcnt lgkmcnt(1)
	v_add_f32_e32 v15, v21, v15
	s_waitcnt lgkmcnt(0)
	v_add_f32_e32 v16, v20, v16
	ds_bpermute_b32 v17, v2, v15
	ds_bpermute_b32 v20, v2, v16
	s_waitcnt lgkmcnt(1)
	v_add_f32_e32 v15, v15, v17
	s_waitcnt lgkmcnt(0)
	v_add_f32_e32 v16, v16, v20
	;; [unrolled: 6-line block ×6, first 2 shown]
	s_and_saveexec_b64 s[6:7], s[0:1]
	s_cbranch_execz .LBB189_15
; %bb.14:
	v_add_u32_e32 v17, 8, v0
	v_cmp_eq_u32_e32 vcc, 1, v17
	v_cndmask_b32_e32 v20, v6, v7, vcc
	v_cmp_eq_u32_e32 vcc, 2, v17
	v_cndmask_b32_e32 v20, v20, v10, vcc
	;; [unrolled: 2-line block ×11, first 2 shown]
	v_lshl_or_b32 v20, s2, 2, v0
	v_mov_b32_e32 v21, 0
	v_lshlrev_b64 v[20:21], 2, v[20:21]
	v_mov_b32_e32 v22, s5
	v_add_co_u32_e32 v20, vcc, s4, v20
	v_addc_co_u32_e32 v21, vcc, v22, v21, vcc
	global_store_dword v[20:21], v17, off
.LBB189_15:
	s_or_b64 exec, exec, s[6:7]
	ds_bpermute_b32 v17, v1, v19
	ds_bpermute_b32 v1, v1, v18
	s_waitcnt lgkmcnt(1)
	v_add_f32_e32 v17, v19, v17
	s_waitcnt lgkmcnt(0)
	v_add_f32_e32 v1, v18, v1
	ds_bpermute_b32 v18, v2, v17
	ds_bpermute_b32 v2, v2, v1
	s_waitcnt lgkmcnt(1)
	v_add_f32_e32 v17, v17, v18
	s_waitcnt lgkmcnt(0)
	v_add_f32_e32 v1, v1, v2
	;; [unrolled: 6-line block ×5, first 2 shown]
	ds_bpermute_b32 v3, v8, v1
	ds_bpermute_b32 v4, v8, v2
	s_and_b64 exec, exec, s[0:1]
	s_cbranch_execz .LBB189_17
; %bb.16:
	s_waitcnt lgkmcnt(1)
	v_add_f32_e32 v1, v1, v3
	v_add_u32_e32 v3, 10, v0
	v_cmp_eq_u32_e32 vcc, 1, v3
	s_waitcnt lgkmcnt(0)
	v_add_f32_e32 v2, v2, v4
	v_cndmask_b32_e32 v4, v6, v7, vcc
	v_cmp_eq_u32_e32 vcc, 2, v3
	v_cndmask_b32_e32 v4, v4, v10, vcc
	v_cmp_eq_u32_e32 vcc, 3, v3
	v_cndmask_b32_e32 v4, v4, v9, vcc
	v_cmp_eq_u32_e32 vcc, 4, v3
	v_cndmask_b32_e32 v4, v4, v12, vcc
	v_cmp_eq_u32_e32 vcc, 5, v3
	v_cndmask_b32_e32 v4, v4, v11, vcc
	v_cmp_eq_u32_e32 vcc, 6, v3
	v_cndmask_b32_e32 v4, v4, v14, vcc
	v_cmp_eq_u32_e32 vcc, 7, v3
	v_cndmask_b32_e32 v4, v4, v13, vcc
	v_cmp_eq_u32_e32 vcc, 8, v3
	v_cndmask_b32_e32 v4, v4, v16, vcc
	v_cmp_eq_u32_e32 vcc, 9, v3
	v_cndmask_b32_e32 v4, v4, v15, vcc
	v_cmp_eq_u32_e32 vcc, 10, v3
	v_cndmask_b32_e32 v4, v4, v1, vcc
	v_mad_u64_u32 v[0:1], s[0:1], s2, 5, v[0:1]
	v_mov_b32_e32 v1, 0
	v_cmp_eq_u32_e32 vcc, 11, v3
	v_lshlrev_b64 v[0:1], 2, v[0:1]
	v_cndmask_b32_e32 v2, v4, v2, vcc
	v_mov_b32_e32 v3, s5
	v_add_co_u32_e32 v0, vcc, s4, v0
	v_addc_co_u32_e32 v1, vcc, v3, v1, vcc
	global_store_dword v[0:1], v2, off
.LBB189_17:
	s_endpgm
	.section	.rodata,"a",@progbits
	.p2align	6, 0x0
	.amdhsa_kernel _ZL13mul_mat_vec_qIL9ggml_type22ELi6ELb0ELb0EEvPKvS2_PKi31ggml_cuda_mm_fusion_args_devicePfj15HIP_vector_typeIjLj3EEjjjS8_jjjS8_jjjj
		.amdhsa_group_segment_fixed_size 0
		.amdhsa_private_segment_fixed_size 0
		.amdhsa_kernarg_size 144
		.amdhsa_user_sgpr_count 6
		.amdhsa_user_sgpr_private_segment_buffer 1
		.amdhsa_user_sgpr_dispatch_ptr 0
		.amdhsa_user_sgpr_queue_ptr 0
		.amdhsa_user_sgpr_kernarg_segment_ptr 1
		.amdhsa_user_sgpr_dispatch_id 0
		.amdhsa_user_sgpr_flat_scratch_init 0
		.amdhsa_user_sgpr_private_segment_size 0
		.amdhsa_uses_dynamic_stack 0
		.amdhsa_system_sgpr_private_segment_wavefront_offset 0
		.amdhsa_system_sgpr_workgroup_id_x 1
		.amdhsa_system_sgpr_workgroup_id_y 1
		.amdhsa_system_sgpr_workgroup_id_z 1
		.amdhsa_system_sgpr_workgroup_info 0
		.amdhsa_system_vgpr_workitem_id 1
		.amdhsa_next_free_vgpr 67
		.amdhsa_next_free_sgpr 28
		.amdhsa_reserve_vcc 1
		.amdhsa_reserve_flat_scratch 0
		.amdhsa_float_round_mode_32 0
		.amdhsa_float_round_mode_16_64 0
		.amdhsa_float_denorm_mode_32 3
		.amdhsa_float_denorm_mode_16_64 3
		.amdhsa_dx10_clamp 1
		.amdhsa_ieee_mode 1
		.amdhsa_fp16_overflow 0
		.amdhsa_exception_fp_ieee_invalid_op 0
		.amdhsa_exception_fp_denorm_src 0
		.amdhsa_exception_fp_ieee_div_zero 0
		.amdhsa_exception_fp_ieee_overflow 0
		.amdhsa_exception_fp_ieee_underflow 0
		.amdhsa_exception_fp_ieee_inexact 0
		.amdhsa_exception_int_div_zero 0
	.end_amdhsa_kernel
	.section	.text._ZL13mul_mat_vec_qIL9ggml_type22ELi6ELb0ELb0EEvPKvS2_PKi31ggml_cuda_mm_fusion_args_devicePfj15HIP_vector_typeIjLj3EEjjjS8_jjjS8_jjjj,"axG",@progbits,_ZL13mul_mat_vec_qIL9ggml_type22ELi6ELb0ELb0EEvPKvS2_PKi31ggml_cuda_mm_fusion_args_devicePfj15HIP_vector_typeIjLj3EEjjjS8_jjjS8_jjjj,comdat
.Lfunc_end189:
	.size	_ZL13mul_mat_vec_qIL9ggml_type22ELi6ELb0ELb0EEvPKvS2_PKi31ggml_cuda_mm_fusion_args_devicePfj15HIP_vector_typeIjLj3EEjjjS8_jjjS8_jjjj, .Lfunc_end189-_ZL13mul_mat_vec_qIL9ggml_type22ELi6ELb0ELb0EEvPKvS2_PKi31ggml_cuda_mm_fusion_args_devicePfj15HIP_vector_typeIjLj3EEjjjS8_jjjS8_jjjj
                                        ; -- End function
	.set _ZL13mul_mat_vec_qIL9ggml_type22ELi6ELb0ELb0EEvPKvS2_PKi31ggml_cuda_mm_fusion_args_devicePfj15HIP_vector_typeIjLj3EEjjjS8_jjjS8_jjjj.num_vgpr, 67
	.set _ZL13mul_mat_vec_qIL9ggml_type22ELi6ELb0ELb0EEvPKvS2_PKi31ggml_cuda_mm_fusion_args_devicePfj15HIP_vector_typeIjLj3EEjjjS8_jjjS8_jjjj.num_agpr, 0
	.set _ZL13mul_mat_vec_qIL9ggml_type22ELi6ELb0ELb0EEvPKvS2_PKi31ggml_cuda_mm_fusion_args_devicePfj15HIP_vector_typeIjLj3EEjjjS8_jjjS8_jjjj.numbered_sgpr, 28
	.set _ZL13mul_mat_vec_qIL9ggml_type22ELi6ELb0ELb0EEvPKvS2_PKi31ggml_cuda_mm_fusion_args_devicePfj15HIP_vector_typeIjLj3EEjjjS8_jjjS8_jjjj.num_named_barrier, 0
	.set _ZL13mul_mat_vec_qIL9ggml_type22ELi6ELb0ELb0EEvPKvS2_PKi31ggml_cuda_mm_fusion_args_devicePfj15HIP_vector_typeIjLj3EEjjjS8_jjjS8_jjjj.private_seg_size, 0
	.set _ZL13mul_mat_vec_qIL9ggml_type22ELi6ELb0ELb0EEvPKvS2_PKi31ggml_cuda_mm_fusion_args_devicePfj15HIP_vector_typeIjLj3EEjjjS8_jjjS8_jjjj.uses_vcc, 1
	.set _ZL13mul_mat_vec_qIL9ggml_type22ELi6ELb0ELb0EEvPKvS2_PKi31ggml_cuda_mm_fusion_args_devicePfj15HIP_vector_typeIjLj3EEjjjS8_jjjS8_jjjj.uses_flat_scratch, 0
	.set _ZL13mul_mat_vec_qIL9ggml_type22ELi6ELb0ELb0EEvPKvS2_PKi31ggml_cuda_mm_fusion_args_devicePfj15HIP_vector_typeIjLj3EEjjjS8_jjjS8_jjjj.has_dyn_sized_stack, 0
	.set _ZL13mul_mat_vec_qIL9ggml_type22ELi6ELb0ELb0EEvPKvS2_PKi31ggml_cuda_mm_fusion_args_devicePfj15HIP_vector_typeIjLj3EEjjjS8_jjjS8_jjjj.has_recursion, 0
	.set _ZL13mul_mat_vec_qIL9ggml_type22ELi6ELb0ELb0EEvPKvS2_PKi31ggml_cuda_mm_fusion_args_devicePfj15HIP_vector_typeIjLj3EEjjjS8_jjjS8_jjjj.has_indirect_call, 0
	.section	.AMDGPU.csdata,"",@progbits
; Kernel info:
; codeLenInByte = 8228
; TotalNumSgprs: 32
; NumVgprs: 67
; ScratchSize: 0
; MemoryBound: 0
; FloatMode: 240
; IeeeMode: 1
; LDSByteSize: 0 bytes/workgroup (compile time only)
; SGPRBlocks: 3
; VGPRBlocks: 16
; NumSGPRsForWavesPerEU: 32
; NumVGPRsForWavesPerEU: 67
; Occupancy: 3
; WaveLimiterHint : 0
; COMPUTE_PGM_RSRC2:SCRATCH_EN: 0
; COMPUTE_PGM_RSRC2:USER_SGPR: 6
; COMPUTE_PGM_RSRC2:TRAP_HANDLER: 0
; COMPUTE_PGM_RSRC2:TGID_X_EN: 1
; COMPUTE_PGM_RSRC2:TGID_Y_EN: 1
; COMPUTE_PGM_RSRC2:TGID_Z_EN: 1
; COMPUTE_PGM_RSRC2:TIDIG_COMP_CNT: 1
	.section	.text._ZL13mul_mat_vec_qIL9ggml_type22ELi7ELb0ELb0EEvPKvS2_PKi31ggml_cuda_mm_fusion_args_devicePfj15HIP_vector_typeIjLj3EEjjjS8_jjjS8_jjjj,"axG",@progbits,_ZL13mul_mat_vec_qIL9ggml_type22ELi7ELb0ELb0EEvPKvS2_PKi31ggml_cuda_mm_fusion_args_devicePfj15HIP_vector_typeIjLj3EEjjjS8_jjjS8_jjjj,comdat
	.globl	_ZL13mul_mat_vec_qIL9ggml_type22ELi7ELb0ELb0EEvPKvS2_PKi31ggml_cuda_mm_fusion_args_devicePfj15HIP_vector_typeIjLj3EEjjjS8_jjjS8_jjjj ; -- Begin function _ZL13mul_mat_vec_qIL9ggml_type22ELi7ELb0ELb0EEvPKvS2_PKi31ggml_cuda_mm_fusion_args_devicePfj15HIP_vector_typeIjLj3EEjjjS8_jjjS8_jjjj
	.p2align	8
	.type	_ZL13mul_mat_vec_qIL9ggml_type22ELi7ELb0ELb0EEvPKvS2_PKi31ggml_cuda_mm_fusion_args_devicePfj15HIP_vector_typeIjLj3EEjjjS8_jjjS8_jjjj,@function
_ZL13mul_mat_vec_qIL9ggml_type22ELi7ELb0ELb0EEvPKvS2_PKi31ggml_cuda_mm_fusion_args_devicePfj15HIP_vector_typeIjLj3EEjjjS8_jjjS8_jjjj: ; @_ZL13mul_mat_vec_qIL9ggml_type22ELi7ELb0ELb0EEvPKvS2_PKi31ggml_cuda_mm_fusion_args_devicePfj15HIP_vector_typeIjLj3EEjjjS8_jjjS8_jjjj
; %bb.0:
	s_load_dword s9, s[4:5], 0x40
	s_load_dwordx4 s[0:3], s[4:5], 0x50
	s_load_dword s25, s[4:5], 0x60
	s_load_dwordx4 s[12:15], s[4:5], 0x68
	;; [unrolled: 2-line block ×3, first 2 shown]
	v_lshl_or_b32 v2, v1, 6, v0
	s_waitcnt lgkmcnt(0)
	s_lshr_b32 s9, s9, 8
	v_lshrrev_b32_e32 v32, 3, v2
	s_lshl_b32 s6, s6, 1
	v_cmp_gt_u32_e32 vcc, s9, v32
	v_mov_b32_e32 v18, 0
	v_mov_b32_e32 v19, 0
	;; [unrolled: 1-line block ×14, first 2 shown]
	s_and_saveexec_b64 s[10:11], vcc
	s_cbranch_execz .LBB190_4
; %bb.1:
	s_mul_hi_u32 s3, s3, s7
	s_add_i32 s3, s7, s3
	s_load_dwordx4 s[20:23], s[4:5], 0x0
	s_lshr_b32 s3, s3, s25
	s_mul_i32 s3, s3, s12
	s_mul_hi_u32 s12, s15, s8
	s_add_i32 s12, s8, s12
	s_lshr_b32 s12, s12, s24
	s_mul_i32 s24, s17, s8
	s_mul_i32 s15, s12, s16
	s_mul_i32 s16, s24, 36
	s_mul_hi_u32 s12, s24, 36
	s_waitcnt lgkmcnt(0)
	s_add_u32 s16, s22, s16
	s_addc_u32 s17, s23, s12
	s_mul_i32 s12, s13, s7
	s_mul_hi_u32 s13, s12, 36
	s_mul_i32 s12, s12, 36
	s_add_u32 s16, s16, s12
	s_addc_u32 s17, s17, s13
	s_add_i32 s19, s6, 1
	s_add_i32 s15, s15, s3
	s_mul_i32 s3, s6, s0
	s_mul_i32 s0, s0, s19
	v_mov_b32_e32 v2, s12
	s_add_i32 s3, s15, s3
	s_add_i32 s0, s15, s0
	s_movk_i32 s15, 0x120
	v_mov_b32_e32 v3, s13
	v_mad_u64_u32 v[2:3], s[12:13], v32, s15, v[2:3]
	v_and_b32_e32 v33, 7, v0
	v_mov_b32_e32 v5, s23
	v_mad_u64_u32 v[2:3], s[12:13], s24, 36, v[2:3]
	v_mad_u64_u32 v[12:13], s[16:17], v33, 36, s[16:17]
	;; [unrolled: 1-line block ×3, first 2 shown]
	v_lshlrev_b32_e32 v4, 1, v33
	v_mov_b32_e32 v14, s20
	v_add_co_u32_e32 v2, vcc, s22, v2
	v_addc_co_u32_e32 v3, vcc, v5, v3, vcc
	v_add_co_u32_e32 v10, vcc, 16, v2
	v_mov_b32_e32 v34, 0
	v_lshlrev_b32_e32 v35, 3, v32
	s_mul_i32 s15, s1, 6
	s_mul_i32 s19, s1, 5
	s_lshl_b32 s24, s1, 2
	s_mul_i32 s25, s1, 3
	s_lshl_b32 s26, s1, 1
	v_addc_co_u32_e32 v11, vcc, 0, v3, vcc
	s_mov_b64 s[12:13], 0
	s_movk_i32 s22, 0x52
	v_lshlrev_b32_e32 v36, 1, v4
	s_movk_i32 s23, 0x300
	s_movk_i32 s27, 0xff00
	s_mov_b32 s28, 0xc0c0105
	v_mov_b32_e32 v37, 8
	v_mov_b32_e32 v31, 0
	v_mov_b32_e32 v30, 0
	v_mov_b32_e32 v29, 0
	v_mov_b32_e32 v28, 0
	v_mov_b32_e32 v27, 0
	v_mov_b32_e32 v26, 0
	v_mov_b32_e32 v25, 0
	v_mov_b32_e32 v24, 0
	v_mov_b32_e32 v23, 0
	v_mov_b32_e32 v22, 0
	v_mov_b32_e32 v21, 0
	v_mov_b32_e32 v20, 0
	v_mov_b32_e32 v19, 0
	v_mov_b32_e32 v18, 0
	v_mov_b32_e32 v15, s21
.LBB190_2:                              ; =>This Inner Loop Header: Depth=1
	v_add_u32_e32 v16, s3, v32
	v_mad_i64_i32 v[16:17], s[16:17], v16, s22, v[14:15]
	global_load_dword v50, v[10:11], off offset:16
	global_load_dwordx4 v[2:5], v[10:11], off
	global_load_dwordx4 v[6:9], v[10:11], off offset:-16
	s_getpc_b64 s[16:17]
	s_add_u32 s16, s16, _ZL9iq2s_grid@rel32@lo+4
	s_addc_u32 s17, s17, _ZL9iq2s_grid@rel32@hi+12
	v_add_co_u32_e32 v38, vcc, v16, v36
	v_addc_co_u32_e32 v39, vcc, 0, v17, vcc
	v_add_co_u32_e32 v40, vcc, v16, v33
	global_load_dword v42, v[38:39], off offset:2
	v_addc_co_u32_e32 v41, vcc, 0, v17, vcc
	global_load_ubyte v44, v[40:41], off offset:66
	global_load_dword v45, v[38:39], off offset:34
	global_load_ubyte v47, v[40:41], off offset:74
	s_waitcnt vmcnt(4)
	v_cvt_f32_f16_e32 v51, v6
	global_load_ushort v16, v[16:17], off
	s_waitcnt vmcnt(4)
	v_and_b32_e32 v6, 0xff, v42
	v_lshrrev_b32_e32 v43, 24, v42
	s_waitcnt vmcnt(3)
	v_lshlrev_b32_e32 v38, 8, v44
	v_and_or_b32 v6, v38, s23, v6
	s_waitcnt vmcnt(2)
	v_and_b32_e32 v38, 0xff, v45
	v_lshlrev_b32_e32 v39, 21, v45
	v_lshl_or_b32 v39, v38, 7, v39
	v_and_b32_e32 v40, 0x1800180, v39
	v_bfe_u32 v39, v39, 24, 1
	v_cmp_ne_u16_e32 vcc, 0, v39
	v_cmp_ne_u16_sdwa s[20:21], v40, v34 src0_sel:BYTE_1 src1_sel:DWORD
	v_lshrrev_b16_e32 v39, 7, v40
	v_lshrrev_b32_e32 v40, 2, v45
	v_bfe_i32 v41, v39, 0, 1
	v_cndmask_b32_e64 v39, 0, -1, s[20:21]
	v_cndmask_b32_e64 v49, 0, -1, vcc
	v_lshlrev_b16_e32 v48, 8, v39
	v_lshlrev_b16_e32 v49, 8, v49
	v_bfe_i32 v40, v40, 0, 1
	v_or_b32_sdwa v39, v41, v48 dst_sel:DWORD dst_unused:UNUSED_PAD src0_sel:BYTE_0 src1_sel:DWORD
	v_or_b32_sdwa v52, v40, v49 dst_sel:WORD_1 dst_unused:UNUSED_PAD src0_sel:BYTE_0 src1_sel:DWORD
	v_or_b32_sdwa v52, v39, v52 dst_sel:DWORD dst_unused:UNUSED_PAD src0_sel:WORD_0 src1_sel:DWORD
	v_lshlrev_b32_e32 v39, 17, v45
	v_lshl_or_b32 v38, v38, 3, v39
	v_and_b32_e32 v39, 0x1800180, v38
	v_bfe_u32 v38, v38, 24, 1
	v_cmp_ne_u16_e32 vcc, 0, v38
	v_cmp_ne_u16_sdwa s[20:21], v39, v34 src0_sel:BYTE_1 src1_sel:DWORD
	v_lshrrev_b16_e32 v38, 7, v39
	v_lshrrev_b32_e32 v39, 6, v45
	v_bfe_i32 v53, v38, 0, 1
	v_cndmask_b32_e64 v38, 0, -1, s[20:21]
	v_cndmask_b32_e64 v55, 0, -1, vcc
	v_lshlrev_b16_e32 v54, 8, v38
	v_lshlrev_b16_e32 v55, 8, v55
	v_bfe_i32 v56, v39, 0, 1
	v_lshlrev_b32_e32 v6, 3, v6
	v_or_b32_sdwa v38, v53, v54 dst_sel:DWORD dst_unused:UNUSED_PAD src0_sel:BYTE_0 src1_sel:DWORD
	v_or_b32_sdwa v39, v56, v55 dst_sel:WORD_1 dst_unused:UNUSED_PAD src0_sel:BYTE_0 src1_sel:DWORD
	v_or_b32_sdwa v57, v38, v39 dst_sel:DWORD dst_unused:UNUSED_PAD src0_sel:WORD_0 src1_sel:DWORD
	global_load_dwordx2 v[38:39], v6, s[16:17]
	v_lshlrev_b16_e32 v41, 8, v41
	v_lshlrev_b16_e32 v40, 8, v40
	v_lshrrev_b32_e32 v46, 16, v45
	s_waitcnt vmcnt(0)
	v_xor_b32_e32 v6, v38, v52
	v_and_b32_e32 v38, 0xffffff00, v6
	v_sub_i16 v38, v38, v48 clamp
	v_lshlrev_b16_e32 v48, 8, v6
	v_sub_i16 v41, v48, v41 clamp
	v_perm_b32 v38, v41, v38, s28
	v_and_b32_sdwa v41, v6, s27 dst_sel:DWORD dst_unused:UNUSED_PAD src0_sel:WORD_1 src1_sel:DWORD
	v_lshlrev_b16_sdwa v6, v37, v6 dst_sel:DWORD dst_unused:UNUSED_PAD src0_sel:DWORD src1_sel:WORD_1
	v_sub_i16 v41, v41, v49 clamp
	v_sub_i16 v6, v6, v40 clamp
	v_perm_b32 v6, v6, v41, s28
	v_lshl_or_b32 v6, v6, 16, v38
	v_xor_b32_e32 v38, v39, v57
	v_and_b32_e32 v39, 0xffffff00, v38
	v_lshlrev_b16_e32 v40, 8, v38
	v_lshlrev_b16_e32 v41, 8, v53
	v_sub_i16 v39, v39, v54 clamp
	v_sub_i16 v40, v40, v41 clamp
	v_perm_b32 v39, v40, v39, s28
	v_and_b32_sdwa v40, v38, s27 dst_sel:DWORD dst_unused:UNUSED_PAD src0_sel:WORD_1 src1_sel:DWORD
	v_lshlrev_b16_sdwa v38, v37, v38 dst_sel:DWORD dst_unused:UNUSED_PAD src0_sel:DWORD src1_sel:WORD_1
	v_lshlrev_b16_e32 v41, 8, v56
	v_sub_i16 v40, v40, v55 clamp
	v_sub_i16 v38, v38, v41 clamp
	v_perm_b32 v38, v38, v40, s28
	v_lshl_or_b32 v38, v38, 16, v39
	v_dot4_i32_i8 v39, v6, v7, 0
	v_dot4_i32_i8 v41, v38, v8, v39
	v_bfe_u32 v39, v42, 8, 8
	v_lshlrev_b32_e32 v40, 6, v44
	v_and_or_b32 v39, v40, s23, v39
	v_lshrrev_b32_e32 v40, 1, v45
	v_and_b32_e32 v40, 0x180, v40
	v_lshrrev_b32_e32 v48, 11, v45
	v_cmp_ne_u16_sdwa s[20:21], v40, v34 src0_sel:BYTE_1 src1_sel:DWORD
	v_lshrrev_b16_e32 v40, 7, v40
	v_lshrrev_b32_e32 v49, 10, v45
	v_bfe_i32 v52, v40, 0, 1
	v_cndmask_b32_e64 v40, 0, -1, s[20:21]
	v_bfe_i32 v48, v48, 0, 1
	v_lshlrev_b16_e32 v53, 8, v40
	v_lshlrev_b16_e32 v48, 8, v48
	v_bfe_i32 v49, v49, 0, 1
	v_or_b32_sdwa v40, v52, v53 dst_sel:DWORD dst_unused:UNUSED_PAD src0_sel:BYTE_0 src1_sel:DWORD
	v_or_b32_sdwa v54, v49, v48 dst_sel:WORD_1 dst_unused:UNUSED_PAD src0_sel:BYTE_0 src1_sel:DWORD
	v_or_b32_sdwa v54, v40, v54 dst_sel:DWORD dst_unused:UNUSED_PAD src0_sel:WORD_0 src1_sel:DWORD
	v_lshrrev_b32_e32 v40, 5, v45
	v_and_b32_e32 v40, 0x180, v40
	v_lshrrev_b32_e32 v55, 15, v45
	v_cmp_ne_u16_sdwa s[20:21], v40, v34 src0_sel:BYTE_1 src1_sel:DWORD
	v_lshrrev_b16_e32 v40, 7, v40
	v_lshrrev_b32_e32 v56, 14, v45
	v_bfe_i32 v57, v40, 0, 1
	v_cndmask_b32_e64 v40, 0, -1, s[20:21]
	v_bfe_i32 v55, v55, 0, 1
	v_lshlrev_b16_e32 v58, 8, v40
	v_lshlrev_b16_e32 v55, 8, v55
	v_bfe_i32 v56, v56, 0, 1
	v_lshlrev_b32_e32 v39, 3, v39
	v_or_b32_sdwa v40, v57, v58 dst_sel:DWORD dst_unused:UNUSED_PAD src0_sel:BYTE_0 src1_sel:DWORD
	v_or_b32_sdwa v59, v56, v55 dst_sel:WORD_1 dst_unused:UNUSED_PAD src0_sel:BYTE_0 src1_sel:DWORD
	v_or_b32_sdwa v59, v40, v59 dst_sel:DWORD dst_unused:UNUSED_PAD src0_sel:WORD_0 src1_sel:DWORD
	global_load_dwordx2 v[39:40], v39, s[16:17]
	v_lshlrev_b16_e32 v52, 8, v52
	v_lshlrev_b16_e32 v49, 8, v49
	s_waitcnt vmcnt(0)
	v_xor_b32_e32 v39, v39, v54
	v_and_b32_e32 v54, 0xffffff00, v39
	v_sub_i16 v53, v54, v53 clamp
	v_lshlrev_b16_e32 v54, 8, v39
	v_sub_i16 v52, v54, v52 clamp
	v_perm_b32 v52, v52, v53, s28
	v_and_b32_sdwa v53, v39, s27 dst_sel:DWORD dst_unused:UNUSED_PAD src0_sel:WORD_1 src1_sel:DWORD
	v_lshlrev_b16_sdwa v39, v37, v39 dst_sel:DWORD dst_unused:UNUSED_PAD src0_sel:DWORD src1_sel:WORD_1
	v_sub_i16 v48, v53, v48 clamp
	v_sub_i16 v39, v39, v49 clamp
	v_perm_b32 v39, v39, v48, s28
	v_xor_b32_e32 v40, v40, v59
	v_lshl_or_b32 v39, v39, 16, v52
	v_and_b32_e32 v48, 0xffffff00, v40
	v_lshlrev_b16_e32 v49, 8, v40
	v_lshlrev_b16_e32 v52, 8, v57
	v_sub_i16 v48, v48, v58 clamp
	v_sub_i16 v49, v49, v52 clamp
	v_perm_b32 v48, v49, v48, s28
	v_and_b32_sdwa v49, v40, s27 dst_sel:DWORD dst_unused:UNUSED_PAD src0_sel:WORD_1 src1_sel:DWORD
	v_lshlrev_b16_sdwa v40, v37, v40 dst_sel:DWORD dst_unused:UNUSED_PAD src0_sel:DWORD src1_sel:WORD_1
	v_lshlrev_b16_e32 v52, 8, v56
	v_sub_i16 v49, v49, v55 clamp
	v_sub_i16 v40, v40, v52 clamp
	v_perm_b32 v40, v40, v49, s28
	v_lshl_or_b32 v40, v40, 16, v48
	v_dot4_i32_i8 v41, v39, v9, v41
	v_dot4_i32_i8 v48, v40, v2, v41
	v_bfe_u32 v41, v42, 16, 8
	v_lshlrev_b32_e32 v42, 4, v44
	v_and_or_b32 v41, v42, s23, v41
	v_lshrrev_b32_e32 v42, 9, v45
	v_lshl_or_b32 v42, v46, 21, v42
	v_and_b32_e32 v49, 0x1800180, v42
	v_bfe_u32 v42, v42, 24, 1
	v_cmp_ne_u16_e32 vcc, 0, v42
	v_cmp_ne_u16_sdwa s[20:21], v49, v34 src0_sel:BYTE_1 src1_sel:DWORD
	v_lshrrev_b16_e32 v42, 7, v49
	v_lshrrev_b32_e32 v49, 18, v45
	v_bfe_i32 v52, v42, 0, 1
	v_cndmask_b32_e64 v42, 0, -1, s[20:21]
	v_cndmask_b32_e64 v54, 0, -1, vcc
	v_lshlrev_b16_e32 v53, 8, v42
	v_lshlrev_b16_e32 v54, 8, v54
	v_bfe_i32 v49, v49, 0, 1
	v_or_b32_sdwa v42, v52, v53 dst_sel:DWORD dst_unused:UNUSED_PAD src0_sel:BYTE_0 src1_sel:DWORD
	v_or_b32_sdwa v55, v49, v54 dst_sel:WORD_1 dst_unused:UNUSED_PAD src0_sel:BYTE_0 src1_sel:DWORD
	v_or_b32_sdwa v55, v42, v55 dst_sel:DWORD dst_unused:UNUSED_PAD src0_sel:WORD_0 src1_sel:DWORD
	v_lshrrev_b32_e32 v42, 13, v45
	v_lshl_or_b32 v42, v46, 17, v42
	v_and_b32_e32 v46, 0x1800180, v42
	v_bfe_u32 v42, v42, 24, 1
	v_cmp_ne_u16_e32 vcc, 0, v42
	v_cmp_ne_u16_sdwa s[20:21], v46, v34 src0_sel:BYTE_1 src1_sel:DWORD
	v_lshrrev_b16_e32 v42, 7, v46
	v_lshrrev_b32_e32 v46, 22, v45
	v_bfe_i32 v56, v42, 0, 1
	v_cndmask_b32_e64 v42, 0, -1, s[20:21]
	v_cndmask_b32_e64 v58, 0, -1, vcc
	v_lshlrev_b16_e32 v57, 8, v42
	v_lshlrev_b16_e32 v58, 8, v58
	v_bfe_i32 v46, v46, 0, 1
	v_lshlrev_b32_e32 v41, 3, v41
	v_or_b32_sdwa v42, v56, v57 dst_sel:DWORD dst_unused:UNUSED_PAD src0_sel:BYTE_0 src1_sel:DWORD
	v_or_b32_sdwa v59, v46, v58 dst_sel:WORD_1 dst_unused:UNUSED_PAD src0_sel:BYTE_0 src1_sel:DWORD
	v_or_b32_sdwa v59, v42, v59 dst_sel:DWORD dst_unused:UNUSED_PAD src0_sel:WORD_0 src1_sel:DWORD
	global_load_dwordx2 v[41:42], v41, s[16:17]
	v_lshlrev_b16_e32 v52, 8, v52
	v_lshlrev_b16_e32 v49, 8, v49
	;; [unrolled: 1-line block ×3, first 2 shown]
	v_lshlrev_b32_e32 v44, 2, v44
	v_and_or_b32 v43, v44, s23, v43
	v_lshrrev_b32_e32 v44, 17, v45
	v_lshlrev_b32_e32 v43, 3, v43
	s_waitcnt vmcnt(0)
	v_xor_b32_e32 v41, v41, v55
	v_and_b32_e32 v55, 0xffffff00, v41
	v_sub_i16 v53, v55, v53 clamp
	v_lshlrev_b16_e32 v55, 8, v41
	v_sub_i16 v52, v55, v52 clamp
	v_perm_b32 v52, v52, v53, s28
	v_and_b32_sdwa v53, v41, s27 dst_sel:DWORD dst_unused:UNUSED_PAD src0_sel:WORD_1 src1_sel:DWORD
	v_lshlrev_b16_sdwa v41, v37, v41 dst_sel:DWORD dst_unused:UNUSED_PAD src0_sel:DWORD src1_sel:WORD_1
	v_sub_i16 v53, v53, v54 clamp
	v_sub_i16 v41, v41, v49 clamp
	v_perm_b32 v41, v41, v53, s28
	v_xor_b32_e32 v42, v42, v59
	v_lshl_or_b32 v41, v41, 16, v52
	v_and_b32_e32 v49, 0xffffff00, v42
	v_lshlrev_b16_e32 v52, 8, v42
	v_lshlrev_b16_e32 v53, 8, v56
	v_sub_i16 v49, v49, v57 clamp
	v_sub_i16 v52, v52, v53 clamp
	v_perm_b32 v49, v52, v49, s28
	v_and_b32_sdwa v52, v42, s27 dst_sel:DWORD dst_unused:UNUSED_PAD src0_sel:WORD_1 src1_sel:DWORD
	v_lshlrev_b16_sdwa v42, v37, v42 dst_sel:DWORD dst_unused:UNUSED_PAD src0_sel:DWORD src1_sel:WORD_1
	v_sub_i16 v52, v52, v58 clamp
	v_sub_i16 v42, v42, v46 clamp
	v_perm_b32 v42, v42, v52, s28
	v_lshl_or_b32 v42, v42, 16, v49
	v_lshrrev_b32_e32 v49, 24, v45
	v_lshl_or_b32 v44, v49, 21, v44
	v_and_b32_e32 v49, 0x1800180, v44
	v_bfe_u32 v44, v44, 24, 1
	v_cmp_ne_u16_e32 vcc, 0, v44
	v_cmp_ne_u16_sdwa s[20:21], v49, v34 src0_sel:BYTE_1 src1_sel:DWORD
	v_lshrrev_b16_e32 v44, 7, v49
	v_lshrrev_b32_e32 v49, 26, v45
	v_bfe_i32 v52, v44, 0, 1
	v_cndmask_b32_e64 v44, 0, -1, s[20:21]
	v_cndmask_b32_e64 v54, 0, -1, vcc
	v_lshlrev_b16_e32 v53, 8, v44
	v_lshlrev_b16_e32 v54, 8, v54
	v_bfe_i32 v49, v49, 0, 1
	v_or_b32_sdwa v44, v52, v53 dst_sel:DWORD dst_unused:UNUSED_PAD src0_sel:BYTE_0 src1_sel:DWORD
	v_or_b32_sdwa v55, v49, v54 dst_sel:WORD_1 dst_unused:UNUSED_PAD src0_sel:BYTE_0 src1_sel:DWORD
	v_or_b32_sdwa v55, v44, v55 dst_sel:DWORD dst_unused:UNUSED_PAD src0_sel:WORD_0 src1_sel:DWORD
	v_lshrrev_b32_e32 v44, 21, v45
	v_lshrrev_b32_e32 v57, 31, v45
	v_lshrrev_b16_e32 v56, 8, v44
	v_cmp_ne_u16_e32 vcc, 0, v57
	v_lshrrev_b32_e32 v45, 30, v45
	v_lshrrev_b16_e32 v44, 7, v44
	v_bfe_i32 v56, v56, 0, 1
	v_cndmask_b32_e64 v58, 0, -1, vcc
	v_lshlrev_b16_e32 v56, 8, v56
	v_bfe_i32 v57, v44, 0, 1
	v_bfe_i32 v45, v45, 0, 1
	v_lshlrev_b16_e32 v58, 8, v58
	v_or_b32_sdwa v44, v57, v56 dst_sel:DWORD dst_unused:UNUSED_PAD src0_sel:BYTE_0 src1_sel:DWORD
	v_or_b32_sdwa v59, v45, v58 dst_sel:WORD_1 dst_unused:UNUSED_PAD src0_sel:BYTE_0 src1_sel:DWORD
	v_or_b32_sdwa v59, v44, v59 dst_sel:DWORD dst_unused:UNUSED_PAD src0_sel:WORD_0 src1_sel:DWORD
	global_load_dwordx2 v[43:44], v43, s[16:17]
	v_lshlrev_b16_e32 v52, 8, v52
	v_lshlrev_b16_e32 v49, 8, v49
	;; [unrolled: 1-line block ×3, first 2 shown]
	v_dot4_i32_i8 v46, v41, v3, 0
	v_dot4_i32_i8 v46, v42, v4, v46
	s_waitcnt vmcnt(0)
	v_xor_b32_e32 v43, v43, v55
	v_and_b32_e32 v55, 0xffffff00, v43
	v_sub_i16 v53, v55, v53 clamp
	v_lshlrev_b16_e32 v55, 8, v43
	v_sub_i16 v52, v55, v52 clamp
	v_perm_b32 v52, v52, v53, s28
	v_and_b32_sdwa v53, v43, s27 dst_sel:DWORD dst_unused:UNUSED_PAD src0_sel:WORD_1 src1_sel:DWORD
	v_lshlrev_b16_sdwa v43, v37, v43 dst_sel:DWORD dst_unused:UNUSED_PAD src0_sel:DWORD src1_sel:WORD_1
	v_sub_i16 v53, v53, v54 clamp
	v_sub_i16 v43, v43, v49 clamp
	v_perm_b32 v43, v43, v53, s28
	v_xor_b32_e32 v44, v44, v59
	v_lshl_or_b32 v43, v43, 16, v52
	v_and_b32_e32 v49, 0xffffff00, v44
	v_lshlrev_b16_e32 v52, 8, v44
	v_lshlrev_b16_e32 v53, 8, v57
	v_sub_i16 v49, v49, v56 clamp
	v_sub_i16 v52, v52, v53 clamp
	v_perm_b32 v49, v52, v49, s28
	v_and_b32_sdwa v52, v44, s27 dst_sel:DWORD dst_unused:UNUSED_PAD src0_sel:WORD_1 src1_sel:DWORD
	v_lshlrev_b16_sdwa v44, v37, v44 dst_sel:DWORD dst_unused:UNUSED_PAD src0_sel:DWORD src1_sel:WORD_1
	v_sub_i16 v52, v52, v58 clamp
	v_sub_i16 v44, v44, v45 clamp
	v_perm_b32 v44, v44, v52, s28
	v_lshl_or_b32 v44, v44, 16, v49
	v_dot4_i32_i8 v45, v43, v5, v46
	v_dot4_i32_i8 v49, v44, v50, v45
	v_lshrrev_b32_e32 v45, 4, v47
	v_and_b32_e32 v46, 15, v47
	v_mul_lo_u32 v47, v48, v46
	v_mul_lo_u32 v52, v49, v45
	v_add_u32_e32 v48, v49, v48
	v_lshrrev_b32_e32 v49, 31, v48
	v_add_u32_e32 v48, v48, v49
	v_ashrrev_i32_e32 v48, 1, v48
	v_add3_u32 v47, v52, v47, v48
	v_ashrrev_i32_e32 v48, 31, v47
	v_lshrrev_b32_e32 v48, 30, v48
	v_add_u32_e32 v47, v47, v48
	v_ashrrev_i32_e32 v48, 2, v47
	v_cvt_f32_f16_e32 v47, v16
	v_cvt_f32_i32_e32 v17, v48
	v_mul_f32_e32 v16, v47, v51
	v_fmac_f32_e32 v31, v16, v17
	v_add_u32_e32 v16, s0, v32
	v_mad_i64_i32 v[16:17], s[20:21], v16, s22, v[14:15]
	v_add_u32_e32 v32, 8, v32
	v_add_co_u32_e32 v48, vcc, v16, v36
	v_addc_co_u32_e32 v49, vcc, 0, v17, vcc
	v_add_co_u32_e32 v52, vcc, v16, v33
	global_load_dword v54, v[48:49], off offset:2
	v_addc_co_u32_e32 v53, vcc, 0, v17, vcc
	global_load_ubyte v56, v[52:53], off offset:66
	global_load_dword v57, v[48:49], off offset:34
	global_load_ubyte v59, v[52:53], off offset:74
	s_waitcnt vmcnt(3)
	v_and_b32_e32 v48, 0xff, v54
	global_load_ushort v16, v[16:17], off
	s_waitcnt vmcnt(3)
	v_lshlrev_b32_e32 v49, 8, v56
	v_and_or_b32 v48, v49, s23, v48
	s_waitcnt vmcnt(2)
	v_and_b32_e32 v49, 0xff, v57
	v_lshlrev_b32_e32 v52, 21, v57
	v_lshl_or_b32 v52, v49, 7, v52
	v_and_b32_e32 v53, 0x1800180, v52
	v_bfe_u32 v52, v52, 24, 1
	v_cmp_ne_u16_e32 vcc, 0, v52
	v_cmp_ne_u16_sdwa s[20:21], v53, v34 src0_sel:BYTE_1 src1_sel:DWORD
	v_lshrrev_b16_e32 v52, 7, v53
	v_lshrrev_b32_e32 v53, 2, v57
	v_cndmask_b32_e64 v60, 0, -1, s[20:21]
	v_cndmask_b32_e64 v62, 0, -1, vcc
	v_bfe_i32 v52, v52, 0, 1
	v_lshlrev_b16_e32 v60, 8, v60
	v_lshlrev_b16_e32 v62, 8, v62
	v_bfe_i32 v53, v53, 0, 1
	v_or_b32_sdwa v61, v52, v60 dst_sel:DWORD dst_unused:UNUSED_PAD src0_sel:BYTE_0 src1_sel:DWORD
	v_or_b32_sdwa v63, v53, v62 dst_sel:WORD_1 dst_unused:UNUSED_PAD src0_sel:BYTE_0 src1_sel:DWORD
	v_or_b32_sdwa v61, v61, v63 dst_sel:DWORD dst_unused:UNUSED_PAD src0_sel:WORD_0 src1_sel:DWORD
	v_lshlrev_b32_e32 v63, 17, v57
	v_lshl_or_b32 v49, v49, 3, v63
	v_and_b32_e32 v63, 0x1800180, v49
	v_bfe_u32 v49, v49, 24, 1
	v_cmp_ne_u16_e32 vcc, 0, v49
	v_cmp_ne_u16_sdwa s[20:21], v63, v34 src0_sel:BYTE_1 src1_sel:DWORD
	v_lshrrev_b16_e32 v49, 7, v63
	v_lshrrev_b32_e32 v63, 6, v57
	v_bfe_i32 v64, v49, 0, 1
	v_cndmask_b32_e64 v49, 0, -1, s[20:21]
	v_cndmask_b32_e64 v66, 0, -1, vcc
	v_lshlrev_b16_e32 v65, 8, v49
	v_lshlrev_b16_e32 v66, 8, v66
	v_bfe_i32 v63, v63, 0, 1
	v_lshlrev_b32_e32 v48, 3, v48
	v_or_b32_sdwa v49, v64, v65 dst_sel:DWORD dst_unused:UNUSED_PAD src0_sel:BYTE_0 src1_sel:DWORD
	v_or_b32_sdwa v67, v63, v66 dst_sel:WORD_1 dst_unused:UNUSED_PAD src0_sel:BYTE_0 src1_sel:DWORD
	v_or_b32_sdwa v67, v49, v67 dst_sel:DWORD dst_unused:UNUSED_PAD src0_sel:WORD_0 src1_sel:DWORD
	global_load_dwordx2 v[48:49], v48, s[16:17]
	v_lshlrev_b16_e32 v52, 8, v52
	v_lshlrev_b16_e32 v53, 8, v53
	v_lshrrev_b32_e32 v58, 16, v57
	v_lshrrev_b32_e32 v55, 24, v54
	s_waitcnt vmcnt(1)
	v_cvt_f32_f16_e32 v16, v16
	v_mul_f32_e32 v17, v16, v51
	s_waitcnt vmcnt(0)
	v_xor_b32_e32 v48, v48, v61
	v_and_b32_e32 v61, 0xffffff00, v48
	v_sub_i16 v60, v61, v60 clamp
	v_lshlrev_b16_e32 v61, 8, v48
	v_sub_i16 v52, v61, v52 clamp
	v_perm_b32 v52, v52, v60, s28
	v_and_b32_sdwa v60, v48, s27 dst_sel:DWORD dst_unused:UNUSED_PAD src0_sel:WORD_1 src1_sel:DWORD
	v_lshlrev_b16_sdwa v48, v37, v48 dst_sel:DWORD dst_unused:UNUSED_PAD src0_sel:DWORD src1_sel:WORD_1
	v_sub_i16 v60, v60, v62 clamp
	v_sub_i16 v48, v48, v53 clamp
	v_perm_b32 v48, v48, v60, s28
	v_xor_b32_e32 v49, v49, v67
	v_lshl_or_b32 v48, v48, 16, v52
	v_and_b32_e32 v52, 0xffffff00, v49
	v_lshlrev_b16_e32 v53, 8, v49
	v_lshlrev_b16_e32 v60, 8, v64
	v_sub_i16 v52, v52, v65 clamp
	v_sub_i16 v53, v53, v60 clamp
	v_perm_b32 v52, v53, v52, s28
	v_and_b32_sdwa v53, v49, s27 dst_sel:DWORD dst_unused:UNUSED_PAD src0_sel:WORD_1 src1_sel:DWORD
	v_lshlrev_b16_sdwa v49, v37, v49 dst_sel:DWORD dst_unused:UNUSED_PAD src0_sel:DWORD src1_sel:WORD_1
	v_lshlrev_b16_e32 v60, 8, v63
	v_sub_i16 v53, v53, v66 clamp
	v_sub_i16 v49, v49, v60 clamp
	v_perm_b32 v49, v49, v53, s28
	v_lshl_or_b32 v49, v49, 16, v52
	v_dot4_i32_i8 v7, v48, v7, 0
	v_dot4_i32_i8 v52, v49, v8, v7
	v_bfe_u32 v7, v54, 8, 8
	v_lshlrev_b32_e32 v8, 6, v56
	v_and_or_b32 v7, v8, s23, v7
	v_lshrrev_b32_e32 v8, 1, v57
	v_and_b32_e32 v8, 0x180, v8
	v_lshrrev_b32_e32 v53, 11, v57
	v_cmp_ne_u16_sdwa s[20:21], v8, v34 src0_sel:BYTE_1 src1_sel:DWORD
	v_lshrrev_b16_e32 v8, 7, v8
	v_lshrrev_b32_e32 v60, 10, v57
	v_bfe_i32 v61, v8, 0, 1
	v_cndmask_b32_e64 v8, 0, -1, s[20:21]
	v_bfe_i32 v53, v53, 0, 1
	v_lshlrev_b16_e32 v62, 8, v8
	v_lshlrev_b16_e32 v53, 8, v53
	v_bfe_i32 v60, v60, 0, 1
	v_or_b32_sdwa v8, v61, v62 dst_sel:DWORD dst_unused:UNUSED_PAD src0_sel:BYTE_0 src1_sel:DWORD
	v_or_b32_sdwa v63, v60, v53 dst_sel:WORD_1 dst_unused:UNUSED_PAD src0_sel:BYTE_0 src1_sel:DWORD
	v_or_b32_sdwa v63, v8, v63 dst_sel:DWORD dst_unused:UNUSED_PAD src0_sel:WORD_0 src1_sel:DWORD
	v_lshrrev_b32_e32 v8, 5, v57
	v_and_b32_e32 v8, 0x180, v8
	v_lshrrev_b32_e32 v64, 15, v57
	v_cmp_ne_u16_sdwa s[20:21], v8, v34 src0_sel:BYTE_1 src1_sel:DWORD
	v_lshrrev_b16_e32 v8, 7, v8
	v_lshrrev_b32_e32 v65, 14, v57
	v_bfe_i32 v66, v8, 0, 1
	v_cndmask_b32_e64 v8, 0, -1, s[20:21]
	v_bfe_i32 v64, v64, 0, 1
	v_lshlrev_b16_e32 v67, 8, v8
	v_lshlrev_b16_e32 v64, 8, v64
	v_bfe_i32 v65, v65, 0, 1
	v_lshlrev_b32_e32 v7, 3, v7
	v_or_b32_sdwa v8, v66, v67 dst_sel:DWORD dst_unused:UNUSED_PAD src0_sel:BYTE_0 src1_sel:DWORD
	v_or_b32_sdwa v68, v65, v64 dst_sel:WORD_1 dst_unused:UNUSED_PAD src0_sel:BYTE_0 src1_sel:DWORD
	v_or_b32_sdwa v68, v8, v68 dst_sel:DWORD dst_unused:UNUSED_PAD src0_sel:WORD_0 src1_sel:DWORD
	global_load_dwordx2 v[7:8], v7, s[16:17]
	v_lshlrev_b16_e32 v61, 8, v61
	v_lshlrev_b16_e32 v60, 8, v60
	s_waitcnt vmcnt(0)
	v_xor_b32_e32 v7, v7, v63
	v_and_b32_e32 v63, 0xffffff00, v7
	v_sub_i16 v62, v63, v62 clamp
	v_lshlrev_b16_e32 v63, 8, v7
	v_sub_i16 v61, v63, v61 clamp
	v_perm_b32 v61, v61, v62, s28
	v_and_b32_sdwa v62, v7, s27 dst_sel:DWORD dst_unused:UNUSED_PAD src0_sel:WORD_1 src1_sel:DWORD
	v_lshlrev_b16_sdwa v7, v37, v7 dst_sel:DWORD dst_unused:UNUSED_PAD src0_sel:DWORD src1_sel:WORD_1
	v_sub_i16 v53, v62, v53 clamp
	v_sub_i16 v7, v7, v60 clamp
	v_perm_b32 v7, v7, v53, s28
	v_xor_b32_e32 v8, v8, v68
	v_lshl_or_b32 v7, v7, 16, v61
	v_and_b32_e32 v53, 0xffffff00, v8
	v_lshlrev_b16_e32 v60, 8, v8
	v_lshlrev_b16_e32 v61, 8, v66
	v_sub_i16 v53, v53, v67 clamp
	v_sub_i16 v60, v60, v61 clamp
	v_perm_b32 v53, v60, v53, s28
	v_and_b32_sdwa v60, v8, s27 dst_sel:DWORD dst_unused:UNUSED_PAD src0_sel:WORD_1 src1_sel:DWORD
	v_lshlrev_b16_sdwa v8, v37, v8 dst_sel:DWORD dst_unused:UNUSED_PAD src0_sel:DWORD src1_sel:WORD_1
	v_lshlrev_b16_e32 v61, 8, v65
	v_sub_i16 v60, v60, v64 clamp
	v_sub_i16 v8, v8, v61 clamp
	v_perm_b32 v8, v8, v60, s28
	v_lshl_or_b32 v8, v8, 16, v53
	v_dot4_i32_i8 v9, v7, v9, v52
	v_dot4_i32_i8 v60, v8, v2, v9
	v_bfe_u32 v2, v54, 16, 8
	v_lshlrev_b32_e32 v9, 4, v56
	v_and_or_b32 v2, v9, s23, v2
	v_lshrrev_b32_e32 v9, 9, v57
	v_lshl_or_b32 v9, v58, 21, v9
	v_and_b32_e32 v52, 0x1800180, v9
	v_bfe_u32 v9, v9, 24, 1
	v_cmp_ne_u16_e32 vcc, 0, v9
	v_cmp_ne_u16_sdwa s[20:21], v52, v34 src0_sel:BYTE_1 src1_sel:DWORD
	v_lshrrev_b16_e32 v9, 7, v52
	v_lshrrev_b32_e32 v52, 18, v57
	v_cndmask_b32_e64 v53, 0, -1, s[20:21]
	v_cndmask_b32_e64 v61, 0, -1, vcc
	v_bfe_i32 v9, v9, 0, 1
	v_lshlrev_b16_e32 v54, 8, v53
	v_lshlrev_b16_e32 v61, 8, v61
	v_bfe_i32 v62, v52, 0, 1
	v_or_b32_sdwa v53, v9, v54 dst_sel:DWORD dst_unused:UNUSED_PAD src0_sel:BYTE_0 src1_sel:DWORD
	v_or_b32_sdwa v52, v62, v61 dst_sel:WORD_1 dst_unused:UNUSED_PAD src0_sel:BYTE_0 src1_sel:DWORD
	v_or_b32_sdwa v63, v53, v52 dst_sel:DWORD dst_unused:UNUSED_PAD src0_sel:WORD_0 src1_sel:DWORD
	v_lshrrev_b32_e32 v52, 13, v57
	v_lshl_or_b32 v52, v58, 17, v52
	v_and_b32_e32 v53, 0x1800180, v52
	v_bfe_u32 v52, v52, 24, 1
	v_cmp_ne_u16_e32 vcc, 0, v52
	v_cmp_ne_u16_sdwa s[20:21], v53, v34 src0_sel:BYTE_1 src1_sel:DWORD
	v_lshrrev_b16_e32 v52, 7, v53
	v_lshrrev_b32_e32 v53, 22, v57
	v_bfe_i32 v58, v52, 0, 1
	v_cndmask_b32_e64 v52, 0, -1, s[20:21]
	v_cndmask_b32_e64 v65, 0, -1, vcc
	v_lshlrev_b16_e32 v64, 8, v52
	v_lshlrev_b16_e32 v65, 8, v65
	v_bfe_i32 v66, v53, 0, 1
	v_lshlrev_b32_e32 v2, 3, v2
	v_or_b32_sdwa v52, v58, v64 dst_sel:DWORD dst_unused:UNUSED_PAD src0_sel:BYTE_0 src1_sel:DWORD
	v_or_b32_sdwa v53, v66, v65 dst_sel:WORD_1 dst_unused:UNUSED_PAD src0_sel:BYTE_0 src1_sel:DWORD
	v_or_b32_sdwa v67, v52, v53 dst_sel:DWORD dst_unused:UNUSED_PAD src0_sel:WORD_0 src1_sel:DWORD
	global_load_dwordx2 v[52:53], v2, s[16:17]
	v_lshlrev_b16_e32 v9, 8, v9
	s_waitcnt vmcnt(0)
	v_xor_b32_e32 v2, v52, v63
	v_and_b32_e32 v52, 0xffffff00, v2
	v_sub_i16 v52, v52, v54 clamp
	v_lshlrev_b16_e32 v54, 8, v2
	v_sub_i16 v9, v54, v9 clamp
	v_perm_b32 v9, v9, v52, s28
	v_and_b32_sdwa v52, v2, s27 dst_sel:DWORD dst_unused:UNUSED_PAD src0_sel:WORD_1 src1_sel:DWORD
	v_lshlrev_b16_sdwa v2, v37, v2 dst_sel:DWORD dst_unused:UNUSED_PAD src0_sel:DWORD src1_sel:WORD_1
	v_lshlrev_b16_e32 v54, 8, v62
	v_sub_i16 v52, v52, v61 clamp
	v_sub_i16 v2, v2, v54 clamp
	v_perm_b32 v2, v2, v52, s28
	v_lshl_or_b32 v2, v2, 16, v9
	v_xor_b32_e32 v9, v53, v67
	v_and_b32_e32 v52, 0xffffff00, v9
	v_lshlrev_b16_e32 v53, 8, v9
	v_lshlrev_b16_e32 v54, 8, v58
	v_sub_i16 v52, v52, v64 clamp
	v_sub_i16 v53, v53, v54 clamp
	v_perm_b32 v52, v53, v52, s28
	v_and_b32_sdwa v53, v9, s27 dst_sel:DWORD dst_unused:UNUSED_PAD src0_sel:WORD_1 src1_sel:DWORD
	v_lshlrev_b16_sdwa v9, v37, v9 dst_sel:DWORD dst_unused:UNUSED_PAD src0_sel:DWORD src1_sel:WORD_1
	v_lshlrev_b16_e32 v54, 8, v66
	v_sub_i16 v53, v53, v65 clamp
	v_sub_i16 v9, v9, v54 clamp
	v_perm_b32 v9, v9, v53, s28
	v_lshl_or_b32 v9, v9, 16, v52
	v_dot4_i32_i8 v3, v2, v3, 0
	v_dot4_i32_i8 v52, v9, v4, v3
	v_lshrrev_b32_e32 v4, 17, v57
	v_lshrrev_b32_e32 v53, 24, v57
	v_lshl_or_b32 v4, v53, 21, v4
	v_and_b32_e32 v53, 0x1800180, v4
	v_bfe_u32 v4, v4, 24, 1
	v_cmp_ne_u16_e32 vcc, 0, v4
	v_cmp_ne_u16_sdwa s[20:21], v53, v34 src0_sel:BYTE_1 src1_sel:DWORD
	v_lshrrev_b16_e32 v4, 7, v53
	v_lshlrev_b32_e32 v3, 2, v56
	v_lshrrev_b32_e32 v53, 26, v57
	v_bfe_i32 v54, v4, 0, 1
	v_cndmask_b32_e64 v4, 0, -1, s[20:21]
	v_cndmask_b32_e64 v56, 0, -1, vcc
	v_and_or_b32 v3, v3, s23, v55
	v_lshlrev_b16_e32 v55, 8, v4
	v_lshlrev_b16_e32 v56, 8, v56
	v_bfe_i32 v53, v53, 0, 1
	v_or_b32_sdwa v4, v54, v55 dst_sel:DWORD dst_unused:UNUSED_PAD src0_sel:BYTE_0 src1_sel:DWORD
	v_or_b32_sdwa v58, v53, v56 dst_sel:WORD_1 dst_unused:UNUSED_PAD src0_sel:BYTE_0 src1_sel:DWORD
	v_or_b32_sdwa v58, v4, v58 dst_sel:DWORD dst_unused:UNUSED_PAD src0_sel:WORD_0 src1_sel:DWORD
	v_lshrrev_b32_e32 v4, 21, v57
	v_lshrrev_b32_e32 v62, 31, v57
	v_lshrrev_b16_e32 v61, 8, v4
	v_cmp_ne_u16_e32 vcc, 0, v62
	v_lshrrev_b32_e32 v57, 30, v57
	v_lshrrev_b16_e32 v4, 7, v4
	v_bfe_i32 v61, v61, 0, 1
	v_cndmask_b32_e64 v63, 0, -1, vcc
	v_lshlrev_b16_e32 v61, 8, v61
	v_bfe_i32 v62, v4, 0, 1
	v_bfe_i32 v57, v57, 0, 1
	v_lshlrev_b16_e32 v63, 8, v63
	v_lshlrev_b32_e32 v3, 3, v3
	v_or_b32_sdwa v4, v62, v61 dst_sel:DWORD dst_unused:UNUSED_PAD src0_sel:BYTE_0 src1_sel:DWORD
	v_or_b32_sdwa v64, v57, v63 dst_sel:WORD_1 dst_unused:UNUSED_PAD src0_sel:BYTE_0 src1_sel:DWORD
	v_or_b32_sdwa v64, v4, v64 dst_sel:DWORD dst_unused:UNUSED_PAD src0_sel:WORD_0 src1_sel:DWORD
	global_load_dwordx2 v[3:4], v3, s[16:17]
	v_lshlrev_b16_e32 v54, 8, v54
	v_lshlrev_b16_e32 v53, 8, v53
	v_add_co_u32_e32 v10, vcc, 0x900, v10
	v_addc_co_u32_e32 v11, vcc, 0, v11, vcc
	v_cmp_le_u32_e32 vcc, s9, v32
	s_or_b64 s[12:13], vcc, s[12:13]
	s_waitcnt vmcnt(0)
	v_xor_b32_e32 v3, v3, v58
	v_and_b32_e32 v58, 0xffffff00, v3
	v_sub_i16 v55, v58, v55 clamp
	v_lshlrev_b16_e32 v58, 8, v3
	v_sub_i16 v54, v58, v54 clamp
	v_perm_b32 v54, v54, v55, s28
	v_and_b32_sdwa v55, v3, s27 dst_sel:DWORD dst_unused:UNUSED_PAD src0_sel:WORD_1 src1_sel:DWORD
	v_lshlrev_b16_sdwa v3, v37, v3 dst_sel:DWORD dst_unused:UNUSED_PAD src0_sel:DWORD src1_sel:WORD_1
	v_sub_i16 v55, v55, v56 clamp
	v_sub_i16 v3, v3, v53 clamp
	v_perm_b32 v3, v3, v55, s28
	v_xor_b32_e32 v4, v4, v64
	v_lshl_or_b32 v3, v3, 16, v54
	v_and_b32_e32 v53, 0xffffff00, v4
	v_lshlrev_b16_e32 v54, 8, v4
	v_lshlrev_b16_e32 v55, 8, v62
	v_sub_i16 v53, v53, v61 clamp
	v_sub_i16 v54, v54, v55 clamp
	v_perm_b32 v53, v54, v53, s28
	v_and_b32_sdwa v54, v4, s27 dst_sel:DWORD dst_unused:UNUSED_PAD src0_sel:WORD_1 src1_sel:DWORD
	v_lshlrev_b16_sdwa v4, v37, v4 dst_sel:DWORD dst_unused:UNUSED_PAD src0_sel:DWORD src1_sel:WORD_1
	v_lshlrev_b16_e32 v55, 8, v57
	v_sub_i16 v54, v54, v63 clamp
	v_sub_i16 v4, v4, v55 clamp
	v_perm_b32 v4, v4, v54, s28
	v_lshl_or_b32 v4, v4, 16, v53
	v_dot4_i32_i8 v5, v3, v5, v52
	v_dot4_i32_i8 v52, v4, v50, v5
	v_lshrrev_b32_e32 v5, 4, v59
	v_and_b32_e32 v50, 15, v59
	v_mul_lo_u32 v53, v60, v50
	v_mul_lo_u32 v54, v52, v5
	v_add_u32_e32 v52, v52, v60
	v_lshrrev_b32_e32 v55, 31, v52
	v_add_u32_e32 v52, v52, v55
	v_ashrrev_i32_e32 v52, 1, v52
	v_add3_u32 v52, v54, v53, v52
	v_ashrrev_i32_e32 v53, 31, v52
	v_lshrrev_b32_e32 v53, 30, v53
	v_add_u32_e32 v52, v52, v53
	v_ashrrev_i32_e32 v52, 2, v52
	v_cvt_f32_i32_e32 v51, v52
	v_fmac_f32_e32 v30, v17, v51
	v_add_u32_e32 v17, s1, v35
	v_mad_u64_u32 v[59:60], s[16:17], v17, 36, v[12:13]
	global_load_dword v17, v[59:60], off offset:32
	global_load_dwordx4 v[51:54], v[59:60], off offset:16
	global_load_dwordx4 v[55:58], v[59:60], off
	s_waitcnt vmcnt(1)
	v_dot4_i32_i8 v60, v41, v52, 0
	s_waitcnt vmcnt(0)
	v_dot4_i32_i8 v59, v6, v56, 0
	v_dot4_i32_i8 v56, v48, v56, 0
	v_dot4_i32_i8 v52, v2, v52, 0
	v_dot4_i32_i8 v59, v38, v57, v59
	v_dot4_i32_i8 v60, v42, v53, v60
	v_dot4_i32_i8 v56, v49, v57, v56
	v_dot4_i32_i8 v52, v9, v53, v52
	v_dot4_i32_i8 v59, v39, v58, v59
	v_dot4_i32_i8 v60, v43, v54, v60
	v_dot4_i32_i8 v56, v7, v58, v56
	v_dot4_i32_i8 v52, v3, v54, v52
	v_dot4_i32_i8 v59, v40, v51, v59
	v_dot4_i32_i8 v60, v44, v17, v60
	v_dot4_i32_i8 v51, v8, v51, v56
	v_dot4_i32_i8 v17, v4, v17, v52
	v_mul_lo_u32 v52, v51, v50
	v_mul_lo_u32 v53, v17, v5
	v_add_u32_e32 v17, v17, v51
	v_mul_lo_u32 v61, v59, v46
	v_mul_lo_u32 v62, v60, v45
	v_add_u32_e32 v59, v60, v59
	v_lshrrev_b32_e32 v51, 31, v17
	v_lshrrev_b32_e32 v60, 31, v59
	v_add_u32_e32 v17, v17, v51
	v_add_u32_e32 v59, v59, v60
	v_ashrrev_i32_e32 v17, 1, v17
	v_ashrrev_i32_e32 v59, 1, v59
	v_add3_u32 v17, v53, v52, v17
	v_add3_u32 v59, v62, v61, v59
	v_ashrrev_i32_e32 v51, 31, v17
	v_ashrrev_i32_e32 v60, 31, v59
	v_lshrrev_b32_e32 v51, 30, v51
	v_lshrrev_b32_e32 v60, 30, v60
	v_add_u32_e32 v17, v17, v51
	v_cvt_f32_f16_e32 v55, v55
	v_add_u32_e32 v59, v59, v60
	v_ashrrev_i32_e32 v17, 2, v17
	v_ashrrev_i32_e32 v59, 2, v59
	v_cvt_f32_i32_e32 v17, v17
	v_cvt_f32_i32_e32 v59, v59
	v_mul_f32_e32 v51, v16, v55
	v_mul_f32_e32 v60, v47, v55
	v_fmac_f32_e32 v28, v51, v17
	v_add_u32_e32 v17, s26, v35
	v_fmac_f32_e32 v29, v60, v59
	v_mad_u64_u32 v[59:60], s[16:17], v17, 36, v[12:13]
	global_load_dword v17, v[59:60], off offset:32
	global_load_dwordx4 v[51:54], v[59:60], off offset:16
	global_load_dwordx4 v[55:58], v[59:60], off
	s_waitcnt vmcnt(1)
	v_dot4_i32_i8 v60, v41, v52, 0
	s_waitcnt vmcnt(0)
	v_dot4_i32_i8 v59, v6, v56, 0
	v_dot4_i32_i8 v56, v48, v56, 0
	v_dot4_i32_i8 v52, v2, v52, 0
	v_dot4_i32_i8 v59, v38, v57, v59
	v_dot4_i32_i8 v60, v42, v53, v60
	v_dot4_i32_i8 v56, v49, v57, v56
	v_dot4_i32_i8 v52, v9, v53, v52
	v_dot4_i32_i8 v59, v39, v58, v59
	v_dot4_i32_i8 v60, v43, v54, v60
	v_dot4_i32_i8 v56, v7, v58, v56
	v_dot4_i32_i8 v52, v3, v54, v52
	v_dot4_i32_i8 v59, v40, v51, v59
	v_dot4_i32_i8 v60, v44, v17, v60
	v_dot4_i32_i8 v51, v8, v51, v56
	v_dot4_i32_i8 v17, v4, v17, v52
	v_mul_lo_u32 v52, v51, v50
	v_mul_lo_u32 v53, v17, v5
	v_add_u32_e32 v17, v17, v51
	v_mul_lo_u32 v61, v59, v46
	v_mul_lo_u32 v62, v60, v45
	v_add_u32_e32 v59, v60, v59
	v_lshrrev_b32_e32 v51, 31, v17
	v_lshrrev_b32_e32 v60, 31, v59
	v_add_u32_e32 v17, v17, v51
	v_add_u32_e32 v59, v59, v60
	v_ashrrev_i32_e32 v17, 1, v17
	v_ashrrev_i32_e32 v59, 1, v59
	v_add3_u32 v17, v53, v52, v17
	v_add3_u32 v59, v62, v61, v59
	v_ashrrev_i32_e32 v51, 31, v17
	v_ashrrev_i32_e32 v60, 31, v59
	v_lshrrev_b32_e32 v51, 30, v51
	v_lshrrev_b32_e32 v60, 30, v60
	v_add_u32_e32 v17, v17, v51
	v_cvt_f32_f16_e32 v55, v55
	v_add_u32_e32 v59, v59, v60
	v_ashrrev_i32_e32 v17, 2, v17
	v_ashrrev_i32_e32 v59, 2, v59
	v_cvt_f32_i32_e32 v17, v17
	v_cvt_f32_i32_e32 v59, v59
	v_mul_f32_e32 v51, v16, v55
	v_mul_f32_e32 v60, v47, v55
	v_fmac_f32_e32 v26, v51, v17
	v_add_u32_e32 v17, s25, v35
	v_fmac_f32_e32 v27, v60, v59
	;; [unrolled: 52-line block ×5, first 2 shown]
	v_mad_u64_u32 v[59:60], s[16:17], v17, 36, v[12:13]
	global_load_dword v17, v[59:60], off offset:32
	global_load_dwordx4 v[51:54], v[59:60], off offset:16
	global_load_dwordx4 v[55:58], v[59:60], off
	v_add_u32_e32 v35, 64, v35
	s_waitcnt vmcnt(1)
	v_dot4_i32_i8 v2, v2, v52, 0
	s_waitcnt vmcnt(0)
	v_dot4_i32_i8 v6, v6, v56, 0
	v_dot4_i32_i8 v6, v38, v57, v6
	;; [unrolled: 1-line block ×8, first 2 shown]
	v_mul_lo_u32 v39, v6, v46
	v_mul_lo_u32 v40, v38, v45
	v_add_u32_e32 v6, v38, v6
	v_lshrrev_b32_e32 v38, 31, v6
	v_add_u32_e32 v6, v6, v38
	v_ashrrev_i32_e32 v6, 1, v6
	v_add3_u32 v6, v40, v39, v6
	v_ashrrev_i32_e32 v38, 31, v6
	v_lshrrev_b32_e32 v38, 30, v38
	v_add_u32_e32 v6, v6, v38
	v_cvt_f32_f16_e32 v55, v55
	v_ashrrev_i32_e32 v6, 2, v6
	v_cvt_f32_i32_e32 v6, v6
	v_dot4_i32_i8 v2, v9, v53, v2
	v_mul_f32_e32 v38, v47, v55
	v_dot4_i32_i8 v2, v3, v54, v2
	v_fmac_f32_e32 v19, v38, v6
	v_dot4_i32_i8 v6, v48, v56, 0
	v_dot4_i32_i8 v6, v49, v57, v6
	;; [unrolled: 1-line block ×5, first 2 shown]
	v_mul_lo_u32 v3, v6, v50
	v_mul_lo_u32 v4, v2, v5
	v_add_u32_e32 v2, v2, v6
	v_lshrrev_b32_e32 v5, 31, v2
	v_add_u32_e32 v2, v2, v5
	v_ashrrev_i32_e32 v2, 1, v2
	v_add3_u32 v2, v4, v3, v2
	v_ashrrev_i32_e32 v3, 31, v2
	v_lshrrev_b32_e32 v3, 30, v3
	v_add_u32_e32 v2, v2, v3
	v_ashrrev_i32_e32 v2, 2, v2
	v_cvt_f32_i32_e32 v2, v2
	v_mul_f32_e32 v3, v16, v55
	v_fmac_f32_e32 v18, v3, v2
	s_andn2_b64 exec, exec, s[12:13]
	s_cbranch_execnz .LBB190_2
; %bb.3:
	s_or_b64 exec, exec, s[12:13]
.LBB190_4:
	s_or_b64 exec, exec, s[10:11]
	s_mov_b32 s1, 0
	v_cmp_eq_u32_e32 vcc, 0, v1
	; wave barrier
	s_and_saveexec_b64 s[10:11], vcc
	s_cbranch_execz .LBB190_19
; %bb.5:
	v_mbcnt_lo_u32_b32 v1, -1, 0
	v_mbcnt_hi_u32_b32 v6, -1, v1
	v_and_b32_e32 v1, 64, v6
	v_add_u32_e32 v7, 64, v1
	v_xor_b32_e32 v1, 32, v6
	v_cmp_lt_i32_e32 vcc, v1, v7
	v_cndmask_b32_e32 v1, v6, v1, vcc
	v_lshlrev_b32_e32 v1, 2, v1
	ds_bpermute_b32 v5, v1, v31
	ds_bpermute_b32 v8, v1, v30
	v_xor_b32_e32 v2, 16, v6
	v_cmp_lt_i32_e32 vcc, v2, v7
	v_cndmask_b32_e32 v2, v6, v2, vcc
	v_lshlrev_b32_e32 v2, 2, v2
	s_waitcnt lgkmcnt(1)
	v_add_f32_e32 v5, v31, v5
	s_waitcnt lgkmcnt(0)
	v_add_f32_e32 v8, v30, v8
	ds_bpermute_b32 v10, v2, v5
	ds_bpermute_b32 v11, v2, v8
	v_xor_b32_e32 v3, 8, v6
	v_cmp_lt_i32_e32 vcc, v3, v7
	v_cndmask_b32_e32 v3, v6, v3, vcc
	v_lshlrev_b32_e32 v3, 2, v3
	s_waitcnt lgkmcnt(1)
	v_add_f32_e32 v10, v5, v10
	s_waitcnt lgkmcnt(0)
	v_add_f32_e32 v8, v8, v11
	;; [unrolled: 10-line block ×3, first 2 shown]
	ds_bpermute_b32 v12, v4, v10
	ds_bpermute_b32 v11, v4, v8
	v_xor_b32_e32 v9, 2, v6
	v_cmp_lt_i32_e32 vcc, v9, v7
	v_cndmask_b32_e32 v9, v6, v9, vcc
	v_lshlrev_b32_e32 v5, 2, v9
	v_xor_b32_e32 v9, 1, v6
	v_cmp_lt_i32_e32 vcc, v9, v7
	s_waitcnt lgkmcnt(1)
	v_add_f32_e32 v7, v10, v12
	s_waitcnt lgkmcnt(0)
	v_add_f32_e32 v10, v8, v11
	v_cndmask_b32_e32 v6, v6, v9, vcc
	ds_bpermute_b32 v9, v5, v7
	ds_bpermute_b32 v11, v5, v10
	s_load_dwordx2 s[4:5], s[4:5], 0x38
	s_mul_i32 s3, s14, s7
	v_lshlrev_b32_e32 v8, 2, v6
	s_waitcnt lgkmcnt(0)
	v_add_f32_e32 v6, v7, v9
	v_add_f32_e32 v9, v10, v11
	s_mul_i32 s0, s18, s8
	s_add_i32 s3, s3, s6
	ds_bpermute_b32 v7, v8, v6
	ds_bpermute_b32 v10, v8, v9
	s_add_i32 s0, s3, s0
	s_lshl_b64 s[0:1], s[0:1], 2
	s_add_u32 s4, s4, s0
	v_add_u32_e32 v11, s6, v0
	s_addc_u32 s5, s5, s1
	v_cmp_gt_u32_e32 vcc, 2, v0
	v_cmp_gt_u32_e64 s[0:1], s2, v11
	s_and_b64 s[0:1], vcc, s[0:1]
	s_waitcnt lgkmcnt(1)
	v_add_f32_e32 v6, v6, v7
	s_waitcnt lgkmcnt(0)
	v_add_f32_e32 v7, v9, v10
	s_and_saveexec_b64 s[6:7], s[0:1]
	s_cbranch_execz .LBB190_7
; %bb.6:
	v_cmp_eq_u32_e32 vcc, 1, v0
	v_cndmask_b32_e32 v9, v6, v7, vcc
	v_cmp_eq_u32_e32 vcc, 2, v0
	v_cndmask_b32_e32 v9, v9, v29, vcc
	;; [unrolled: 2-line block ×13, first 2 shown]
	v_lshlrev_b32_e32 v10, 2, v0
	global_store_dword v10, v9, s[4:5]
.LBB190_7:
	s_or_b64 exec, exec, s[6:7]
	ds_bpermute_b32 v9, v1, v29
	ds_bpermute_b32 v10, v1, v28
	s_waitcnt lgkmcnt(1)
	v_add_f32_e32 v9, v29, v9
	s_waitcnt lgkmcnt(0)
	v_add_f32_e32 v10, v28, v10
	ds_bpermute_b32 v11, v2, v9
	ds_bpermute_b32 v12, v2, v10
	s_waitcnt lgkmcnt(1)
	v_add_f32_e32 v9, v9, v11
	s_waitcnt lgkmcnt(0)
	v_add_f32_e32 v10, v10, v12
	ds_bpermute_b32 v11, v3, v9
	ds_bpermute_b32 v12, v3, v10
	s_waitcnt lgkmcnt(1)
	v_add_f32_e32 v9, v9, v11
	s_waitcnt lgkmcnt(0)
	v_add_f32_e32 v10, v10, v12
	ds_bpermute_b32 v11, v4, v9
	ds_bpermute_b32 v12, v4, v10
	s_waitcnt lgkmcnt(1)
	v_add_f32_e32 v9, v9, v11
	s_waitcnt lgkmcnt(0)
	v_add_f32_e32 v10, v10, v12
	ds_bpermute_b32 v11, v5, v9
	ds_bpermute_b32 v12, v5, v10
	s_waitcnt lgkmcnt(1)
	v_add_f32_e32 v9, v9, v11
	s_waitcnt lgkmcnt(0)
	v_add_f32_e32 v11, v10, v12
	ds_bpermute_b32 v10, v8, v9
	ds_bpermute_b32 v12, v8, v11
	s_waitcnt lgkmcnt(1)
	v_add_f32_e32 v10, v9, v10
	s_waitcnt lgkmcnt(0)
	v_add_f32_e32 v9, v11, v12
	s_and_saveexec_b64 s[6:7], s[0:1]
	s_cbranch_execz .LBB190_9
; %bb.8:
	v_add_u32_e32 v11, 2, v0
	v_cmp_eq_u32_e32 vcc, 1, v11
	v_cndmask_b32_e32 v12, v6, v7, vcc
	v_cmp_eq_u32_e32 vcc, 2, v11
	v_cndmask_b32_e32 v12, v12, v10, vcc
	;; [unrolled: 2-line block ×13, first 2 shown]
	v_add_u32_e32 v11, s2, v0
	v_mov_b32_e32 v12, 0
	v_lshlrev_b64 v[11:12], 2, v[11:12]
	v_mov_b32_e32 v14, s5
	v_add_co_u32_e32 v11, vcc, s4, v11
	v_addc_co_u32_e32 v12, vcc, v14, v12, vcc
	global_store_dword v[11:12], v13, off
.LBB190_9:
	s_or_b64 exec, exec, s[6:7]
	ds_bpermute_b32 v11, v1, v27
	ds_bpermute_b32 v12, v1, v26
	s_waitcnt lgkmcnt(1)
	v_add_f32_e32 v11, v27, v11
	s_waitcnt lgkmcnt(0)
	v_add_f32_e32 v12, v26, v12
	ds_bpermute_b32 v13, v2, v11
	ds_bpermute_b32 v14, v2, v12
	s_waitcnt lgkmcnt(1)
	v_add_f32_e32 v11, v11, v13
	s_waitcnt lgkmcnt(0)
	v_add_f32_e32 v12, v12, v14
	;; [unrolled: 6-line block ×6, first 2 shown]
	s_and_saveexec_b64 s[6:7], s[0:1]
	s_cbranch_execz .LBB190_11
; %bb.10:
	v_add_u32_e32 v13, 4, v0
	v_cmp_eq_u32_e32 vcc, 1, v13
	v_cndmask_b32_e32 v14, v6, v7, vcc
	v_cmp_eq_u32_e32 vcc, 2, v13
	v_cndmask_b32_e32 v14, v14, v10, vcc
	;; [unrolled: 2-line block ×13, first 2 shown]
	v_lshl_or_b32 v13, s2, 1, v0
	v_mov_b32_e32 v14, 0
	v_lshlrev_b64 v[13:14], 2, v[13:14]
	v_mov_b32_e32 v16, s5
	v_add_co_u32_e32 v13, vcc, s4, v13
	v_addc_co_u32_e32 v14, vcc, v16, v14, vcc
	global_store_dword v[13:14], v15, off
.LBB190_11:
	s_or_b64 exec, exec, s[6:7]
	ds_bpermute_b32 v13, v1, v25
	ds_bpermute_b32 v14, v1, v24
	s_waitcnt lgkmcnt(1)
	v_add_f32_e32 v13, v25, v13
	s_waitcnt lgkmcnt(0)
	v_add_f32_e32 v14, v24, v14
	ds_bpermute_b32 v15, v2, v13
	ds_bpermute_b32 v16, v2, v14
	s_waitcnt lgkmcnt(1)
	v_add_f32_e32 v13, v13, v15
	s_waitcnt lgkmcnt(0)
	v_add_f32_e32 v14, v14, v16
	;; [unrolled: 6-line block ×6, first 2 shown]
	s_and_saveexec_b64 s[6:7], s[0:1]
	s_cbranch_execz .LBB190_13
; %bb.12:
	v_add_u32_e32 v17, 6, v0
	v_cmp_eq_u32_e32 vcc, 1, v17
	v_cndmask_b32_e32 v15, v6, v7, vcc
	v_cmp_eq_u32_e32 vcc, 2, v17
	v_cndmask_b32_e32 v15, v15, v10, vcc
	;; [unrolled: 2-line block ×12, first 2 shown]
	v_mad_u64_u32 v[15:16], s[8:9], s2, 3, v[0:1]
	v_mov_b32_e32 v16, 0
	v_cmp_eq_u32_e32 vcc, 13, v17
	v_lshlrev_b64 v[15:16], 2, v[15:16]
	v_cndmask_b32_e32 v17, v24, v18, vcc
	v_mov_b32_e32 v24, s5
	v_add_co_u32_e32 v15, vcc, s4, v15
	v_addc_co_u32_e32 v16, vcc, v24, v16, vcc
	global_store_dword v[15:16], v17, off
.LBB190_13:
	s_or_b64 exec, exec, s[6:7]
	ds_bpermute_b32 v15, v1, v23
	ds_bpermute_b32 v16, v1, v22
	s_waitcnt lgkmcnt(1)
	v_add_f32_e32 v15, v23, v15
	s_waitcnt lgkmcnt(0)
	v_add_f32_e32 v16, v22, v16
	ds_bpermute_b32 v17, v2, v15
	ds_bpermute_b32 v22, v2, v16
	s_waitcnt lgkmcnt(1)
	v_add_f32_e32 v15, v15, v17
	s_waitcnt lgkmcnt(0)
	v_add_f32_e32 v16, v16, v22
	;; [unrolled: 6-line block ×6, first 2 shown]
	s_and_saveexec_b64 s[6:7], s[0:1]
	s_cbranch_execz .LBB190_15
; %bb.14:
	v_add_u32_e32 v17, 8, v0
	v_cmp_eq_u32_e32 vcc, 1, v17
	v_cndmask_b32_e32 v22, v6, v7, vcc
	v_cmp_eq_u32_e32 vcc, 2, v17
	v_cndmask_b32_e32 v22, v22, v10, vcc
	;; [unrolled: 2-line block ×13, first 2 shown]
	v_lshl_or_b32 v22, s2, 2, v0
	v_mov_b32_e32 v23, 0
	v_lshlrev_b64 v[22:23], 2, v[22:23]
	v_mov_b32_e32 v24, s5
	v_add_co_u32_e32 v22, vcc, s4, v22
	v_addc_co_u32_e32 v23, vcc, v24, v23, vcc
	global_store_dword v[22:23], v17, off
.LBB190_15:
	s_or_b64 exec, exec, s[6:7]
	ds_bpermute_b32 v17, v1, v21
	ds_bpermute_b32 v22, v1, v20
	s_waitcnt lgkmcnt(1)
	v_add_f32_e32 v17, v21, v17
	s_waitcnt lgkmcnt(0)
	v_add_f32_e32 v20, v20, v22
	ds_bpermute_b32 v21, v2, v17
	ds_bpermute_b32 v22, v2, v20
	s_waitcnt lgkmcnt(1)
	v_add_f32_e32 v17, v17, v21
	s_waitcnt lgkmcnt(0)
	v_add_f32_e32 v20, v20, v22
	;; [unrolled: 6-line block ×6, first 2 shown]
	s_and_saveexec_b64 s[6:7], s[0:1]
	s_cbranch_execz .LBB190_17
; %bb.16:
	v_add_u32_e32 v23, 10, v0
	v_cmp_eq_u32_e32 vcc, 1, v23
	v_cndmask_b32_e32 v21, v6, v7, vcc
	v_cmp_eq_u32_e32 vcc, 2, v23
	v_cndmask_b32_e32 v21, v21, v10, vcc
	;; [unrolled: 2-line block ×12, first 2 shown]
	v_mad_u64_u32 v[21:22], s[8:9], s2, 5, v[0:1]
	v_mov_b32_e32 v22, 0
	v_cmp_eq_u32_e32 vcc, 13, v23
	v_lshlrev_b64 v[21:22], 2, v[21:22]
	v_cndmask_b32_e32 v23, v24, v18, vcc
	v_mov_b32_e32 v24, s5
	v_add_co_u32_e32 v21, vcc, s4, v21
	v_addc_co_u32_e32 v22, vcc, v24, v22, vcc
	global_store_dword v[21:22], v23, off
.LBB190_17:
	s_or_b64 exec, exec, s[6:7]
	ds_bpermute_b32 v21, v1, v19
	ds_bpermute_b32 v1, v1, v18
	s_waitcnt lgkmcnt(1)
	v_add_f32_e32 v19, v19, v21
	s_waitcnt lgkmcnt(0)
	v_add_f32_e32 v1, v18, v1
	ds_bpermute_b32 v18, v2, v19
	ds_bpermute_b32 v2, v2, v1
	s_waitcnt lgkmcnt(1)
	v_add_f32_e32 v18, v19, v18
	s_waitcnt lgkmcnt(0)
	v_add_f32_e32 v1, v1, v2
	;; [unrolled: 6-line block ×5, first 2 shown]
	ds_bpermute_b32 v3, v8, v1
	ds_bpermute_b32 v4, v8, v2
	s_and_b64 exec, exec, s[0:1]
	s_cbranch_execz .LBB190_19
; %bb.18:
	s_waitcnt lgkmcnt(1)
	v_add_f32_e32 v1, v1, v3
	v_add_u32_e32 v3, 12, v0
	v_cmp_eq_u32_e32 vcc, 1, v3
	s_waitcnt lgkmcnt(0)
	v_add_f32_e32 v2, v2, v4
	v_cndmask_b32_e32 v4, v6, v7, vcc
	v_cmp_eq_u32_e32 vcc, 2, v3
	v_cndmask_b32_e32 v4, v4, v10, vcc
	v_cmp_eq_u32_e32 vcc, 3, v3
	;; [unrolled: 2-line block ×12, first 2 shown]
	s_mul_i32 s0, s2, 6
	v_cndmask_b32_e32 v2, v1, v2, vcc
	v_or_b32_e32 v0, s0, v0
	v_mov_b32_e32 v1, 0
	v_lshlrev_b64 v[0:1], 2, v[0:1]
	v_mov_b32_e32 v3, s5
	v_add_co_u32_e32 v0, vcc, s4, v0
	v_addc_co_u32_e32 v1, vcc, v3, v1, vcc
	global_store_dword v[0:1], v2, off
.LBB190_19:
	s_endpgm
	.section	.rodata,"a",@progbits
	.p2align	6, 0x0
	.amdhsa_kernel _ZL13mul_mat_vec_qIL9ggml_type22ELi7ELb0ELb0EEvPKvS2_PKi31ggml_cuda_mm_fusion_args_devicePfj15HIP_vector_typeIjLj3EEjjjS8_jjjS8_jjjj
		.amdhsa_group_segment_fixed_size 0
		.amdhsa_private_segment_fixed_size 0
		.amdhsa_kernarg_size 144
		.amdhsa_user_sgpr_count 6
		.amdhsa_user_sgpr_private_segment_buffer 1
		.amdhsa_user_sgpr_dispatch_ptr 0
		.amdhsa_user_sgpr_queue_ptr 0
		.amdhsa_user_sgpr_kernarg_segment_ptr 1
		.amdhsa_user_sgpr_dispatch_id 0
		.amdhsa_user_sgpr_flat_scratch_init 0
		.amdhsa_user_sgpr_private_segment_size 0
		.amdhsa_uses_dynamic_stack 0
		.amdhsa_system_sgpr_private_segment_wavefront_offset 0
		.amdhsa_system_sgpr_workgroup_id_x 1
		.amdhsa_system_sgpr_workgroup_id_y 1
		.amdhsa_system_sgpr_workgroup_id_z 1
		.amdhsa_system_sgpr_workgroup_info 0
		.amdhsa_system_vgpr_workitem_id 1
		.amdhsa_next_free_vgpr 69
		.amdhsa_next_free_sgpr 29
		.amdhsa_reserve_vcc 1
		.amdhsa_reserve_flat_scratch 0
		.amdhsa_float_round_mode_32 0
		.amdhsa_float_round_mode_16_64 0
		.amdhsa_float_denorm_mode_32 3
		.amdhsa_float_denorm_mode_16_64 3
		.amdhsa_dx10_clamp 1
		.amdhsa_ieee_mode 1
		.amdhsa_fp16_overflow 0
		.amdhsa_exception_fp_ieee_invalid_op 0
		.amdhsa_exception_fp_denorm_src 0
		.amdhsa_exception_fp_ieee_div_zero 0
		.amdhsa_exception_fp_ieee_overflow 0
		.amdhsa_exception_fp_ieee_underflow 0
		.amdhsa_exception_fp_ieee_inexact 0
		.amdhsa_exception_int_div_zero 0
	.end_amdhsa_kernel
	.section	.text._ZL13mul_mat_vec_qIL9ggml_type22ELi7ELb0ELb0EEvPKvS2_PKi31ggml_cuda_mm_fusion_args_devicePfj15HIP_vector_typeIjLj3EEjjjS8_jjjS8_jjjj,"axG",@progbits,_ZL13mul_mat_vec_qIL9ggml_type22ELi7ELb0ELb0EEvPKvS2_PKi31ggml_cuda_mm_fusion_args_devicePfj15HIP_vector_typeIjLj3EEjjjS8_jjjS8_jjjj,comdat
.Lfunc_end190:
	.size	_ZL13mul_mat_vec_qIL9ggml_type22ELi7ELb0ELb0EEvPKvS2_PKi31ggml_cuda_mm_fusion_args_devicePfj15HIP_vector_typeIjLj3EEjjjS8_jjjS8_jjjj, .Lfunc_end190-_ZL13mul_mat_vec_qIL9ggml_type22ELi7ELb0ELb0EEvPKvS2_PKi31ggml_cuda_mm_fusion_args_devicePfj15HIP_vector_typeIjLj3EEjjjS8_jjjS8_jjjj
                                        ; -- End function
	.set _ZL13mul_mat_vec_qIL9ggml_type22ELi7ELb0ELb0EEvPKvS2_PKi31ggml_cuda_mm_fusion_args_devicePfj15HIP_vector_typeIjLj3EEjjjS8_jjjS8_jjjj.num_vgpr, 69
	.set _ZL13mul_mat_vec_qIL9ggml_type22ELi7ELb0ELb0EEvPKvS2_PKi31ggml_cuda_mm_fusion_args_devicePfj15HIP_vector_typeIjLj3EEjjjS8_jjjS8_jjjj.num_agpr, 0
	.set _ZL13mul_mat_vec_qIL9ggml_type22ELi7ELb0ELb0EEvPKvS2_PKi31ggml_cuda_mm_fusion_args_devicePfj15HIP_vector_typeIjLj3EEjjjS8_jjjS8_jjjj.numbered_sgpr, 29
	.set _ZL13mul_mat_vec_qIL9ggml_type22ELi7ELb0ELb0EEvPKvS2_PKi31ggml_cuda_mm_fusion_args_devicePfj15HIP_vector_typeIjLj3EEjjjS8_jjjS8_jjjj.num_named_barrier, 0
	.set _ZL13mul_mat_vec_qIL9ggml_type22ELi7ELb0ELb0EEvPKvS2_PKi31ggml_cuda_mm_fusion_args_devicePfj15HIP_vector_typeIjLj3EEjjjS8_jjjS8_jjjj.private_seg_size, 0
	.set _ZL13mul_mat_vec_qIL9ggml_type22ELi7ELb0ELb0EEvPKvS2_PKi31ggml_cuda_mm_fusion_args_devicePfj15HIP_vector_typeIjLj3EEjjjS8_jjjS8_jjjj.uses_vcc, 1
	.set _ZL13mul_mat_vec_qIL9ggml_type22ELi7ELb0ELb0EEvPKvS2_PKi31ggml_cuda_mm_fusion_args_devicePfj15HIP_vector_typeIjLj3EEjjjS8_jjjS8_jjjj.uses_flat_scratch, 0
	.set _ZL13mul_mat_vec_qIL9ggml_type22ELi7ELb0ELb0EEvPKvS2_PKi31ggml_cuda_mm_fusion_args_devicePfj15HIP_vector_typeIjLj3EEjjjS8_jjjS8_jjjj.has_dyn_sized_stack, 0
	.set _ZL13mul_mat_vec_qIL9ggml_type22ELi7ELb0ELb0EEvPKvS2_PKi31ggml_cuda_mm_fusion_args_devicePfj15HIP_vector_typeIjLj3EEjjjS8_jjjS8_jjjj.has_recursion, 0
	.set _ZL13mul_mat_vec_qIL9ggml_type22ELi7ELb0ELb0EEvPKvS2_PKi31ggml_cuda_mm_fusion_args_devicePfj15HIP_vector_typeIjLj3EEjjjS8_jjjS8_jjjj.has_indirect_call, 0
	.section	.AMDGPU.csdata,"",@progbits
; Kernel info:
; codeLenInByte = 9008
; TotalNumSgprs: 33
; NumVgprs: 69
; ScratchSize: 0
; MemoryBound: 0
; FloatMode: 240
; IeeeMode: 1
; LDSByteSize: 0 bytes/workgroup (compile time only)
; SGPRBlocks: 4
; VGPRBlocks: 17
; NumSGPRsForWavesPerEU: 33
; NumVGPRsForWavesPerEU: 69
; Occupancy: 3
; WaveLimiterHint : 0
; COMPUTE_PGM_RSRC2:SCRATCH_EN: 0
; COMPUTE_PGM_RSRC2:USER_SGPR: 6
; COMPUTE_PGM_RSRC2:TRAP_HANDLER: 0
; COMPUTE_PGM_RSRC2:TGID_X_EN: 1
; COMPUTE_PGM_RSRC2:TGID_Y_EN: 1
; COMPUTE_PGM_RSRC2:TGID_Z_EN: 1
; COMPUTE_PGM_RSRC2:TIDIG_COMP_CNT: 1
	.section	.text._ZL13mul_mat_vec_qIL9ggml_type22ELi8ELb0ELb0EEvPKvS2_PKi31ggml_cuda_mm_fusion_args_devicePfj15HIP_vector_typeIjLj3EEjjjS8_jjjS8_jjjj,"axG",@progbits,_ZL13mul_mat_vec_qIL9ggml_type22ELi8ELb0ELb0EEvPKvS2_PKi31ggml_cuda_mm_fusion_args_devicePfj15HIP_vector_typeIjLj3EEjjjS8_jjjS8_jjjj,comdat
	.globl	_ZL13mul_mat_vec_qIL9ggml_type22ELi8ELb0ELb0EEvPKvS2_PKi31ggml_cuda_mm_fusion_args_devicePfj15HIP_vector_typeIjLj3EEjjjS8_jjjS8_jjjj ; -- Begin function _ZL13mul_mat_vec_qIL9ggml_type22ELi8ELb0ELb0EEvPKvS2_PKi31ggml_cuda_mm_fusion_args_devicePfj15HIP_vector_typeIjLj3EEjjjS8_jjjS8_jjjj
	.p2align	8
	.type	_ZL13mul_mat_vec_qIL9ggml_type22ELi8ELb0ELb0EEvPKvS2_PKi31ggml_cuda_mm_fusion_args_devicePfj15HIP_vector_typeIjLj3EEjjjS8_jjjS8_jjjj,@function
_ZL13mul_mat_vec_qIL9ggml_type22ELi8ELb0ELb0EEvPKvS2_PKi31ggml_cuda_mm_fusion_args_devicePfj15HIP_vector_typeIjLj3EEjjjS8_jjjS8_jjjj: ; @_ZL13mul_mat_vec_qIL9ggml_type22ELi8ELb0ELb0EEvPKvS2_PKi31ggml_cuda_mm_fusion_args_devicePfj15HIP_vector_typeIjLj3EEjjjS8_jjjS8_jjjj
; %bb.0:
	s_load_dword s9, s[4:5], 0x40
	s_load_dwordx4 s[0:3], s[4:5], 0x50
	s_load_dword s25, s[4:5], 0x60
	s_load_dwordx4 s[12:15], s[4:5], 0x68
	;; [unrolled: 2-line block ×3, first 2 shown]
	v_lshl_or_b32 v2, v1, 6, v0
	s_waitcnt lgkmcnt(0)
	s_lshr_b32 s9, s9, 8
	v_lshrrev_b32_e32 v34, 3, v2
	v_mov_b32_e32 v18, 0
	s_lshl_b32 s6, s6, 1
	v_cmp_gt_u32_e32 vcc, s9, v34
	v_mov_b32_e32 v19, v18
	v_mov_b32_e32 v20, v18
	;; [unrolled: 1-line block ×15, first 2 shown]
	s_and_saveexec_b64 s[10:11], vcc
	s_cbranch_execz .LBB191_4
; %bb.1:
	s_mul_hi_u32 s3, s3, s7
	s_add_i32 s3, s7, s3
	s_load_dwordx4 s[20:23], s[4:5], 0x0
	s_lshr_b32 s3, s3, s25
	s_mul_i32 s3, s3, s12
	s_mul_hi_u32 s12, s15, s8
	s_add_i32 s12, s8, s12
	s_lshr_b32 s12, s12, s24
	s_mul_i32 s25, s17, s8
	s_mul_i32 s15, s12, s16
	;; [unrolled: 1-line block ×3, first 2 shown]
	s_mul_hi_u32 s12, s25, 36
	s_waitcnt lgkmcnt(0)
	s_add_u32 s16, s22, s16
	s_addc_u32 s17, s23, s12
	s_mul_i32 s12, s13, s7
	s_mul_hi_u32 s13, s12, 36
	s_mul_i32 s12, s12, 36
	s_add_u32 s16, s16, s12
	s_addc_u32 s17, s17, s13
	s_add_i32 s19, s6, 1
	v_mov_b32_e32 v2, s12
	s_add_i32 s15, s15, s3
	s_mul_i32 s3, s6, s0
	s_mul_i32 s0, s0, s19
	s_movk_i32 s19, 0x120
	v_mov_b32_e32 v3, s13
	v_mad_u64_u32 v[2:3], s[12:13], v34, s19, v[2:3]
	v_and_b32_e32 v35, 7, v0
	v_mov_b32_e32 v5, s23
	v_mad_u64_u32 v[2:3], s[12:13], s25, 36, v[2:3]
	v_mad_u64_u32 v[12:13], s[16:17], v35, 36, s[16:17]
	v_mad_u64_u32 v[2:3], s[12:13], v35, 36, v[2:3]
	v_lshlrev_b32_e32 v4, 1, v35
	v_mov_b32_e32 v14, s20
	v_add_co_u32_e32 v2, vcc, s22, v2
	v_addc_co_u32_e32 v3, vcc, v5, v3, vcc
	v_add_co_u32_e32 v10, vcc, 16, v2
	v_mov_b32_e32 v36, 0
	s_add_i32 s3, s15, s3
	s_add_i32 s0, s15, s0
	v_lshlrev_b32_e32 v37, 3, v34
	s_mul_i32 s15, s1, 7
	s_mul_i32 s19, s1, 6
	;; [unrolled: 1-line block ×3, first 2 shown]
	s_lshl_b32 s25, s1, 2
	s_mul_i32 s26, s1, 3
	s_lshl_b32 s27, s1, 1
	v_addc_co_u32_e32 v11, vcc, 0, v3, vcc
	s_mov_b64 s[12:13], 0
	s_movk_i32 s22, 0x52
	v_lshlrev_b32_e32 v38, 1, v4
	s_movk_i32 s23, 0x300
	s_movk_i32 s28, 0xff00
	s_mov_b32 s29, 0xc0c0105
	v_mov_b32_e32 v39, 8
	v_mov_b32_e32 v33, 0
	;; [unrolled: 1-line block ×18, first 2 shown]
.LBB191_2:                              ; =>This Inner Loop Header: Depth=1
	v_add_u32_e32 v16, s3, v34
	v_mad_i64_i32 v[16:17], s[16:17], v16, s22, v[14:15]
	global_load_dword v52, v[10:11], off offset:16
	global_load_dwordx4 v[2:5], v[10:11], off
	global_load_dwordx4 v[6:9], v[10:11], off offset:-16
	s_getpc_b64 s[16:17]
	s_add_u32 s16, s16, _ZL9iq2s_grid@rel32@lo+4
	s_addc_u32 s17, s17, _ZL9iq2s_grid@rel32@hi+12
	v_add_co_u32_e32 v40, vcc, v16, v38
	v_addc_co_u32_e32 v41, vcc, 0, v17, vcc
	v_add_co_u32_e32 v42, vcc, v16, v35
	global_load_dword v44, v[40:41], off offset:2
	v_addc_co_u32_e32 v43, vcc, 0, v17, vcc
	global_load_ubyte v46, v[42:43], off offset:66
	global_load_dword v47, v[40:41], off offset:34
	global_load_ubyte v49, v[42:43], off offset:74
	s_waitcnt vmcnt(4)
	v_cvt_f32_f16_e32 v53, v6
	global_load_ushort v16, v[16:17], off
	s_waitcnt vmcnt(4)
	v_and_b32_e32 v6, 0xff, v44
	v_lshrrev_b32_e32 v45, 24, v44
	s_waitcnt vmcnt(3)
	v_lshlrev_b32_e32 v40, 8, v46
	v_and_or_b32 v6, v40, s23, v6
	s_waitcnt vmcnt(2)
	v_and_b32_e32 v40, 0xff, v47
	v_lshlrev_b32_e32 v41, 21, v47
	v_lshl_or_b32 v41, v40, 7, v41
	v_and_b32_e32 v42, 0x1800180, v41
	v_bfe_u32 v41, v41, 24, 1
	v_cmp_ne_u16_e32 vcc, 0, v41
	v_cmp_ne_u16_sdwa s[20:21], v42, v36 src0_sel:BYTE_1 src1_sel:DWORD
	v_lshrrev_b16_e32 v41, 7, v42
	v_lshrrev_b32_e32 v42, 2, v47
	v_bfe_i32 v43, v41, 0, 1
	v_cndmask_b32_e64 v41, 0, -1, s[20:21]
	v_cndmask_b32_e64 v51, 0, -1, vcc
	v_lshlrev_b16_e32 v50, 8, v41
	v_lshlrev_b16_e32 v51, 8, v51
	v_bfe_i32 v42, v42, 0, 1
	v_or_b32_sdwa v41, v43, v50 dst_sel:DWORD dst_unused:UNUSED_PAD src0_sel:BYTE_0 src1_sel:DWORD
	v_or_b32_sdwa v54, v42, v51 dst_sel:WORD_1 dst_unused:UNUSED_PAD src0_sel:BYTE_0 src1_sel:DWORD
	v_or_b32_sdwa v54, v41, v54 dst_sel:DWORD dst_unused:UNUSED_PAD src0_sel:WORD_0 src1_sel:DWORD
	v_lshlrev_b32_e32 v41, 17, v47
	v_lshl_or_b32 v40, v40, 3, v41
	v_and_b32_e32 v41, 0x1800180, v40
	v_bfe_u32 v40, v40, 24, 1
	v_cmp_ne_u16_e32 vcc, 0, v40
	v_cmp_ne_u16_sdwa s[20:21], v41, v36 src0_sel:BYTE_1 src1_sel:DWORD
	v_lshrrev_b16_e32 v40, 7, v41
	v_lshrrev_b32_e32 v41, 6, v47
	v_bfe_i32 v55, v40, 0, 1
	v_cndmask_b32_e64 v40, 0, -1, s[20:21]
	v_cndmask_b32_e64 v57, 0, -1, vcc
	v_lshlrev_b16_e32 v56, 8, v40
	v_lshlrev_b16_e32 v57, 8, v57
	v_bfe_i32 v58, v41, 0, 1
	v_lshlrev_b32_e32 v6, 3, v6
	v_or_b32_sdwa v40, v55, v56 dst_sel:DWORD dst_unused:UNUSED_PAD src0_sel:BYTE_0 src1_sel:DWORD
	v_or_b32_sdwa v41, v58, v57 dst_sel:WORD_1 dst_unused:UNUSED_PAD src0_sel:BYTE_0 src1_sel:DWORD
	v_or_b32_sdwa v59, v40, v41 dst_sel:DWORD dst_unused:UNUSED_PAD src0_sel:WORD_0 src1_sel:DWORD
	global_load_dwordx2 v[40:41], v6, s[16:17]
	v_lshlrev_b16_e32 v43, 8, v43
	v_lshlrev_b16_e32 v42, 8, v42
	v_lshrrev_b32_e32 v48, 16, v47
	s_waitcnt vmcnt(0)
	v_xor_b32_e32 v6, v40, v54
	v_and_b32_e32 v40, 0xffffff00, v6
	v_sub_i16 v40, v40, v50 clamp
	v_lshlrev_b16_e32 v50, 8, v6
	v_sub_i16 v43, v50, v43 clamp
	v_perm_b32 v40, v43, v40, s29
	v_and_b32_sdwa v43, v6, s28 dst_sel:DWORD dst_unused:UNUSED_PAD src0_sel:WORD_1 src1_sel:DWORD
	v_lshlrev_b16_sdwa v6, v39, v6 dst_sel:DWORD dst_unused:UNUSED_PAD src0_sel:DWORD src1_sel:WORD_1
	v_sub_i16 v43, v43, v51 clamp
	v_sub_i16 v6, v6, v42 clamp
	v_perm_b32 v6, v6, v43, s29
	v_lshl_or_b32 v6, v6, 16, v40
	v_xor_b32_e32 v40, v41, v59
	v_and_b32_e32 v41, 0xffffff00, v40
	v_lshlrev_b16_e32 v42, 8, v40
	v_lshlrev_b16_e32 v43, 8, v55
	v_sub_i16 v41, v41, v56 clamp
	v_sub_i16 v42, v42, v43 clamp
	v_perm_b32 v41, v42, v41, s29
	v_and_b32_sdwa v42, v40, s28 dst_sel:DWORD dst_unused:UNUSED_PAD src0_sel:WORD_1 src1_sel:DWORD
	v_lshlrev_b16_sdwa v40, v39, v40 dst_sel:DWORD dst_unused:UNUSED_PAD src0_sel:DWORD src1_sel:WORD_1
	v_lshlrev_b16_e32 v43, 8, v58
	v_sub_i16 v42, v42, v57 clamp
	v_sub_i16 v40, v40, v43 clamp
	v_perm_b32 v40, v40, v42, s29
	v_lshl_or_b32 v40, v40, 16, v41
	v_dot4_i32_i8 v41, v6, v7, 0
	v_dot4_i32_i8 v43, v40, v8, v41
	v_bfe_u32 v41, v44, 8, 8
	v_lshlrev_b32_e32 v42, 6, v46
	v_and_or_b32 v41, v42, s23, v41
	v_lshrrev_b32_e32 v42, 1, v47
	v_and_b32_e32 v42, 0x180, v42
	v_lshrrev_b32_e32 v50, 11, v47
	v_cmp_ne_u16_sdwa s[20:21], v42, v36 src0_sel:BYTE_1 src1_sel:DWORD
	v_lshrrev_b16_e32 v42, 7, v42
	v_lshrrev_b32_e32 v51, 10, v47
	v_bfe_i32 v54, v42, 0, 1
	v_cndmask_b32_e64 v42, 0, -1, s[20:21]
	v_bfe_i32 v50, v50, 0, 1
	v_lshlrev_b16_e32 v55, 8, v42
	v_lshlrev_b16_e32 v50, 8, v50
	v_bfe_i32 v51, v51, 0, 1
	v_or_b32_sdwa v42, v54, v55 dst_sel:DWORD dst_unused:UNUSED_PAD src0_sel:BYTE_0 src1_sel:DWORD
	v_or_b32_sdwa v56, v51, v50 dst_sel:WORD_1 dst_unused:UNUSED_PAD src0_sel:BYTE_0 src1_sel:DWORD
	v_or_b32_sdwa v56, v42, v56 dst_sel:DWORD dst_unused:UNUSED_PAD src0_sel:WORD_0 src1_sel:DWORD
	v_lshrrev_b32_e32 v42, 5, v47
	v_and_b32_e32 v42, 0x180, v42
	v_lshrrev_b32_e32 v57, 15, v47
	v_cmp_ne_u16_sdwa s[20:21], v42, v36 src0_sel:BYTE_1 src1_sel:DWORD
	v_lshrrev_b16_e32 v42, 7, v42
	v_lshrrev_b32_e32 v58, 14, v47
	v_bfe_i32 v59, v42, 0, 1
	v_cndmask_b32_e64 v42, 0, -1, s[20:21]
	v_bfe_i32 v57, v57, 0, 1
	v_lshlrev_b16_e32 v60, 8, v42
	v_lshlrev_b16_e32 v57, 8, v57
	v_bfe_i32 v58, v58, 0, 1
	v_lshlrev_b32_e32 v41, 3, v41
	v_or_b32_sdwa v42, v59, v60 dst_sel:DWORD dst_unused:UNUSED_PAD src0_sel:BYTE_0 src1_sel:DWORD
	v_or_b32_sdwa v61, v58, v57 dst_sel:WORD_1 dst_unused:UNUSED_PAD src0_sel:BYTE_0 src1_sel:DWORD
	v_or_b32_sdwa v61, v42, v61 dst_sel:DWORD dst_unused:UNUSED_PAD src0_sel:WORD_0 src1_sel:DWORD
	global_load_dwordx2 v[41:42], v41, s[16:17]
	v_lshlrev_b16_e32 v54, 8, v54
	v_lshlrev_b16_e32 v51, 8, v51
	s_waitcnt vmcnt(0)
	v_xor_b32_e32 v41, v41, v56
	v_and_b32_e32 v56, 0xffffff00, v41
	v_sub_i16 v55, v56, v55 clamp
	v_lshlrev_b16_e32 v56, 8, v41
	v_sub_i16 v54, v56, v54 clamp
	v_perm_b32 v54, v54, v55, s29
	v_and_b32_sdwa v55, v41, s28 dst_sel:DWORD dst_unused:UNUSED_PAD src0_sel:WORD_1 src1_sel:DWORD
	v_lshlrev_b16_sdwa v41, v39, v41 dst_sel:DWORD dst_unused:UNUSED_PAD src0_sel:DWORD src1_sel:WORD_1
	v_sub_i16 v50, v55, v50 clamp
	v_sub_i16 v41, v41, v51 clamp
	v_perm_b32 v41, v41, v50, s29
	v_xor_b32_e32 v42, v42, v61
	v_lshl_or_b32 v41, v41, 16, v54
	v_and_b32_e32 v50, 0xffffff00, v42
	v_lshlrev_b16_e32 v51, 8, v42
	v_lshlrev_b16_e32 v54, 8, v59
	v_sub_i16 v50, v50, v60 clamp
	v_sub_i16 v51, v51, v54 clamp
	v_perm_b32 v50, v51, v50, s29
	v_and_b32_sdwa v51, v42, s28 dst_sel:DWORD dst_unused:UNUSED_PAD src0_sel:WORD_1 src1_sel:DWORD
	v_lshlrev_b16_sdwa v42, v39, v42 dst_sel:DWORD dst_unused:UNUSED_PAD src0_sel:DWORD src1_sel:WORD_1
	v_lshlrev_b16_e32 v54, 8, v58
	v_sub_i16 v51, v51, v57 clamp
	v_sub_i16 v42, v42, v54 clamp
	v_perm_b32 v42, v42, v51, s29
	v_lshl_or_b32 v42, v42, 16, v50
	v_dot4_i32_i8 v43, v41, v9, v43
	v_dot4_i32_i8 v50, v42, v2, v43
	v_bfe_u32 v43, v44, 16, 8
	v_lshlrev_b32_e32 v44, 4, v46
	v_and_or_b32 v43, v44, s23, v43
	v_lshrrev_b32_e32 v44, 9, v47
	v_lshl_or_b32 v44, v48, 21, v44
	v_and_b32_e32 v51, 0x1800180, v44
	v_bfe_u32 v44, v44, 24, 1
	v_cmp_ne_u16_e32 vcc, 0, v44
	v_cmp_ne_u16_sdwa s[20:21], v51, v36 src0_sel:BYTE_1 src1_sel:DWORD
	v_lshrrev_b16_e32 v44, 7, v51
	v_lshrrev_b32_e32 v51, 18, v47
	v_bfe_i32 v54, v44, 0, 1
	v_cndmask_b32_e64 v44, 0, -1, s[20:21]
	v_cndmask_b32_e64 v56, 0, -1, vcc
	v_lshlrev_b16_e32 v55, 8, v44
	v_lshlrev_b16_e32 v56, 8, v56
	v_bfe_i32 v51, v51, 0, 1
	v_or_b32_sdwa v44, v54, v55 dst_sel:DWORD dst_unused:UNUSED_PAD src0_sel:BYTE_0 src1_sel:DWORD
	v_or_b32_sdwa v57, v51, v56 dst_sel:WORD_1 dst_unused:UNUSED_PAD src0_sel:BYTE_0 src1_sel:DWORD
	v_or_b32_sdwa v57, v44, v57 dst_sel:DWORD dst_unused:UNUSED_PAD src0_sel:WORD_0 src1_sel:DWORD
	v_lshrrev_b32_e32 v44, 13, v47
	v_lshl_or_b32 v44, v48, 17, v44
	v_and_b32_e32 v48, 0x1800180, v44
	v_bfe_u32 v44, v44, 24, 1
	v_cmp_ne_u16_e32 vcc, 0, v44
	v_cmp_ne_u16_sdwa s[20:21], v48, v36 src0_sel:BYTE_1 src1_sel:DWORD
	v_lshrrev_b16_e32 v44, 7, v48
	v_lshrrev_b32_e32 v48, 22, v47
	v_bfe_i32 v58, v44, 0, 1
	v_cndmask_b32_e64 v44, 0, -1, s[20:21]
	v_cndmask_b32_e64 v60, 0, -1, vcc
	v_lshlrev_b16_e32 v59, 8, v44
	v_lshlrev_b16_e32 v60, 8, v60
	v_bfe_i32 v48, v48, 0, 1
	v_lshlrev_b32_e32 v43, 3, v43
	v_or_b32_sdwa v44, v58, v59 dst_sel:DWORD dst_unused:UNUSED_PAD src0_sel:BYTE_0 src1_sel:DWORD
	v_or_b32_sdwa v61, v48, v60 dst_sel:WORD_1 dst_unused:UNUSED_PAD src0_sel:BYTE_0 src1_sel:DWORD
	v_or_b32_sdwa v61, v44, v61 dst_sel:DWORD dst_unused:UNUSED_PAD src0_sel:WORD_0 src1_sel:DWORD
	global_load_dwordx2 v[43:44], v43, s[16:17]
	v_lshlrev_b16_e32 v54, 8, v54
	v_lshlrev_b16_e32 v51, 8, v51
	;; [unrolled: 1-line block ×3, first 2 shown]
	v_lshlrev_b32_e32 v46, 2, v46
	v_and_or_b32 v45, v46, s23, v45
	v_lshrrev_b32_e32 v46, 17, v47
	v_lshlrev_b32_e32 v45, 3, v45
	s_waitcnt vmcnt(0)
	v_xor_b32_e32 v43, v43, v57
	v_and_b32_e32 v57, 0xffffff00, v43
	v_sub_i16 v55, v57, v55 clamp
	v_lshlrev_b16_e32 v57, 8, v43
	v_sub_i16 v54, v57, v54 clamp
	v_perm_b32 v54, v54, v55, s29
	v_and_b32_sdwa v55, v43, s28 dst_sel:DWORD dst_unused:UNUSED_PAD src0_sel:WORD_1 src1_sel:DWORD
	v_lshlrev_b16_sdwa v43, v39, v43 dst_sel:DWORD dst_unused:UNUSED_PAD src0_sel:DWORD src1_sel:WORD_1
	v_sub_i16 v55, v55, v56 clamp
	v_sub_i16 v43, v43, v51 clamp
	v_perm_b32 v43, v43, v55, s29
	v_xor_b32_e32 v44, v44, v61
	v_lshl_or_b32 v43, v43, 16, v54
	v_and_b32_e32 v51, 0xffffff00, v44
	v_lshlrev_b16_e32 v54, 8, v44
	v_lshlrev_b16_e32 v55, 8, v58
	v_sub_i16 v51, v51, v59 clamp
	v_sub_i16 v54, v54, v55 clamp
	v_perm_b32 v51, v54, v51, s29
	v_and_b32_sdwa v54, v44, s28 dst_sel:DWORD dst_unused:UNUSED_PAD src0_sel:WORD_1 src1_sel:DWORD
	v_lshlrev_b16_sdwa v44, v39, v44 dst_sel:DWORD dst_unused:UNUSED_PAD src0_sel:DWORD src1_sel:WORD_1
	v_sub_i16 v54, v54, v60 clamp
	v_sub_i16 v44, v44, v48 clamp
	v_perm_b32 v44, v44, v54, s29
	v_lshl_or_b32 v44, v44, 16, v51
	v_lshrrev_b32_e32 v51, 24, v47
	v_lshl_or_b32 v46, v51, 21, v46
	v_and_b32_e32 v51, 0x1800180, v46
	v_bfe_u32 v46, v46, 24, 1
	v_cmp_ne_u16_e32 vcc, 0, v46
	v_cmp_ne_u16_sdwa s[20:21], v51, v36 src0_sel:BYTE_1 src1_sel:DWORD
	v_lshrrev_b16_e32 v46, 7, v51
	v_lshrrev_b32_e32 v51, 26, v47
	v_bfe_i32 v54, v46, 0, 1
	v_cndmask_b32_e64 v46, 0, -1, s[20:21]
	v_cndmask_b32_e64 v56, 0, -1, vcc
	v_lshlrev_b16_e32 v55, 8, v46
	v_lshlrev_b16_e32 v56, 8, v56
	v_bfe_i32 v51, v51, 0, 1
	v_or_b32_sdwa v46, v54, v55 dst_sel:DWORD dst_unused:UNUSED_PAD src0_sel:BYTE_0 src1_sel:DWORD
	v_or_b32_sdwa v57, v51, v56 dst_sel:WORD_1 dst_unused:UNUSED_PAD src0_sel:BYTE_0 src1_sel:DWORD
	v_or_b32_sdwa v57, v46, v57 dst_sel:DWORD dst_unused:UNUSED_PAD src0_sel:WORD_0 src1_sel:DWORD
	v_lshrrev_b32_e32 v46, 21, v47
	v_lshrrev_b32_e32 v59, 31, v47
	v_lshrrev_b16_e32 v58, 8, v46
	v_cmp_ne_u16_e32 vcc, 0, v59
	v_lshrrev_b32_e32 v47, 30, v47
	v_lshrrev_b16_e32 v46, 7, v46
	v_bfe_i32 v58, v58, 0, 1
	v_cndmask_b32_e64 v60, 0, -1, vcc
	v_lshlrev_b16_e32 v58, 8, v58
	v_bfe_i32 v59, v46, 0, 1
	v_bfe_i32 v47, v47, 0, 1
	v_lshlrev_b16_e32 v60, 8, v60
	v_or_b32_sdwa v46, v59, v58 dst_sel:DWORD dst_unused:UNUSED_PAD src0_sel:BYTE_0 src1_sel:DWORD
	v_or_b32_sdwa v61, v47, v60 dst_sel:WORD_1 dst_unused:UNUSED_PAD src0_sel:BYTE_0 src1_sel:DWORD
	v_or_b32_sdwa v61, v46, v61 dst_sel:DWORD dst_unused:UNUSED_PAD src0_sel:WORD_0 src1_sel:DWORD
	global_load_dwordx2 v[45:46], v45, s[16:17]
	v_lshlrev_b16_e32 v54, 8, v54
	v_lshlrev_b16_e32 v51, 8, v51
	;; [unrolled: 1-line block ×3, first 2 shown]
	v_dot4_i32_i8 v48, v43, v3, 0
	v_dot4_i32_i8 v48, v44, v4, v48
	s_waitcnt vmcnt(0)
	v_xor_b32_e32 v45, v45, v57
	v_and_b32_e32 v57, 0xffffff00, v45
	v_sub_i16 v55, v57, v55 clamp
	v_lshlrev_b16_e32 v57, 8, v45
	v_sub_i16 v54, v57, v54 clamp
	v_perm_b32 v54, v54, v55, s29
	v_and_b32_sdwa v55, v45, s28 dst_sel:DWORD dst_unused:UNUSED_PAD src0_sel:WORD_1 src1_sel:DWORD
	v_lshlrev_b16_sdwa v45, v39, v45 dst_sel:DWORD dst_unused:UNUSED_PAD src0_sel:DWORD src1_sel:WORD_1
	v_sub_i16 v55, v55, v56 clamp
	v_sub_i16 v45, v45, v51 clamp
	v_perm_b32 v45, v45, v55, s29
	v_xor_b32_e32 v46, v46, v61
	v_lshl_or_b32 v45, v45, 16, v54
	v_and_b32_e32 v51, 0xffffff00, v46
	v_lshlrev_b16_e32 v54, 8, v46
	v_lshlrev_b16_e32 v55, 8, v59
	v_sub_i16 v51, v51, v58 clamp
	v_sub_i16 v54, v54, v55 clamp
	v_perm_b32 v51, v54, v51, s29
	v_and_b32_sdwa v54, v46, s28 dst_sel:DWORD dst_unused:UNUSED_PAD src0_sel:WORD_1 src1_sel:DWORD
	v_lshlrev_b16_sdwa v46, v39, v46 dst_sel:DWORD dst_unused:UNUSED_PAD src0_sel:DWORD src1_sel:WORD_1
	v_sub_i16 v54, v54, v60 clamp
	v_sub_i16 v46, v46, v47 clamp
	v_perm_b32 v46, v46, v54, s29
	v_lshl_or_b32 v46, v46, 16, v51
	v_dot4_i32_i8 v47, v45, v5, v48
	v_dot4_i32_i8 v51, v46, v52, v47
	v_lshrrev_b32_e32 v47, 4, v49
	v_and_b32_e32 v48, 15, v49
	v_mul_lo_u32 v49, v50, v48
	v_mul_lo_u32 v54, v51, v47
	v_add_u32_e32 v50, v51, v50
	v_lshrrev_b32_e32 v51, 31, v50
	v_add_u32_e32 v50, v50, v51
	v_ashrrev_i32_e32 v50, 1, v50
	v_add3_u32 v49, v54, v49, v50
	v_ashrrev_i32_e32 v50, 31, v49
	v_lshrrev_b32_e32 v50, 30, v50
	v_add_u32_e32 v49, v49, v50
	v_ashrrev_i32_e32 v50, 2, v49
	v_cvt_f32_f16_e32 v49, v16
	v_cvt_f32_i32_e32 v17, v50
	v_mul_f32_e32 v16, v49, v53
	v_fmac_f32_e32 v33, v16, v17
	v_add_u32_e32 v16, s0, v34
	v_mad_i64_i32 v[16:17], s[20:21], v16, s22, v[14:15]
	v_add_u32_e32 v34, 8, v34
	v_add_co_u32_e32 v50, vcc, v16, v38
	v_addc_co_u32_e32 v51, vcc, 0, v17, vcc
	v_add_co_u32_e32 v54, vcc, v16, v35
	global_load_dword v56, v[50:51], off offset:2
	v_addc_co_u32_e32 v55, vcc, 0, v17, vcc
	global_load_ubyte v58, v[54:55], off offset:66
	global_load_dword v59, v[50:51], off offset:34
	global_load_ubyte v61, v[54:55], off offset:74
	s_waitcnt vmcnt(3)
	v_and_b32_e32 v50, 0xff, v56
	global_load_ushort v16, v[16:17], off
	s_waitcnt vmcnt(3)
	v_lshlrev_b32_e32 v51, 8, v58
	v_and_or_b32 v50, v51, s23, v50
	s_waitcnt vmcnt(2)
	v_and_b32_e32 v51, 0xff, v59
	v_lshlrev_b32_e32 v54, 21, v59
	v_lshl_or_b32 v54, v51, 7, v54
	v_and_b32_e32 v55, 0x1800180, v54
	v_bfe_u32 v54, v54, 24, 1
	v_cmp_ne_u16_e32 vcc, 0, v54
	v_cmp_ne_u16_sdwa s[20:21], v55, v36 src0_sel:BYTE_1 src1_sel:DWORD
	v_lshrrev_b16_e32 v54, 7, v55
	v_lshrrev_b32_e32 v55, 2, v59
	v_cndmask_b32_e64 v62, 0, -1, s[20:21]
	v_cndmask_b32_e64 v64, 0, -1, vcc
	v_bfe_i32 v54, v54, 0, 1
	v_lshlrev_b16_e32 v62, 8, v62
	v_lshlrev_b16_e32 v64, 8, v64
	v_bfe_i32 v55, v55, 0, 1
	v_or_b32_sdwa v63, v54, v62 dst_sel:DWORD dst_unused:UNUSED_PAD src0_sel:BYTE_0 src1_sel:DWORD
	v_or_b32_sdwa v65, v55, v64 dst_sel:WORD_1 dst_unused:UNUSED_PAD src0_sel:BYTE_0 src1_sel:DWORD
	v_or_b32_sdwa v63, v63, v65 dst_sel:DWORD dst_unused:UNUSED_PAD src0_sel:WORD_0 src1_sel:DWORD
	v_lshlrev_b32_e32 v65, 17, v59
	v_lshl_or_b32 v51, v51, 3, v65
	v_and_b32_e32 v65, 0x1800180, v51
	v_bfe_u32 v51, v51, 24, 1
	v_cmp_ne_u16_e32 vcc, 0, v51
	v_cmp_ne_u16_sdwa s[20:21], v65, v36 src0_sel:BYTE_1 src1_sel:DWORD
	v_lshrrev_b16_e32 v51, 7, v65
	v_lshrrev_b32_e32 v65, 6, v59
	v_bfe_i32 v66, v51, 0, 1
	v_cndmask_b32_e64 v51, 0, -1, s[20:21]
	v_cndmask_b32_e64 v68, 0, -1, vcc
	v_lshlrev_b16_e32 v67, 8, v51
	v_lshlrev_b16_e32 v68, 8, v68
	v_bfe_i32 v65, v65, 0, 1
	v_lshlrev_b32_e32 v50, 3, v50
	v_or_b32_sdwa v51, v66, v67 dst_sel:DWORD dst_unused:UNUSED_PAD src0_sel:BYTE_0 src1_sel:DWORD
	v_or_b32_sdwa v69, v65, v68 dst_sel:WORD_1 dst_unused:UNUSED_PAD src0_sel:BYTE_0 src1_sel:DWORD
	v_or_b32_sdwa v69, v51, v69 dst_sel:DWORD dst_unused:UNUSED_PAD src0_sel:WORD_0 src1_sel:DWORD
	global_load_dwordx2 v[50:51], v50, s[16:17]
	v_lshlrev_b16_e32 v54, 8, v54
	v_lshlrev_b16_e32 v55, 8, v55
	v_lshrrev_b32_e32 v60, 16, v59
	v_lshrrev_b32_e32 v57, 24, v56
	s_waitcnt vmcnt(1)
	v_cvt_f32_f16_e32 v16, v16
	v_mul_f32_e32 v17, v16, v53
	s_waitcnt vmcnt(0)
	v_xor_b32_e32 v50, v50, v63
	v_and_b32_e32 v63, 0xffffff00, v50
	v_sub_i16 v62, v63, v62 clamp
	v_lshlrev_b16_e32 v63, 8, v50
	v_sub_i16 v54, v63, v54 clamp
	v_perm_b32 v54, v54, v62, s29
	v_and_b32_sdwa v62, v50, s28 dst_sel:DWORD dst_unused:UNUSED_PAD src0_sel:WORD_1 src1_sel:DWORD
	v_lshlrev_b16_sdwa v50, v39, v50 dst_sel:DWORD dst_unused:UNUSED_PAD src0_sel:DWORD src1_sel:WORD_1
	v_sub_i16 v62, v62, v64 clamp
	v_sub_i16 v50, v50, v55 clamp
	v_perm_b32 v50, v50, v62, s29
	v_xor_b32_e32 v51, v51, v69
	v_lshl_or_b32 v50, v50, 16, v54
	v_and_b32_e32 v54, 0xffffff00, v51
	v_lshlrev_b16_e32 v55, 8, v51
	v_lshlrev_b16_e32 v62, 8, v66
	v_sub_i16 v54, v54, v67 clamp
	v_sub_i16 v55, v55, v62 clamp
	v_perm_b32 v54, v55, v54, s29
	v_and_b32_sdwa v55, v51, s28 dst_sel:DWORD dst_unused:UNUSED_PAD src0_sel:WORD_1 src1_sel:DWORD
	v_lshlrev_b16_sdwa v51, v39, v51 dst_sel:DWORD dst_unused:UNUSED_PAD src0_sel:DWORD src1_sel:WORD_1
	v_lshlrev_b16_e32 v62, 8, v65
	v_sub_i16 v55, v55, v68 clamp
	v_sub_i16 v51, v51, v62 clamp
	v_perm_b32 v51, v51, v55, s29
	v_lshl_or_b32 v51, v51, 16, v54
	v_dot4_i32_i8 v7, v50, v7, 0
	v_dot4_i32_i8 v54, v51, v8, v7
	v_bfe_u32 v7, v56, 8, 8
	v_lshlrev_b32_e32 v8, 6, v58
	v_and_or_b32 v7, v8, s23, v7
	v_lshrrev_b32_e32 v8, 1, v59
	v_and_b32_e32 v8, 0x180, v8
	v_lshrrev_b32_e32 v55, 11, v59
	v_cmp_ne_u16_sdwa s[20:21], v8, v36 src0_sel:BYTE_1 src1_sel:DWORD
	v_lshrrev_b16_e32 v8, 7, v8
	v_lshrrev_b32_e32 v62, 10, v59
	v_bfe_i32 v63, v8, 0, 1
	v_cndmask_b32_e64 v8, 0, -1, s[20:21]
	v_bfe_i32 v55, v55, 0, 1
	v_lshlrev_b16_e32 v64, 8, v8
	v_lshlrev_b16_e32 v55, 8, v55
	v_bfe_i32 v62, v62, 0, 1
	v_or_b32_sdwa v8, v63, v64 dst_sel:DWORD dst_unused:UNUSED_PAD src0_sel:BYTE_0 src1_sel:DWORD
	v_or_b32_sdwa v65, v62, v55 dst_sel:WORD_1 dst_unused:UNUSED_PAD src0_sel:BYTE_0 src1_sel:DWORD
	v_or_b32_sdwa v65, v8, v65 dst_sel:DWORD dst_unused:UNUSED_PAD src0_sel:WORD_0 src1_sel:DWORD
	v_lshrrev_b32_e32 v8, 5, v59
	v_and_b32_e32 v8, 0x180, v8
	v_lshrrev_b32_e32 v66, 15, v59
	v_cmp_ne_u16_sdwa s[20:21], v8, v36 src0_sel:BYTE_1 src1_sel:DWORD
	v_lshrrev_b16_e32 v8, 7, v8
	v_lshrrev_b32_e32 v67, 14, v59
	v_bfe_i32 v68, v8, 0, 1
	v_cndmask_b32_e64 v8, 0, -1, s[20:21]
	v_bfe_i32 v66, v66, 0, 1
	v_lshlrev_b16_e32 v69, 8, v8
	v_lshlrev_b16_e32 v66, 8, v66
	v_bfe_i32 v67, v67, 0, 1
	v_lshlrev_b32_e32 v7, 3, v7
	v_or_b32_sdwa v8, v68, v69 dst_sel:DWORD dst_unused:UNUSED_PAD src0_sel:BYTE_0 src1_sel:DWORD
	v_or_b32_sdwa v70, v67, v66 dst_sel:WORD_1 dst_unused:UNUSED_PAD src0_sel:BYTE_0 src1_sel:DWORD
	v_or_b32_sdwa v70, v8, v70 dst_sel:DWORD dst_unused:UNUSED_PAD src0_sel:WORD_0 src1_sel:DWORD
	global_load_dwordx2 v[7:8], v7, s[16:17]
	v_lshlrev_b16_e32 v63, 8, v63
	v_lshlrev_b16_e32 v62, 8, v62
	s_waitcnt vmcnt(0)
	v_xor_b32_e32 v7, v7, v65
	v_and_b32_e32 v65, 0xffffff00, v7
	v_sub_i16 v64, v65, v64 clamp
	v_lshlrev_b16_e32 v65, 8, v7
	v_sub_i16 v63, v65, v63 clamp
	v_perm_b32 v63, v63, v64, s29
	v_and_b32_sdwa v64, v7, s28 dst_sel:DWORD dst_unused:UNUSED_PAD src0_sel:WORD_1 src1_sel:DWORD
	v_lshlrev_b16_sdwa v7, v39, v7 dst_sel:DWORD dst_unused:UNUSED_PAD src0_sel:DWORD src1_sel:WORD_1
	v_sub_i16 v55, v64, v55 clamp
	v_sub_i16 v7, v7, v62 clamp
	v_perm_b32 v7, v7, v55, s29
	v_xor_b32_e32 v8, v8, v70
	v_lshl_or_b32 v7, v7, 16, v63
	v_and_b32_e32 v55, 0xffffff00, v8
	v_lshlrev_b16_e32 v62, 8, v8
	v_lshlrev_b16_e32 v63, 8, v68
	v_sub_i16 v55, v55, v69 clamp
	v_sub_i16 v62, v62, v63 clamp
	v_perm_b32 v55, v62, v55, s29
	v_and_b32_sdwa v62, v8, s28 dst_sel:DWORD dst_unused:UNUSED_PAD src0_sel:WORD_1 src1_sel:DWORD
	v_lshlrev_b16_sdwa v8, v39, v8 dst_sel:DWORD dst_unused:UNUSED_PAD src0_sel:DWORD src1_sel:WORD_1
	v_lshlrev_b16_e32 v63, 8, v67
	v_sub_i16 v62, v62, v66 clamp
	v_sub_i16 v8, v8, v63 clamp
	v_perm_b32 v8, v8, v62, s29
	v_lshl_or_b32 v8, v8, 16, v55
	v_dot4_i32_i8 v9, v7, v9, v54
	v_dot4_i32_i8 v62, v8, v2, v9
	v_bfe_u32 v2, v56, 16, 8
	v_lshlrev_b32_e32 v9, 4, v58
	v_and_or_b32 v2, v9, s23, v2
	v_lshrrev_b32_e32 v9, 9, v59
	v_lshl_or_b32 v9, v60, 21, v9
	v_and_b32_e32 v54, 0x1800180, v9
	v_bfe_u32 v9, v9, 24, 1
	v_cmp_ne_u16_e32 vcc, 0, v9
	v_cmp_ne_u16_sdwa s[20:21], v54, v36 src0_sel:BYTE_1 src1_sel:DWORD
	v_lshrrev_b16_e32 v9, 7, v54
	v_lshrrev_b32_e32 v54, 18, v59
	v_cndmask_b32_e64 v55, 0, -1, s[20:21]
	v_cndmask_b32_e64 v63, 0, -1, vcc
	v_bfe_i32 v9, v9, 0, 1
	v_lshlrev_b16_e32 v56, 8, v55
	v_lshlrev_b16_e32 v63, 8, v63
	v_bfe_i32 v64, v54, 0, 1
	v_or_b32_sdwa v55, v9, v56 dst_sel:DWORD dst_unused:UNUSED_PAD src0_sel:BYTE_0 src1_sel:DWORD
	v_or_b32_sdwa v54, v64, v63 dst_sel:WORD_1 dst_unused:UNUSED_PAD src0_sel:BYTE_0 src1_sel:DWORD
	v_or_b32_sdwa v65, v55, v54 dst_sel:DWORD dst_unused:UNUSED_PAD src0_sel:WORD_0 src1_sel:DWORD
	v_lshrrev_b32_e32 v54, 13, v59
	v_lshl_or_b32 v54, v60, 17, v54
	v_and_b32_e32 v55, 0x1800180, v54
	v_bfe_u32 v54, v54, 24, 1
	v_cmp_ne_u16_e32 vcc, 0, v54
	v_cmp_ne_u16_sdwa s[20:21], v55, v36 src0_sel:BYTE_1 src1_sel:DWORD
	v_lshrrev_b16_e32 v54, 7, v55
	v_lshrrev_b32_e32 v55, 22, v59
	v_bfe_i32 v60, v54, 0, 1
	v_cndmask_b32_e64 v54, 0, -1, s[20:21]
	v_cndmask_b32_e64 v67, 0, -1, vcc
	v_lshlrev_b16_e32 v66, 8, v54
	v_lshlrev_b16_e32 v67, 8, v67
	v_bfe_i32 v68, v55, 0, 1
	v_lshlrev_b32_e32 v2, 3, v2
	v_or_b32_sdwa v54, v60, v66 dst_sel:DWORD dst_unused:UNUSED_PAD src0_sel:BYTE_0 src1_sel:DWORD
	v_or_b32_sdwa v55, v68, v67 dst_sel:WORD_1 dst_unused:UNUSED_PAD src0_sel:BYTE_0 src1_sel:DWORD
	v_or_b32_sdwa v69, v54, v55 dst_sel:DWORD dst_unused:UNUSED_PAD src0_sel:WORD_0 src1_sel:DWORD
	global_load_dwordx2 v[54:55], v2, s[16:17]
	v_lshlrev_b16_e32 v9, 8, v9
	s_waitcnt vmcnt(0)
	v_xor_b32_e32 v2, v54, v65
	v_and_b32_e32 v54, 0xffffff00, v2
	v_sub_i16 v54, v54, v56 clamp
	v_lshlrev_b16_e32 v56, 8, v2
	v_sub_i16 v9, v56, v9 clamp
	v_perm_b32 v9, v9, v54, s29
	v_and_b32_sdwa v54, v2, s28 dst_sel:DWORD dst_unused:UNUSED_PAD src0_sel:WORD_1 src1_sel:DWORD
	v_lshlrev_b16_sdwa v2, v39, v2 dst_sel:DWORD dst_unused:UNUSED_PAD src0_sel:DWORD src1_sel:WORD_1
	v_lshlrev_b16_e32 v56, 8, v64
	v_sub_i16 v54, v54, v63 clamp
	v_sub_i16 v2, v2, v56 clamp
	v_perm_b32 v2, v2, v54, s29
	v_lshl_or_b32 v2, v2, 16, v9
	v_xor_b32_e32 v9, v55, v69
	v_and_b32_e32 v54, 0xffffff00, v9
	v_lshlrev_b16_e32 v55, 8, v9
	v_lshlrev_b16_e32 v56, 8, v60
	v_sub_i16 v54, v54, v66 clamp
	v_sub_i16 v55, v55, v56 clamp
	v_perm_b32 v54, v55, v54, s29
	v_and_b32_sdwa v55, v9, s28 dst_sel:DWORD dst_unused:UNUSED_PAD src0_sel:WORD_1 src1_sel:DWORD
	v_lshlrev_b16_sdwa v9, v39, v9 dst_sel:DWORD dst_unused:UNUSED_PAD src0_sel:DWORD src1_sel:WORD_1
	v_lshlrev_b16_e32 v56, 8, v68
	v_sub_i16 v55, v55, v67 clamp
	v_sub_i16 v9, v9, v56 clamp
	v_perm_b32 v9, v9, v55, s29
	v_lshl_or_b32 v9, v9, 16, v54
	v_dot4_i32_i8 v3, v2, v3, 0
	v_dot4_i32_i8 v54, v9, v4, v3
	v_lshrrev_b32_e32 v4, 17, v59
	v_lshrrev_b32_e32 v55, 24, v59
	v_lshl_or_b32 v4, v55, 21, v4
	v_and_b32_e32 v55, 0x1800180, v4
	v_bfe_u32 v4, v4, 24, 1
	v_cmp_ne_u16_e32 vcc, 0, v4
	v_cmp_ne_u16_sdwa s[20:21], v55, v36 src0_sel:BYTE_1 src1_sel:DWORD
	v_lshrrev_b16_e32 v4, 7, v55
	v_lshlrev_b32_e32 v3, 2, v58
	v_lshrrev_b32_e32 v55, 26, v59
	v_bfe_i32 v56, v4, 0, 1
	v_cndmask_b32_e64 v4, 0, -1, s[20:21]
	v_cndmask_b32_e64 v58, 0, -1, vcc
	v_and_or_b32 v3, v3, s23, v57
	v_lshlrev_b16_e32 v57, 8, v4
	v_lshlrev_b16_e32 v58, 8, v58
	v_bfe_i32 v55, v55, 0, 1
	v_or_b32_sdwa v4, v56, v57 dst_sel:DWORD dst_unused:UNUSED_PAD src0_sel:BYTE_0 src1_sel:DWORD
	v_or_b32_sdwa v60, v55, v58 dst_sel:WORD_1 dst_unused:UNUSED_PAD src0_sel:BYTE_0 src1_sel:DWORD
	v_or_b32_sdwa v60, v4, v60 dst_sel:DWORD dst_unused:UNUSED_PAD src0_sel:WORD_0 src1_sel:DWORD
	v_lshrrev_b32_e32 v4, 21, v59
	v_lshrrev_b32_e32 v64, 31, v59
	v_lshrrev_b16_e32 v63, 8, v4
	v_cmp_ne_u16_e32 vcc, 0, v64
	v_lshrrev_b32_e32 v59, 30, v59
	v_lshrrev_b16_e32 v4, 7, v4
	v_bfe_i32 v63, v63, 0, 1
	v_cndmask_b32_e64 v65, 0, -1, vcc
	v_lshlrev_b16_e32 v63, 8, v63
	v_bfe_i32 v64, v4, 0, 1
	v_bfe_i32 v59, v59, 0, 1
	v_lshlrev_b16_e32 v65, 8, v65
	v_lshlrev_b32_e32 v3, 3, v3
	v_or_b32_sdwa v4, v64, v63 dst_sel:DWORD dst_unused:UNUSED_PAD src0_sel:BYTE_0 src1_sel:DWORD
	v_or_b32_sdwa v66, v59, v65 dst_sel:WORD_1 dst_unused:UNUSED_PAD src0_sel:BYTE_0 src1_sel:DWORD
	v_or_b32_sdwa v66, v4, v66 dst_sel:DWORD dst_unused:UNUSED_PAD src0_sel:WORD_0 src1_sel:DWORD
	global_load_dwordx2 v[3:4], v3, s[16:17]
	v_lshlrev_b16_e32 v56, 8, v56
	v_lshlrev_b16_e32 v55, 8, v55
	v_add_co_u32_e32 v10, vcc, 0x900, v10
	v_addc_co_u32_e32 v11, vcc, 0, v11, vcc
	v_cmp_le_u32_e32 vcc, s9, v34
	s_or_b64 s[12:13], vcc, s[12:13]
	s_waitcnt vmcnt(0)
	v_xor_b32_e32 v3, v3, v60
	v_and_b32_e32 v60, 0xffffff00, v3
	v_sub_i16 v57, v60, v57 clamp
	v_lshlrev_b16_e32 v60, 8, v3
	v_sub_i16 v56, v60, v56 clamp
	v_perm_b32 v56, v56, v57, s29
	v_and_b32_sdwa v57, v3, s28 dst_sel:DWORD dst_unused:UNUSED_PAD src0_sel:WORD_1 src1_sel:DWORD
	v_lshlrev_b16_sdwa v3, v39, v3 dst_sel:DWORD dst_unused:UNUSED_PAD src0_sel:DWORD src1_sel:WORD_1
	v_sub_i16 v57, v57, v58 clamp
	v_sub_i16 v3, v3, v55 clamp
	v_perm_b32 v3, v3, v57, s29
	v_xor_b32_e32 v4, v4, v66
	v_lshl_or_b32 v3, v3, 16, v56
	v_and_b32_e32 v55, 0xffffff00, v4
	v_lshlrev_b16_e32 v56, 8, v4
	v_lshlrev_b16_e32 v57, 8, v64
	v_sub_i16 v55, v55, v63 clamp
	v_sub_i16 v56, v56, v57 clamp
	v_perm_b32 v55, v56, v55, s29
	v_and_b32_sdwa v56, v4, s28 dst_sel:DWORD dst_unused:UNUSED_PAD src0_sel:WORD_1 src1_sel:DWORD
	v_lshlrev_b16_sdwa v4, v39, v4 dst_sel:DWORD dst_unused:UNUSED_PAD src0_sel:DWORD src1_sel:WORD_1
	v_lshlrev_b16_e32 v57, 8, v59
	v_sub_i16 v56, v56, v65 clamp
	v_sub_i16 v4, v4, v57 clamp
	v_perm_b32 v4, v4, v56, s29
	v_lshl_or_b32 v4, v4, 16, v55
	v_dot4_i32_i8 v5, v3, v5, v54
	v_dot4_i32_i8 v54, v4, v52, v5
	v_lshrrev_b32_e32 v5, 4, v61
	v_and_b32_e32 v52, 15, v61
	v_mul_lo_u32 v55, v62, v52
	v_mul_lo_u32 v56, v54, v5
	v_add_u32_e32 v54, v54, v62
	v_lshrrev_b32_e32 v57, 31, v54
	v_add_u32_e32 v54, v54, v57
	v_ashrrev_i32_e32 v54, 1, v54
	v_add3_u32 v54, v56, v55, v54
	v_ashrrev_i32_e32 v55, 31, v54
	v_lshrrev_b32_e32 v55, 30, v55
	v_add_u32_e32 v54, v54, v55
	v_ashrrev_i32_e32 v54, 2, v54
	v_cvt_f32_i32_e32 v53, v54
	v_fmac_f32_e32 v32, v17, v53
	v_add_u32_e32 v17, s1, v37
	v_mad_u64_u32 v[61:62], s[16:17], v17, 36, v[12:13]
	global_load_dword v17, v[61:62], off offset:32
	global_load_dwordx4 v[53:56], v[61:62], off offset:16
	global_load_dwordx4 v[57:60], v[61:62], off
	s_waitcnt vmcnt(1)
	v_dot4_i32_i8 v62, v43, v54, 0
	s_waitcnt vmcnt(0)
	v_dot4_i32_i8 v61, v6, v58, 0
	v_dot4_i32_i8 v58, v50, v58, 0
	v_dot4_i32_i8 v54, v2, v54, 0
	v_dot4_i32_i8 v61, v40, v59, v61
	v_dot4_i32_i8 v62, v44, v55, v62
	v_dot4_i32_i8 v58, v51, v59, v58
	v_dot4_i32_i8 v54, v9, v55, v54
	v_dot4_i32_i8 v61, v41, v60, v61
	v_dot4_i32_i8 v62, v45, v56, v62
	v_dot4_i32_i8 v58, v7, v60, v58
	v_dot4_i32_i8 v54, v3, v56, v54
	v_dot4_i32_i8 v61, v42, v53, v61
	v_dot4_i32_i8 v62, v46, v17, v62
	v_dot4_i32_i8 v53, v8, v53, v58
	v_dot4_i32_i8 v17, v4, v17, v54
	v_mul_lo_u32 v54, v53, v52
	v_mul_lo_u32 v55, v17, v5
	v_add_u32_e32 v17, v17, v53
	v_mul_lo_u32 v63, v61, v48
	v_mul_lo_u32 v64, v62, v47
	v_add_u32_e32 v61, v62, v61
	v_lshrrev_b32_e32 v53, 31, v17
	v_lshrrev_b32_e32 v62, 31, v61
	v_add_u32_e32 v17, v17, v53
	v_add_u32_e32 v61, v61, v62
	v_ashrrev_i32_e32 v17, 1, v17
	v_ashrrev_i32_e32 v61, 1, v61
	v_add3_u32 v17, v55, v54, v17
	v_add3_u32 v61, v64, v63, v61
	v_ashrrev_i32_e32 v53, 31, v17
	v_ashrrev_i32_e32 v62, 31, v61
	v_lshrrev_b32_e32 v53, 30, v53
	v_lshrrev_b32_e32 v62, 30, v62
	v_add_u32_e32 v17, v17, v53
	v_cvt_f32_f16_e32 v57, v57
	v_add_u32_e32 v61, v61, v62
	v_ashrrev_i32_e32 v17, 2, v17
	v_ashrrev_i32_e32 v61, 2, v61
	v_cvt_f32_i32_e32 v17, v17
	v_cvt_f32_i32_e32 v61, v61
	v_mul_f32_e32 v53, v16, v57
	v_mul_f32_e32 v62, v49, v57
	v_fmac_f32_e32 v30, v53, v17
	v_add_u32_e32 v17, s27, v37
	v_fmac_f32_e32 v31, v62, v61
	v_mad_u64_u32 v[61:62], s[16:17], v17, 36, v[12:13]
	global_load_dword v17, v[61:62], off offset:32
	global_load_dwordx4 v[53:56], v[61:62], off offset:16
	global_load_dwordx4 v[57:60], v[61:62], off
	s_waitcnt vmcnt(1)
	v_dot4_i32_i8 v62, v43, v54, 0
	s_waitcnt vmcnt(0)
	v_dot4_i32_i8 v61, v6, v58, 0
	v_dot4_i32_i8 v58, v50, v58, 0
	v_dot4_i32_i8 v54, v2, v54, 0
	v_dot4_i32_i8 v61, v40, v59, v61
	v_dot4_i32_i8 v62, v44, v55, v62
	v_dot4_i32_i8 v58, v51, v59, v58
	v_dot4_i32_i8 v54, v9, v55, v54
	v_dot4_i32_i8 v61, v41, v60, v61
	v_dot4_i32_i8 v62, v45, v56, v62
	v_dot4_i32_i8 v58, v7, v60, v58
	v_dot4_i32_i8 v54, v3, v56, v54
	v_dot4_i32_i8 v61, v42, v53, v61
	v_dot4_i32_i8 v62, v46, v17, v62
	v_dot4_i32_i8 v53, v8, v53, v58
	v_dot4_i32_i8 v17, v4, v17, v54
	v_mul_lo_u32 v54, v53, v52
	v_mul_lo_u32 v55, v17, v5
	v_add_u32_e32 v17, v17, v53
	v_mul_lo_u32 v63, v61, v48
	v_mul_lo_u32 v64, v62, v47
	v_add_u32_e32 v61, v62, v61
	v_lshrrev_b32_e32 v53, 31, v17
	v_lshrrev_b32_e32 v62, 31, v61
	v_add_u32_e32 v17, v17, v53
	v_add_u32_e32 v61, v61, v62
	v_ashrrev_i32_e32 v17, 1, v17
	v_ashrrev_i32_e32 v61, 1, v61
	v_add3_u32 v17, v55, v54, v17
	v_add3_u32 v61, v64, v63, v61
	v_ashrrev_i32_e32 v53, 31, v17
	v_ashrrev_i32_e32 v62, 31, v61
	v_lshrrev_b32_e32 v53, 30, v53
	v_lshrrev_b32_e32 v62, 30, v62
	v_add_u32_e32 v17, v17, v53
	v_cvt_f32_f16_e32 v57, v57
	v_add_u32_e32 v61, v61, v62
	v_ashrrev_i32_e32 v17, 2, v17
	v_ashrrev_i32_e32 v61, 2, v61
	v_cvt_f32_i32_e32 v17, v17
	v_cvt_f32_i32_e32 v61, v61
	v_mul_f32_e32 v53, v16, v57
	v_mul_f32_e32 v62, v49, v57
	v_fmac_f32_e32 v28, v53, v17
	v_add_u32_e32 v17, s26, v37
	v_fmac_f32_e32 v29, v62, v61
	;; [unrolled: 52-line block ×6, first 2 shown]
	v_mad_u64_u32 v[61:62], s[16:17], v17, 36, v[12:13]
	global_load_dword v63, v[61:62], off offset:32
	global_load_dwordx4 v[53:56], v[61:62], off offset:16
	global_load_dwordx4 v[57:60], v[61:62], off
	v_add_u32_e32 v37, 64, v37
	s_waitcnt vmcnt(1)
	v_dot4_i32_i8 v2, v2, v54, 0
	s_waitcnt vmcnt(0)
	v_dot4_i32_i8 v6, v6, v58, 0
	v_dot4_i32_i8 v6, v40, v59, v6
	;; [unrolled: 1-line block ×8, first 2 shown]
	v_mul_lo_u32 v41, v6, v48
	v_mul_lo_u32 v42, v40, v47
	v_add_u32_e32 v6, v40, v6
	v_lshrrev_b32_e32 v40, 31, v6
	v_add_u32_e32 v6, v6, v40
	v_ashrrev_i32_e32 v6, 1, v6
	v_add3_u32 v6, v42, v41, v6
	v_ashrrev_i32_e32 v40, 31, v6
	v_lshrrev_b32_e32 v40, 30, v40
	v_add_u32_e32 v6, v6, v40
	v_cvt_f32_f16_e32 v17, v57
	v_ashrrev_i32_e32 v6, 2, v6
	v_cvt_f32_i32_e32 v6, v6
	v_dot4_i32_i8 v2, v9, v55, v2
	v_mul_f32_e32 v40, v49, v17
	v_dot4_i32_i8 v2, v3, v56, v2
	v_fmac_f32_e32 v19, v40, v6
	v_dot4_i32_i8 v6, v50, v58, 0
	v_dot4_i32_i8 v6, v51, v59, v6
	;; [unrolled: 1-line block ×5, first 2 shown]
	v_mul_lo_u32 v3, v6, v52
	v_mul_lo_u32 v4, v2, v5
	v_add_u32_e32 v2, v2, v6
	v_lshrrev_b32_e32 v5, 31, v2
	v_add_u32_e32 v2, v2, v5
	v_ashrrev_i32_e32 v2, 1, v2
	v_add3_u32 v2, v4, v3, v2
	v_ashrrev_i32_e32 v3, 31, v2
	v_lshrrev_b32_e32 v3, 30, v3
	v_add_u32_e32 v2, v2, v3
	v_ashrrev_i32_e32 v2, 2, v2
	v_cvt_f32_i32_e32 v2, v2
	v_mul_f32_e32 v3, v16, v17
	v_fmac_f32_e32 v18, v3, v2
	s_andn2_b64 exec, exec, s[12:13]
	s_cbranch_execnz .LBB191_2
; %bb.3:
	s_or_b64 exec, exec, s[12:13]
.LBB191_4:
	s_or_b64 exec, exec, s[10:11]
	s_mov_b32 s1, 0
	v_cmp_eq_u32_e32 vcc, 0, v1
	; wave barrier
	s_and_saveexec_b64 s[10:11], vcc
	s_cbranch_execz .LBB191_21
; %bb.5:
	v_mbcnt_lo_u32_b32 v1, -1, 0
	v_mbcnt_hi_u32_b32 v6, -1, v1
	v_and_b32_e32 v1, 64, v6
	v_add_u32_e32 v7, 64, v1
	v_xor_b32_e32 v1, 32, v6
	v_cmp_lt_i32_e32 vcc, v1, v7
	v_cndmask_b32_e32 v1, v6, v1, vcc
	v_lshlrev_b32_e32 v1, 2, v1
	ds_bpermute_b32 v5, v1, v33
	ds_bpermute_b32 v8, v1, v32
	v_xor_b32_e32 v2, 16, v6
	v_cmp_lt_i32_e32 vcc, v2, v7
	v_cndmask_b32_e32 v2, v6, v2, vcc
	v_lshlrev_b32_e32 v2, 2, v2
	s_waitcnt lgkmcnt(1)
	v_add_f32_e32 v5, v33, v5
	s_waitcnt lgkmcnt(0)
	v_add_f32_e32 v8, v32, v8
	ds_bpermute_b32 v10, v2, v5
	ds_bpermute_b32 v11, v2, v8
	v_xor_b32_e32 v3, 8, v6
	v_cmp_lt_i32_e32 vcc, v3, v7
	v_cndmask_b32_e32 v3, v6, v3, vcc
	v_lshlrev_b32_e32 v3, 2, v3
	s_waitcnt lgkmcnt(1)
	v_add_f32_e32 v10, v5, v10
	s_waitcnt lgkmcnt(0)
	v_add_f32_e32 v8, v8, v11
	;; [unrolled: 10-line block ×3, first 2 shown]
	ds_bpermute_b32 v12, v4, v10
	ds_bpermute_b32 v11, v4, v8
	v_xor_b32_e32 v9, 2, v6
	v_cmp_lt_i32_e32 vcc, v9, v7
	v_cndmask_b32_e32 v9, v6, v9, vcc
	v_lshlrev_b32_e32 v5, 2, v9
	v_xor_b32_e32 v9, 1, v6
	v_cmp_lt_i32_e32 vcc, v9, v7
	s_waitcnt lgkmcnt(1)
	v_add_f32_e32 v7, v10, v12
	s_waitcnt lgkmcnt(0)
	v_add_f32_e32 v10, v8, v11
	v_cndmask_b32_e32 v6, v6, v9, vcc
	ds_bpermute_b32 v9, v5, v7
	ds_bpermute_b32 v11, v5, v10
	s_load_dwordx2 s[4:5], s[4:5], 0x38
	s_mul_i32 s3, s14, s7
	v_lshlrev_b32_e32 v8, 2, v6
	s_waitcnt lgkmcnt(0)
	v_add_f32_e32 v6, v7, v9
	v_add_f32_e32 v9, v10, v11
	s_mul_i32 s0, s18, s8
	s_add_i32 s3, s3, s6
	ds_bpermute_b32 v7, v8, v6
	ds_bpermute_b32 v10, v8, v9
	s_add_i32 s0, s3, s0
	s_lshl_b64 s[0:1], s[0:1], 2
	s_add_u32 s4, s4, s0
	v_add_u32_e32 v11, s6, v0
	s_addc_u32 s5, s5, s1
	v_cmp_gt_u32_e32 vcc, 2, v0
	v_cmp_gt_u32_e64 s[0:1], s2, v11
	s_and_b64 s[0:1], vcc, s[0:1]
	s_waitcnt lgkmcnt(1)
	v_add_f32_e32 v6, v6, v7
	s_waitcnt lgkmcnt(0)
	v_add_f32_e32 v7, v9, v10
	s_and_saveexec_b64 s[6:7], s[0:1]
	s_cbranch_execz .LBB191_7
; %bb.6:
	v_cmp_eq_u32_e32 vcc, 1, v0
	v_cndmask_b32_e32 v9, v6, v7, vcc
	v_cmp_eq_u32_e32 vcc, 2, v0
	v_cndmask_b32_e32 v9, v9, v31, vcc
	;; [unrolled: 2-line block ×15, first 2 shown]
	v_lshlrev_b32_e32 v10, 2, v0
	global_store_dword v10, v9, s[4:5]
.LBB191_7:
	s_or_b64 exec, exec, s[6:7]
	ds_bpermute_b32 v9, v1, v31
	ds_bpermute_b32 v10, v1, v30
	s_waitcnt lgkmcnt(1)
	v_add_f32_e32 v9, v31, v9
	s_waitcnt lgkmcnt(0)
	v_add_f32_e32 v10, v30, v10
	ds_bpermute_b32 v11, v2, v9
	ds_bpermute_b32 v12, v2, v10
	s_waitcnt lgkmcnt(1)
	v_add_f32_e32 v9, v9, v11
	s_waitcnt lgkmcnt(0)
	v_add_f32_e32 v10, v10, v12
	;; [unrolled: 6-line block ×6, first 2 shown]
	s_and_saveexec_b64 s[6:7], s[0:1]
	s_cbranch_execz .LBB191_9
; %bb.8:
	v_add_u32_e32 v11, 2, v0
	v_cmp_eq_u32_e32 vcc, 1, v11
	v_cndmask_b32_e32 v12, v6, v7, vcc
	v_cmp_eq_u32_e32 vcc, 2, v11
	v_cndmask_b32_e32 v12, v12, v10, vcc
	;; [unrolled: 2-line block ×15, first 2 shown]
	v_add_u32_e32 v11, s2, v0
	v_mov_b32_e32 v12, 0
	v_lshlrev_b64 v[11:12], 2, v[11:12]
	v_mov_b32_e32 v14, s5
	v_add_co_u32_e32 v11, vcc, s4, v11
	v_addc_co_u32_e32 v12, vcc, v14, v12, vcc
	global_store_dword v[11:12], v13, off
.LBB191_9:
	s_or_b64 exec, exec, s[6:7]
	ds_bpermute_b32 v11, v1, v29
	ds_bpermute_b32 v12, v1, v28
	s_waitcnt lgkmcnt(1)
	v_add_f32_e32 v11, v29, v11
	s_waitcnt lgkmcnt(0)
	v_add_f32_e32 v12, v28, v12
	ds_bpermute_b32 v13, v2, v11
	ds_bpermute_b32 v14, v2, v12
	s_waitcnt lgkmcnt(1)
	v_add_f32_e32 v11, v11, v13
	s_waitcnt lgkmcnt(0)
	v_add_f32_e32 v12, v12, v14
	;; [unrolled: 6-line block ×6, first 2 shown]
	s_and_saveexec_b64 s[6:7], s[0:1]
	s_cbranch_execz .LBB191_11
; %bb.10:
	v_add_u32_e32 v13, 4, v0
	v_cmp_eq_u32_e32 vcc, 1, v13
	v_cndmask_b32_e32 v14, v6, v7, vcc
	v_cmp_eq_u32_e32 vcc, 2, v13
	v_cndmask_b32_e32 v14, v14, v10, vcc
	v_cmp_eq_u32_e32 vcc, 3, v13
	v_cndmask_b32_e32 v14, v14, v9, vcc
	v_cmp_eq_u32_e32 vcc, 4, v13
	v_cndmask_b32_e32 v14, v14, v12, vcc
	v_cmp_eq_u32_e32 vcc, 5, v13
	v_cndmask_b32_e32 v14, v14, v11, vcc
	v_cmp_eq_u32_e32 vcc, 6, v13
	v_cndmask_b32_e32 v14, v14, v27, vcc
	v_cmp_eq_u32_e32 vcc, 7, v13
	v_cndmask_b32_e32 v14, v14, v26, vcc
	v_cmp_eq_u32_e32 vcc, 8, v13
	v_cndmask_b32_e32 v14, v14, v25, vcc
	v_cmp_eq_u32_e32 vcc, 9, v13
	v_cndmask_b32_e32 v14, v14, v24, vcc
	v_cmp_eq_u32_e32 vcc, 10, v13
	v_cndmask_b32_e32 v14, v14, v23, vcc
	v_cmp_eq_u32_e32 vcc, 11, v13
	v_cndmask_b32_e32 v14, v14, v22, vcc
	v_cmp_eq_u32_e32 vcc, 12, v13
	v_cndmask_b32_e32 v14, v14, v21, vcc
	v_cmp_eq_u32_e32 vcc, 13, v13
	v_cndmask_b32_e32 v14, v14, v20, vcc
	v_cmp_eq_u32_e32 vcc, 14, v13
	v_cndmask_b32_e32 v14, v14, v19, vcc
	v_cmp_eq_u32_e32 vcc, 15, v13
	v_cndmask_b32_e32 v15, v14, v18, vcc
	v_lshl_or_b32 v13, s2, 1, v0
	v_mov_b32_e32 v14, 0
	v_lshlrev_b64 v[13:14], 2, v[13:14]
	v_mov_b32_e32 v16, s5
	v_add_co_u32_e32 v13, vcc, s4, v13
	v_addc_co_u32_e32 v14, vcc, v16, v14, vcc
	global_store_dword v[13:14], v15, off
.LBB191_11:
	s_or_b64 exec, exec, s[6:7]
	ds_bpermute_b32 v13, v1, v27
	ds_bpermute_b32 v14, v1, v26
	s_waitcnt lgkmcnt(1)
	v_add_f32_e32 v13, v27, v13
	s_waitcnt lgkmcnt(0)
	v_add_f32_e32 v14, v26, v14
	ds_bpermute_b32 v15, v2, v13
	ds_bpermute_b32 v16, v2, v14
	s_waitcnt lgkmcnt(1)
	v_add_f32_e32 v13, v13, v15
	s_waitcnt lgkmcnt(0)
	v_add_f32_e32 v14, v14, v16
	;; [unrolled: 6-line block ×6, first 2 shown]
	s_and_saveexec_b64 s[6:7], s[0:1]
	s_cbranch_execz .LBB191_13
; %bb.12:
	v_add_u32_e32 v17, 6, v0
	v_cmp_eq_u32_e32 vcc, 1, v17
	v_cndmask_b32_e32 v15, v6, v7, vcc
	v_cmp_eq_u32_e32 vcc, 2, v17
	v_cndmask_b32_e32 v15, v15, v10, vcc
	;; [unrolled: 2-line block ×14, first 2 shown]
	v_mad_u64_u32 v[15:16], s[8:9], s2, 3, v[0:1]
	v_mov_b32_e32 v16, 0
	v_cmp_eq_u32_e32 vcc, 15, v17
	v_lshlrev_b64 v[15:16], 2, v[15:16]
	v_cndmask_b32_e32 v17, v26, v18, vcc
	v_mov_b32_e32 v26, s5
	v_add_co_u32_e32 v15, vcc, s4, v15
	v_addc_co_u32_e32 v16, vcc, v26, v16, vcc
	global_store_dword v[15:16], v17, off
.LBB191_13:
	s_or_b64 exec, exec, s[6:7]
	ds_bpermute_b32 v15, v1, v25
	ds_bpermute_b32 v16, v1, v24
	s_waitcnt lgkmcnt(1)
	v_add_f32_e32 v15, v25, v15
	s_waitcnt lgkmcnt(0)
	v_add_f32_e32 v16, v24, v16
	ds_bpermute_b32 v17, v2, v15
	ds_bpermute_b32 v24, v2, v16
	s_waitcnt lgkmcnt(1)
	v_add_f32_e32 v15, v15, v17
	s_waitcnt lgkmcnt(0)
	v_add_f32_e32 v16, v16, v24
	;; [unrolled: 6-line block ×6, first 2 shown]
	s_and_saveexec_b64 s[6:7], s[0:1]
	s_cbranch_execz .LBB191_15
; %bb.14:
	v_add_u32_e32 v17, 8, v0
	v_cmp_eq_u32_e32 vcc, 1, v17
	v_cndmask_b32_e32 v24, v6, v7, vcc
	v_cmp_eq_u32_e32 vcc, 2, v17
	v_cndmask_b32_e32 v24, v24, v10, vcc
	;; [unrolled: 2-line block ×15, first 2 shown]
	v_lshl_or_b32 v24, s2, 2, v0
	v_mov_b32_e32 v25, 0
	v_lshlrev_b64 v[24:25], 2, v[24:25]
	v_mov_b32_e32 v26, s5
	v_add_co_u32_e32 v24, vcc, s4, v24
	v_addc_co_u32_e32 v25, vcc, v26, v25, vcc
	global_store_dword v[24:25], v17, off
.LBB191_15:
	s_or_b64 exec, exec, s[6:7]
	ds_bpermute_b32 v17, v1, v23
	ds_bpermute_b32 v24, v1, v22
	s_waitcnt lgkmcnt(1)
	v_add_f32_e32 v17, v23, v17
	s_waitcnt lgkmcnt(0)
	v_add_f32_e32 v22, v22, v24
	ds_bpermute_b32 v23, v2, v17
	ds_bpermute_b32 v24, v2, v22
	s_waitcnt lgkmcnt(1)
	v_add_f32_e32 v17, v17, v23
	s_waitcnt lgkmcnt(0)
	v_add_f32_e32 v22, v22, v24
	;; [unrolled: 6-line block ×6, first 2 shown]
	s_and_saveexec_b64 s[6:7], s[0:1]
	s_cbranch_execz .LBB191_17
; %bb.16:
	v_add_u32_e32 v25, 10, v0
	v_cmp_eq_u32_e32 vcc, 1, v25
	v_cndmask_b32_e32 v23, v6, v7, vcc
	v_cmp_eq_u32_e32 vcc, 2, v25
	v_cndmask_b32_e32 v23, v23, v10, vcc
	;; [unrolled: 2-line block ×14, first 2 shown]
	v_mad_u64_u32 v[23:24], s[8:9], s2, 5, v[0:1]
	v_mov_b32_e32 v24, 0
	v_cmp_eq_u32_e32 vcc, 15, v25
	v_lshlrev_b64 v[23:24], 2, v[23:24]
	v_cndmask_b32_e32 v25, v26, v18, vcc
	v_mov_b32_e32 v26, s5
	v_add_co_u32_e32 v23, vcc, s4, v23
	v_addc_co_u32_e32 v24, vcc, v26, v24, vcc
	global_store_dword v[23:24], v25, off
.LBB191_17:
	s_or_b64 exec, exec, s[6:7]
	ds_bpermute_b32 v23, v1, v21
	ds_bpermute_b32 v24, v1, v20
	s_waitcnt lgkmcnt(1)
	v_add_f32_e32 v21, v21, v23
	s_waitcnt lgkmcnt(0)
	v_add_f32_e32 v20, v20, v24
	ds_bpermute_b32 v23, v2, v21
	ds_bpermute_b32 v24, v2, v20
	s_waitcnt lgkmcnt(1)
	v_add_f32_e32 v21, v21, v23
	s_waitcnt lgkmcnt(0)
	v_add_f32_e32 v20, v20, v24
	;; [unrolled: 6-line block ×6, first 2 shown]
	s_and_saveexec_b64 s[6:7], s[0:1]
	s_cbranch_execz .LBB191_19
; %bb.18:
	v_add_u32_e32 v23, 12, v0
	v_cmp_eq_u32_e32 vcc, 1, v23
	v_cndmask_b32_e32 v24, v6, v7, vcc
	v_cmp_eq_u32_e32 vcc, 2, v23
	v_cndmask_b32_e32 v24, v24, v10, vcc
	;; [unrolled: 2-line block ×14, first 2 shown]
	v_cmp_eq_u32_e32 vcc, 15, v23
	s_mul_i32 s3, s2, 6
	v_cndmask_b32_e32 v25, v24, v18, vcc
	v_or_b32_e32 v23, s3, v0
	v_mov_b32_e32 v24, 0
	v_lshlrev_b64 v[23:24], 2, v[23:24]
	v_mov_b32_e32 v26, s5
	v_add_co_u32_e32 v23, vcc, s4, v23
	v_addc_co_u32_e32 v24, vcc, v26, v24, vcc
	global_store_dword v[23:24], v25, off
.LBB191_19:
	s_or_b64 exec, exec, s[6:7]
	ds_bpermute_b32 v23, v1, v19
	ds_bpermute_b32 v1, v1, v18
	s_waitcnt lgkmcnt(1)
	v_add_f32_e32 v19, v19, v23
	s_waitcnt lgkmcnt(0)
	v_add_f32_e32 v1, v18, v1
	ds_bpermute_b32 v18, v2, v19
	ds_bpermute_b32 v2, v2, v1
	s_waitcnt lgkmcnt(1)
	v_add_f32_e32 v18, v19, v18
	s_waitcnt lgkmcnt(0)
	v_add_f32_e32 v1, v1, v2
	;; [unrolled: 6-line block ×5, first 2 shown]
	ds_bpermute_b32 v3, v8, v1
	ds_bpermute_b32 v4, v8, v2
	s_and_b64 exec, exec, s[0:1]
	s_cbranch_execz .LBB191_21
; %bb.20:
	s_waitcnt lgkmcnt(1)
	v_add_f32_e32 v1, v1, v3
	v_add_u32_e32 v3, 14, v0
	v_cmp_eq_u32_e32 vcc, 1, v3
	s_waitcnt lgkmcnt(0)
	v_add_f32_e32 v2, v2, v4
	v_cndmask_b32_e32 v4, v6, v7, vcc
	v_cmp_eq_u32_e32 vcc, 2, v3
	v_cndmask_b32_e32 v4, v4, v10, vcc
	v_cmp_eq_u32_e32 vcc, 3, v3
	;; [unrolled: 2-line block ×13, first 2 shown]
	v_cndmask_b32_e32 v4, v4, v1, vcc
	v_mad_u64_u32 v[0:1], s[0:1], s2, 7, v[0:1]
	v_mov_b32_e32 v1, 0
	v_cmp_eq_u32_e32 vcc, 15, v3
	v_lshlrev_b64 v[0:1], 2, v[0:1]
	v_cndmask_b32_e32 v2, v4, v2, vcc
	v_mov_b32_e32 v3, s5
	v_add_co_u32_e32 v0, vcc, s4, v0
	v_addc_co_u32_e32 v1, vcc, v3, v1, vcc
	global_store_dword v[0:1], v2, off
.LBB191_21:
	s_endpgm
	.section	.rodata,"a",@progbits
	.p2align	6, 0x0
	.amdhsa_kernel _ZL13mul_mat_vec_qIL9ggml_type22ELi8ELb0ELb0EEvPKvS2_PKi31ggml_cuda_mm_fusion_args_devicePfj15HIP_vector_typeIjLj3EEjjjS8_jjjS8_jjjj
		.amdhsa_group_segment_fixed_size 0
		.amdhsa_private_segment_fixed_size 0
		.amdhsa_kernarg_size 144
		.amdhsa_user_sgpr_count 6
		.amdhsa_user_sgpr_private_segment_buffer 1
		.amdhsa_user_sgpr_dispatch_ptr 0
		.amdhsa_user_sgpr_queue_ptr 0
		.amdhsa_user_sgpr_kernarg_segment_ptr 1
		.amdhsa_user_sgpr_dispatch_id 0
		.amdhsa_user_sgpr_flat_scratch_init 0
		.amdhsa_user_sgpr_private_segment_size 0
		.amdhsa_uses_dynamic_stack 0
		.amdhsa_system_sgpr_private_segment_wavefront_offset 0
		.amdhsa_system_sgpr_workgroup_id_x 1
		.amdhsa_system_sgpr_workgroup_id_y 1
		.amdhsa_system_sgpr_workgroup_id_z 1
		.amdhsa_system_sgpr_workgroup_info 0
		.amdhsa_system_vgpr_workitem_id 1
		.amdhsa_next_free_vgpr 71
		.amdhsa_next_free_sgpr 30
		.amdhsa_reserve_vcc 1
		.amdhsa_reserve_flat_scratch 0
		.amdhsa_float_round_mode_32 0
		.amdhsa_float_round_mode_16_64 0
		.amdhsa_float_denorm_mode_32 3
		.amdhsa_float_denorm_mode_16_64 3
		.amdhsa_dx10_clamp 1
		.amdhsa_ieee_mode 1
		.amdhsa_fp16_overflow 0
		.amdhsa_exception_fp_ieee_invalid_op 0
		.amdhsa_exception_fp_denorm_src 0
		.amdhsa_exception_fp_ieee_div_zero 0
		.amdhsa_exception_fp_ieee_overflow 0
		.amdhsa_exception_fp_ieee_underflow 0
		.amdhsa_exception_fp_ieee_inexact 0
		.amdhsa_exception_int_div_zero 0
	.end_amdhsa_kernel
	.section	.text._ZL13mul_mat_vec_qIL9ggml_type22ELi8ELb0ELb0EEvPKvS2_PKi31ggml_cuda_mm_fusion_args_devicePfj15HIP_vector_typeIjLj3EEjjjS8_jjjS8_jjjj,"axG",@progbits,_ZL13mul_mat_vec_qIL9ggml_type22ELi8ELb0ELb0EEvPKvS2_PKi31ggml_cuda_mm_fusion_args_devicePfj15HIP_vector_typeIjLj3EEjjjS8_jjjS8_jjjj,comdat
.Lfunc_end191:
	.size	_ZL13mul_mat_vec_qIL9ggml_type22ELi8ELb0ELb0EEvPKvS2_PKi31ggml_cuda_mm_fusion_args_devicePfj15HIP_vector_typeIjLj3EEjjjS8_jjjS8_jjjj, .Lfunc_end191-_ZL13mul_mat_vec_qIL9ggml_type22ELi8ELb0ELb0EEvPKvS2_PKi31ggml_cuda_mm_fusion_args_devicePfj15HIP_vector_typeIjLj3EEjjjS8_jjjS8_jjjj
                                        ; -- End function
	.set _ZL13mul_mat_vec_qIL9ggml_type22ELi8ELb0ELb0EEvPKvS2_PKi31ggml_cuda_mm_fusion_args_devicePfj15HIP_vector_typeIjLj3EEjjjS8_jjjS8_jjjj.num_vgpr, 71
	.set _ZL13mul_mat_vec_qIL9ggml_type22ELi8ELb0ELb0EEvPKvS2_PKi31ggml_cuda_mm_fusion_args_devicePfj15HIP_vector_typeIjLj3EEjjjS8_jjjS8_jjjj.num_agpr, 0
	.set _ZL13mul_mat_vec_qIL9ggml_type22ELi8ELb0ELb0EEvPKvS2_PKi31ggml_cuda_mm_fusion_args_devicePfj15HIP_vector_typeIjLj3EEjjjS8_jjjS8_jjjj.numbered_sgpr, 30
	.set _ZL13mul_mat_vec_qIL9ggml_type22ELi8ELb0ELb0EEvPKvS2_PKi31ggml_cuda_mm_fusion_args_devicePfj15HIP_vector_typeIjLj3EEjjjS8_jjjS8_jjjj.num_named_barrier, 0
	.set _ZL13mul_mat_vec_qIL9ggml_type22ELi8ELb0ELb0EEvPKvS2_PKi31ggml_cuda_mm_fusion_args_devicePfj15HIP_vector_typeIjLj3EEjjjS8_jjjS8_jjjj.private_seg_size, 0
	.set _ZL13mul_mat_vec_qIL9ggml_type22ELi8ELb0ELb0EEvPKvS2_PKi31ggml_cuda_mm_fusion_args_devicePfj15HIP_vector_typeIjLj3EEjjjS8_jjjS8_jjjj.uses_vcc, 1
	.set _ZL13mul_mat_vec_qIL9ggml_type22ELi8ELb0ELb0EEvPKvS2_PKi31ggml_cuda_mm_fusion_args_devicePfj15HIP_vector_typeIjLj3EEjjjS8_jjjS8_jjjj.uses_flat_scratch, 0
	.set _ZL13mul_mat_vec_qIL9ggml_type22ELi8ELb0ELb0EEvPKvS2_PKi31ggml_cuda_mm_fusion_args_devicePfj15HIP_vector_typeIjLj3EEjjjS8_jjjS8_jjjj.has_dyn_sized_stack, 0
	.set _ZL13mul_mat_vec_qIL9ggml_type22ELi8ELb0ELb0EEvPKvS2_PKi31ggml_cuda_mm_fusion_args_devicePfj15HIP_vector_typeIjLj3EEjjjS8_jjjS8_jjjj.has_recursion, 0
	.set _ZL13mul_mat_vec_qIL9ggml_type22ELi8ELb0ELb0EEvPKvS2_PKi31ggml_cuda_mm_fusion_args_devicePfj15HIP_vector_typeIjLj3EEjjjS8_jjjS8_jjjj.has_indirect_call, 0
	.section	.AMDGPU.csdata,"",@progbits
; Kernel info:
; codeLenInByte = 9820
; TotalNumSgprs: 34
; NumVgprs: 71
; ScratchSize: 0
; MemoryBound: 0
; FloatMode: 240
; IeeeMode: 1
; LDSByteSize: 0 bytes/workgroup (compile time only)
; SGPRBlocks: 4
; VGPRBlocks: 17
; NumSGPRsForWavesPerEU: 34
; NumVGPRsForWavesPerEU: 71
; Occupancy: 3
; WaveLimiterHint : 0
; COMPUTE_PGM_RSRC2:SCRATCH_EN: 0
; COMPUTE_PGM_RSRC2:USER_SGPR: 6
; COMPUTE_PGM_RSRC2:TRAP_HANDLER: 0
; COMPUTE_PGM_RSRC2:TGID_X_EN: 1
; COMPUTE_PGM_RSRC2:TGID_Y_EN: 1
; COMPUTE_PGM_RSRC2:TGID_Z_EN: 1
; COMPUTE_PGM_RSRC2:TIDIG_COMP_CNT: 1
	.section	.text._ZL17mul_mat_vec_q_moeIL9ggml_type18ELi2EEvPKvS2_PKiPfj15HIP_vector_typeIjLj3EEjjjjjjjjj,"axG",@progbits,_ZL17mul_mat_vec_q_moeIL9ggml_type18ELi2EEvPKvS2_PKiPfj15HIP_vector_typeIjLj3EEjjjjjjjjj,comdat
	.globl	_ZL17mul_mat_vec_q_moeIL9ggml_type18ELi2EEvPKvS2_PKiPfj15HIP_vector_typeIjLj3EEjjjjjjjjj ; -- Begin function _ZL17mul_mat_vec_q_moeIL9ggml_type18ELi2EEvPKvS2_PKiPfj15HIP_vector_typeIjLj3EEjjjjjjjjj
	.p2align	8
	.type	_ZL17mul_mat_vec_q_moeIL9ggml_type18ELi2EEvPKvS2_PKiPfj15HIP_vector_typeIjLj3EEjjjjjjjjj,@function
_ZL17mul_mat_vec_q_moeIL9ggml_type18ELi2EEvPKvS2_PKiPfj15HIP_vector_typeIjLj3EEjjjjjjjjj: ; @_ZL17mul_mat_vec_q_moeIL9ggml_type18ELi2EEvPKvS2_PKiPfj15HIP_vector_typeIjLj3EEjjjjjjjjj
; %bb.0:
	s_load_dwordx8 s[8:15], s[4:5], 0x30
	s_waitcnt lgkmcnt(0)
	v_cmp_gt_u32_e32 vcc, s15, v1
	s_and_saveexec_b64 s[0:1], vcc
	s_cbranch_execz .LBB192_7
; %bb.1:
	s_load_dword s1, s[4:5], 0x20
	s_load_dword s0, s[4:5], 0x50
	s_load_dwordx8 s[16:23], s[4:5], 0x0
	v_lshrrev_b32_e32 v17, 3, v0
	s_lshl_b32 s6, s6, 1
	s_waitcnt lgkmcnt(0)
	s_lshr_b32 s15, s1, 8
	v_cmp_gt_u32_e32 vcc, s15, v17
	v_mov_b32_e32 v19, 0
	v_mov_b32_e32 v18, 0
	s_and_saveexec_b64 s[24:25], vcc
	s_cbranch_execz .LBB192_5
; %bb.2:
	v_mul_lo_u32 v2, s0, v1
	v_mov_b32_e32 v10, 0
	v_mov_b32_e32 v4, s21
	s_load_dwordx4 s[0:3], s[4:5], 0x24
	v_add_u32_e32 v9, s7, v2
	v_lshlrev_b64 v[2:3], 2, v[9:10]
	v_mov_b32_e32 v11, s16
	v_add_co_u32_e32 v2, vcc, s20, v2
	v_addc_co_u32_e32 v3, vcc, v4, v3, vcc
	global_load_dword v4, v[2:3], off
	v_mul_lo_u32 v2, s10, v1
	v_lshlrev_b32_e32 v3, 1, v0
	v_mov_b32_e32 v12, s17
	v_and_b32_e32 v8, 14, v3
	v_mad_u64_u32 v[2:3], s[16:17], v2, 36, 0
	s_waitcnt lgkmcnt(0)
	s_mul_hi_u32 s0, s0, s7
	s_add_i32 s0, s7, s0
	v_lshrrev_b32_e32 v6, 3, v0
	s_movk_i32 s27, 0x120
	s_lshr_b32 s0, s0, s1
	s_mul_i32 s2, s0, s2
	v_mad_u64_u32 v[2:3], s[0:1], v6, s27, v[2:3]
	s_sub_i32 s0, s7, s2
	s_mul_i32 s0, s0, s13
	v_mad_u64_u32 v[2:3], s[0:1], s0, 36, v[2:3]
	v_and_b32_e32 v5, 7, v0
	v_mov_b32_e32 v7, s19
	v_mad_u64_u32 v[2:3], s[0:1], v5, 36, v[2:3]
	s_add_i32 s26, s6, 1
	s_mul_i32 s21, s6, s9
	v_add_co_u32_e32 v2, vcc, s18, v2
	v_addc_co_u32_e32 v3, vcc, v7, v3, vcc
	s_mul_i32 s2, s9, s26
	v_lshlrev_b32_e32 v6, 1, v8
	v_add_co_u32_e32 v13, vcc, 32, v2
	s_mov_b64 s[4:5], 0
	s_movk_i32 s3, 0x62
	s_mov_b32 s10, 0x1010101
	s_movk_i32 s19, 0xff00
	s_mov_b32 s20, 0xc0c0105
	v_mov_b32_e32 v20, 2
	v_mov_b32_e32 v21, 8
	;; [unrolled: 1-line block ×3, first 2 shown]
	v_lshlrev_b32_e32 v22, 1, v8
	v_lshlrev_b32_e32 v23, 1, v6
	v_addc_co_u32_e32 v14, vcc, 0, v3, vcc
	v_mov_b32_e32 v19, 0
	s_waitcnt vmcnt(0)
	v_mul_lo_u32 v4, v4, s12
	v_add_u32_e32 v24, s21, v4
	v_add_u32_e32 v25, s2, v4
.LBB192_3:                              ; =>This Inner Loop Header: Depth=1
	v_add_u32_e32 v15, v24, v17
	v_mad_i64_i32 v[15:16], s[0:1], v15, s3, v[11:12]
	global_load_dword v26, v[13:14], off
	global_load_dwordx4 v[2:5], v[13:14], off offset:-16
	global_load_dwordx4 v[6:9], v[13:14], off offset:-32
	s_getpc_b64 s[0:1]
	s_add_u32 s0, s0, _ZL11iq3xxs_grid@rel32@lo+4
	s_addc_u32 s1, s1, _ZL11iq3xxs_grid@rel32@hi+12
	v_add_co_u32_e32 v27, vcc, v15, v23
	v_addc_co_u32_e32 v28, vcc, 0, v16, vcc
	global_load_dwordx2 v[27:28], v[27:28], off offset:2
	v_add_co_u32_e32 v29, vcc, v15, v22
	v_addc_co_u32_e32 v30, vcc, 0, v16, vcc
	global_load_dword v29, v[29:30], off offset:66
	s_waitcnt vmcnt(2)
	v_cvt_f32_f16_e32 v6, v6
	global_load_ushort v15, v[15:16], off
	s_waitcnt vmcnt(2)
	v_lshlrev_b32_sdwa v30, v20, v27 dst_sel:DWORD dst_unused:UNUSED_PAD src0_sel:DWORD src1_sel:BYTE_0
	global_load_dword v30, v30, s[0:1]
	v_lshlrev_b32_sdwa v31, v20, v27 dst_sel:DWORD dst_unused:UNUSED_PAD src0_sel:DWORD src1_sel:BYTE_1
	global_load_dword v31, v31, s[0:1]
	s_waitcnt vmcnt(3)
	v_and_b32_e32 v32, 0xff, v29
	v_bcnt_u32_b32 v33, v32, 0
	v_and_b32_e32 v33, 1, v33
	v_lshlrev_b32_e32 v33, 7, v33
	v_xor_b32_e32 v32, v33, v32
	v_mul_lo_u32 v32, v32, s10
	v_and_b32_e32 v33, 0x8040201, v32
	v_cmp_ne_u16_sdwa s[12:13], v33, v10 src0_sel:BYTE_3 src1_sel:DWORD
	v_cmp_ne_u16_sdwa s[16:17], v33, v10 src0_sel:BYTE_1 src1_sel:DWORD
	v_lshrrev_b32_e32 v34, 18, v32
	v_cndmask_b32_e64 v35, 0, -1, s[16:17]
	v_cndmask_b32_e64 v37, 0, -1, s[12:13]
	v_bfe_i32 v33, v32, 0, 1
	v_lshlrev_b16_e32 v35, 8, v35
	v_bfe_i32 v34, v34, 0, 1
	v_lshlrev_b16_e32 v37, 8, v37
	v_or_b32_sdwa v36, v33, v35 dst_sel:DWORD dst_unused:UNUSED_PAD src0_sel:BYTE_0 src1_sel:DWORD
	v_or_b32_sdwa v38, v34, v37 dst_sel:WORD_1 dst_unused:UNUSED_PAD src0_sel:BYTE_0 src1_sel:DWORD
	v_or_b32_sdwa v36, v36, v38 dst_sel:DWORD dst_unused:UNUSED_PAD src0_sel:WORD_0 src1_sel:DWORD
	v_lshlrev_b16_e32 v33, 8, v33
	v_lshlrev_b16_e32 v34, 8, v34
	s_waitcnt vmcnt(2)
	v_cvt_f32_f16_e32 v15, v15
	v_mul_f32_e32 v15, v15, v6
	s_waitcnt vmcnt(1)
	v_xor_b32_e32 v30, v30, v36
	v_and_b32_e32 v36, 0xffffff00, v30
	v_sub_i16 v35, v36, v35 clamp
	v_lshlrev_b16_e32 v36, 8, v30
	v_sub_i16 v33, v36, v33 clamp
	v_perm_b32 v33, v33, v35, s20
	v_and_b32_sdwa v35, v30, s19 dst_sel:DWORD dst_unused:UNUSED_PAD src0_sel:WORD_1 src1_sel:DWORD
	v_lshlrev_b16_sdwa v30, v21, v30 dst_sel:DWORD dst_unused:UNUSED_PAD src0_sel:DWORD src1_sel:WORD_1
	v_sub_i16 v35, v35, v37 clamp
	v_sub_i16 v30, v30, v34 clamp
	v_perm_b32 v30, v30, v35, s20
	v_lshl_or_b32 v30, v30, 16, v33
	v_and_b32_e32 v33, 0x80402010, v32
	v_cmp_ne_u16_sdwa s[12:13], v33, v10 src0_sel:BYTE_3 src1_sel:DWORD
	v_cmp_ne_u16_sdwa s[16:17], v33, v10 src0_sel:BYTE_1 src1_sel:DWORD
	v_lshrrev_b32_e32 v32, 22, v32
	v_lshrrev_b16_e32 v33, 4, v33
	v_cndmask_b32_e64 v34, 0, -1, s[16:17]
	v_cndmask_b32_e64 v36, 0, -1, s[12:13]
	v_bfe_i32 v33, v33, 0, 1
	v_lshlrev_b16_e32 v34, 8, v34
	v_bfe_i32 v32, v32, 0, 1
	v_lshlrev_b16_e32 v36, 8, v36
	v_or_b32_sdwa v35, v33, v34 dst_sel:DWORD dst_unused:UNUSED_PAD src0_sel:BYTE_0 src1_sel:DWORD
	v_or_b32_sdwa v37, v32, v36 dst_sel:WORD_1 dst_unused:UNUSED_PAD src0_sel:BYTE_0 src1_sel:DWORD
	v_or_b32_sdwa v35, v35, v37 dst_sel:DWORD dst_unused:UNUSED_PAD src0_sel:WORD_0 src1_sel:DWORD
	s_waitcnt vmcnt(0)
	v_xor_b32_e32 v31, v31, v35
	v_and_b32_e32 v35, 0xffffff00, v31
	v_sub_i16 v34, v35, v34 clamp
	v_lshlrev_b16_e32 v35, 8, v31
	v_lshlrev_b16_e32 v33, 8, v33
	v_sub_i16 v33, v35, v33 clamp
	v_perm_b32 v33, v33, v34, s20
	v_and_b32_sdwa v34, v31, s19 dst_sel:DWORD dst_unused:UNUSED_PAD src0_sel:WORD_1 src1_sel:DWORD
	v_lshlrev_b16_sdwa v31, v21, v31 dst_sel:DWORD dst_unused:UNUSED_PAD src0_sel:DWORD src1_sel:WORD_1
	v_lshlrev_b16_e32 v32, 8, v32
	v_sub_i16 v34, v34, v36 clamp
	v_sub_i16 v31, v31, v32 clamp
	v_perm_b32 v31, v31, v34, s20
	v_lshl_or_b32 v31, v31, 16, v33
	v_dot4_i32_i8 v30, v30, v7, 0
	v_dot4_i32_i8 v30, v31, v8, v30
	v_lshlrev_b32_sdwa v31, v20, v27 dst_sel:DWORD dst_unused:UNUSED_PAD src0_sel:DWORD src1_sel:BYTE_2
	global_load_dword v31, v31, s[0:1]
	v_lshlrev_b32_sdwa v27, v20, v27 dst_sel:DWORD dst_unused:UNUSED_PAD src0_sel:DWORD src1_sel:BYTE_3
	global_load_dword v27, v27, s[0:1]
	v_bfe_u32 v32, v29, 7, 8
	v_bcnt_u32_b32 v33, v32, 0
	v_and_b32_e32 v33, 1, v33
	v_lshlrev_b32_e32 v33, 7, v33
	v_xor_b32_e32 v32, v33, v32
	v_mul_lo_u32 v32, v32, s10
	v_and_b32_e32 v33, 0x8040201, v32
	v_cmp_ne_u16_sdwa s[12:13], v33, v10 src0_sel:BYTE_3 src1_sel:DWORD
	v_cmp_ne_u16_sdwa s[16:17], v33, v10 src0_sel:BYTE_1 src1_sel:DWORD
	v_lshrrev_b32_e32 v34, 18, v32
	v_cndmask_b32_e64 v35, 0, -1, s[16:17]
	v_cndmask_b32_e64 v37, 0, -1, s[12:13]
	v_bfe_i32 v33, v32, 0, 1
	v_lshlrev_b16_e32 v35, 8, v35
	v_bfe_i32 v34, v34, 0, 1
	v_lshlrev_b16_e32 v37, 8, v37
	v_or_b32_sdwa v36, v33, v35 dst_sel:DWORD dst_unused:UNUSED_PAD src0_sel:BYTE_0 src1_sel:DWORD
	v_or_b32_sdwa v38, v34, v37 dst_sel:WORD_1 dst_unused:UNUSED_PAD src0_sel:BYTE_0 src1_sel:DWORD
	v_or_b32_sdwa v36, v36, v38 dst_sel:DWORD dst_unused:UNUSED_PAD src0_sel:WORD_0 src1_sel:DWORD
	v_lshlrev_b16_e32 v33, 8, v33
	v_lshlrev_b16_e32 v34, 8, v34
	s_waitcnt vmcnt(1)
	v_xor_b32_e32 v31, v31, v36
	v_and_b32_e32 v36, 0xffffff00, v31
	v_sub_i16 v35, v36, v35 clamp
	v_lshlrev_b16_e32 v36, 8, v31
	v_sub_i16 v33, v36, v33 clamp
	v_perm_b32 v33, v33, v35, s20
	v_and_b32_sdwa v35, v31, s19 dst_sel:DWORD dst_unused:UNUSED_PAD src0_sel:WORD_1 src1_sel:DWORD
	v_lshlrev_b16_sdwa v31, v21, v31 dst_sel:DWORD dst_unused:UNUSED_PAD src0_sel:DWORD src1_sel:WORD_1
	v_sub_i16 v35, v35, v37 clamp
	v_sub_i16 v31, v31, v34 clamp
	v_perm_b32 v31, v31, v35, s20
	v_lshl_or_b32 v31, v31, 16, v33
	v_and_b32_e32 v33, 0x80402010, v32
	v_cmp_ne_u16_sdwa s[12:13], v33, v10 src0_sel:BYTE_3 src1_sel:DWORD
	v_cmp_ne_u16_sdwa s[16:17], v33, v10 src0_sel:BYTE_1 src1_sel:DWORD
	v_lshrrev_b32_e32 v32, 22, v32
	v_lshrrev_b16_e32 v33, 4, v33
	v_cndmask_b32_e64 v34, 0, -1, s[16:17]
	v_cndmask_b32_e64 v36, 0, -1, s[12:13]
	v_bfe_i32 v33, v33, 0, 1
	v_lshlrev_b16_e32 v34, 8, v34
	v_bfe_i32 v32, v32, 0, 1
	v_lshlrev_b16_e32 v36, 8, v36
	v_or_b32_sdwa v35, v33, v34 dst_sel:DWORD dst_unused:UNUSED_PAD src0_sel:BYTE_0 src1_sel:DWORD
	v_or_b32_sdwa v37, v32, v36 dst_sel:WORD_1 dst_unused:UNUSED_PAD src0_sel:BYTE_0 src1_sel:DWORD
	v_or_b32_sdwa v35, v35, v37 dst_sel:DWORD dst_unused:UNUSED_PAD src0_sel:WORD_0 src1_sel:DWORD
	s_waitcnt vmcnt(0)
	v_xor_b32_e32 v27, v27, v35
	v_and_b32_e32 v35, 0xffffff00, v27
	v_sub_i16 v34, v35, v34 clamp
	v_lshlrev_b16_e32 v35, 8, v27
	v_lshlrev_b16_e32 v33, 8, v33
	v_sub_i16 v33, v35, v33 clamp
	v_perm_b32 v33, v33, v34, s20
	v_and_b32_sdwa v34, v27, s19 dst_sel:DWORD dst_unused:UNUSED_PAD src0_sel:WORD_1 src1_sel:DWORD
	v_lshlrev_b16_sdwa v27, v21, v27 dst_sel:DWORD dst_unused:UNUSED_PAD src0_sel:DWORD src1_sel:WORD_1
	v_lshlrev_b16_e32 v32, 8, v32
	v_sub_i16 v34, v34, v36 clamp
	v_sub_i16 v27, v27, v32 clamp
	v_perm_b32 v27, v27, v34, s20
	v_lshl_or_b32 v27, v27, 16, v33
	v_dot4_i32_i8 v30, v31, v9, v30
	v_dot4_i32_i8 v27, v27, v2, v30
	v_lshlrev_b32_sdwa v30, v20, v28 dst_sel:DWORD dst_unused:UNUSED_PAD src0_sel:DWORD src1_sel:BYTE_0
	global_load_dword v30, v30, s[0:1]
	v_lshlrev_b32_sdwa v31, v20, v28 dst_sel:DWORD dst_unused:UNUSED_PAD src0_sel:DWORD src1_sel:BYTE_1
	v_bfe_u32 v32, v29, 14, 8
	global_load_dword v31, v31, s[0:1]
	v_bcnt_u32_b32 v33, v32, 0
	v_and_b32_e32 v33, 1, v33
	v_lshlrev_b32_e32 v33, 7, v33
	v_xor_b32_e32 v32, v33, v32
	v_mul_lo_u32 v32, v32, s10
	v_and_b32_e32 v33, 0x8040201, v32
	v_cmp_ne_u16_sdwa s[12:13], v33, v10 src0_sel:BYTE_3 src1_sel:DWORD
	v_cmp_ne_u16_sdwa s[16:17], v33, v10 src0_sel:BYTE_1 src1_sel:DWORD
	v_lshrrev_b32_e32 v34, 18, v32
	v_cndmask_b32_e64 v35, 0, -1, s[16:17]
	v_cndmask_b32_e64 v37, 0, -1, s[12:13]
	v_bfe_i32 v33, v32, 0, 1
	v_lshlrev_b16_e32 v35, 8, v35
	v_bfe_i32 v34, v34, 0, 1
	v_lshlrev_b16_e32 v37, 8, v37
	v_or_b32_sdwa v36, v33, v35 dst_sel:DWORD dst_unused:UNUSED_PAD src0_sel:BYTE_0 src1_sel:DWORD
	v_or_b32_sdwa v38, v34, v37 dst_sel:WORD_1 dst_unused:UNUSED_PAD src0_sel:BYTE_0 src1_sel:DWORD
	v_or_b32_sdwa v36, v36, v38 dst_sel:DWORD dst_unused:UNUSED_PAD src0_sel:WORD_0 src1_sel:DWORD
	v_lshlrev_b16_e32 v33, 8, v33
	v_lshlrev_b16_e32 v34, 8, v34
	s_waitcnt vmcnt(1)
	v_xor_b32_e32 v30, v30, v36
	v_and_b32_e32 v36, 0xffffff00, v30
	v_sub_i16 v35, v36, v35 clamp
	v_lshlrev_b16_e32 v36, 8, v30
	v_sub_i16 v33, v36, v33 clamp
	v_perm_b32 v33, v33, v35, s20
	v_and_b32_sdwa v35, v30, s19 dst_sel:DWORD dst_unused:UNUSED_PAD src0_sel:WORD_1 src1_sel:DWORD
	v_lshlrev_b16_sdwa v30, v21, v30 dst_sel:DWORD dst_unused:UNUSED_PAD src0_sel:DWORD src1_sel:WORD_1
	v_sub_i16 v35, v35, v37 clamp
	v_sub_i16 v30, v30, v34 clamp
	v_perm_b32 v30, v30, v35, s20
	v_lshl_or_b32 v30, v30, 16, v33
	v_dot4_i32_i8 v27, v30, v3, v27
	v_lshlrev_b32_sdwa v30, v20, v28 dst_sel:DWORD dst_unused:UNUSED_PAD src0_sel:DWORD src1_sel:BYTE_2
	global_load_dword v30, v30, s[0:1]
	v_lshlrev_b32_sdwa v28, v20, v28 dst_sel:DWORD dst_unused:UNUSED_PAD src0_sel:DWORD src1_sel:BYTE_3
	global_load_dword v28, v28, s[0:1]
	v_and_b32_e32 v33, 0x80402010, v32
	v_cmp_ne_u16_sdwa s[12:13], v33, v10 src0_sel:BYTE_3 src1_sel:DWORD
	v_cmp_ne_u16_sdwa s[16:17], v33, v10 src0_sel:BYTE_1 src1_sel:DWORD
	v_lshrrev_b32_e32 v32, 22, v32
	v_lshrrev_b16_e32 v33, 4, v33
	v_cndmask_b32_e64 v34, 0, -1, s[16:17]
	v_cndmask_b32_e64 v36, 0, -1, s[12:13]
	v_bfe_i32 v33, v33, 0, 1
	v_lshlrev_b16_e32 v34, 8, v34
	v_bfe_i32 v32, v32, 0, 1
	v_lshlrev_b16_e32 v36, 8, v36
	v_or_b32_sdwa v35, v33, v34 dst_sel:DWORD dst_unused:UNUSED_PAD src0_sel:BYTE_0 src1_sel:DWORD
	v_or_b32_sdwa v37, v32, v36 dst_sel:WORD_1 dst_unused:UNUSED_PAD src0_sel:BYTE_0 src1_sel:DWORD
	v_or_b32_sdwa v35, v35, v37 dst_sel:DWORD dst_unused:UNUSED_PAD src0_sel:WORD_0 src1_sel:DWORD
	s_waitcnt vmcnt(2)
	v_xor_b32_e32 v31, v31, v35
	v_and_b32_e32 v35, 0xffffff00, v31
	v_sub_i16 v34, v35, v34 clamp
	v_lshlrev_b16_e32 v35, 8, v31
	v_lshlrev_b16_e32 v33, 8, v33
	v_sub_i16 v33, v35, v33 clamp
	v_perm_b32 v33, v33, v34, s20
	v_and_b32_sdwa v34, v31, s19 dst_sel:DWORD dst_unused:UNUSED_PAD src0_sel:WORD_1 src1_sel:DWORD
	v_lshlrev_b16_sdwa v31, v21, v31 dst_sel:DWORD dst_unused:UNUSED_PAD src0_sel:DWORD src1_sel:WORD_1
	v_lshlrev_b16_e32 v32, 8, v32
	v_sub_i16 v34, v34, v36 clamp
	v_sub_i16 v31, v31, v32 clamp
	v_perm_b32 v31, v31, v34, s20
	v_lshl_or_b32 v31, v31, 16, v33
	v_dot4_i32_i8 v27, v31, v4, v27
	v_bfe_u32 v31, v29, 21, 8
	v_bcnt_u32_b32 v32, v31, 0
	v_and_b32_e32 v32, 1, v32
	v_lshlrev_b32_e32 v32, 7, v32
	v_xor_b32_e32 v31, v32, v31
	v_mul_lo_u32 v31, v31, s10
	v_lshrrev_b32_e32 v29, 28, v29
	v_and_b32_e32 v32, 0x8040201, v31
	v_cmp_ne_u16_sdwa s[12:13], v32, v10 src0_sel:BYTE_3 src1_sel:DWORD
	v_cmp_ne_u16_sdwa s[16:17], v32, v10 src0_sel:BYTE_1 src1_sel:DWORD
	v_lshrrev_b32_e32 v33, 18, v31
	v_cndmask_b32_e64 v34, 0, -1, s[16:17]
	v_cndmask_b32_e64 v36, 0, -1, s[12:13]
	v_bfe_i32 v32, v31, 0, 1
	v_lshlrev_b16_e32 v34, 8, v34
	v_bfe_i32 v33, v33, 0, 1
	v_lshlrev_b16_e32 v36, 8, v36
	v_or_b32_sdwa v35, v32, v34 dst_sel:DWORD dst_unused:UNUSED_PAD src0_sel:BYTE_0 src1_sel:DWORD
	v_or_b32_sdwa v37, v33, v36 dst_sel:WORD_1 dst_unused:UNUSED_PAD src0_sel:BYTE_0 src1_sel:DWORD
	v_or_b32_sdwa v35, v35, v37 dst_sel:DWORD dst_unused:UNUSED_PAD src0_sel:WORD_0 src1_sel:DWORD
	v_lshlrev_b16_e32 v32, 8, v32
	v_lshlrev_b16_e32 v33, 8, v33
	s_waitcnt vmcnt(1)
	v_xor_b32_e32 v30, v30, v35
	v_and_b32_e32 v35, 0xffffff00, v30
	v_sub_i16 v34, v35, v34 clamp
	v_lshlrev_b16_e32 v35, 8, v30
	v_sub_i16 v32, v35, v32 clamp
	v_perm_b32 v32, v32, v34, s20
	v_and_b32_sdwa v34, v30, s19 dst_sel:DWORD dst_unused:UNUSED_PAD src0_sel:WORD_1 src1_sel:DWORD
	v_lshlrev_b16_sdwa v30, v21, v30 dst_sel:DWORD dst_unused:UNUSED_PAD src0_sel:DWORD src1_sel:WORD_1
	v_sub_i16 v34, v34, v36 clamp
	v_sub_i16 v30, v30, v33 clamp
	v_perm_b32 v30, v30, v34, s20
	v_lshl_or_b32 v30, v30, 16, v32
	v_and_b32_e32 v32, 0x80402010, v31
	v_cmp_ne_u16_sdwa s[12:13], v32, v10 src0_sel:BYTE_3 src1_sel:DWORD
	v_cmp_ne_u16_sdwa s[16:17], v32, v10 src0_sel:BYTE_1 src1_sel:DWORD
	v_lshrrev_b32_e32 v31, 22, v31
	v_lshrrev_b16_e32 v32, 4, v32
	v_cndmask_b32_e64 v33, 0, -1, s[16:17]
	v_cndmask_b32_e64 v35, 0, -1, s[12:13]
	v_bfe_i32 v32, v32, 0, 1
	v_lshlrev_b16_e32 v33, 8, v33
	v_bfe_i32 v31, v31, 0, 1
	v_lshlrev_b16_e32 v35, 8, v35
	v_or_b32_sdwa v34, v32, v33 dst_sel:DWORD dst_unused:UNUSED_PAD src0_sel:BYTE_0 src1_sel:DWORD
	v_or_b32_sdwa v36, v31, v35 dst_sel:WORD_1 dst_unused:UNUSED_PAD src0_sel:BYTE_0 src1_sel:DWORD
	v_or_b32_sdwa v34, v34, v36 dst_sel:DWORD dst_unused:UNUSED_PAD src0_sel:WORD_0 src1_sel:DWORD
	s_waitcnt vmcnt(0)
	v_xor_b32_e32 v28, v28, v34
	v_and_b32_e32 v34, 0xffffff00, v28
	v_sub_i16 v33, v34, v33 clamp
	v_lshlrev_b16_e32 v34, 8, v28
	v_lshlrev_b16_e32 v32, 8, v32
	v_sub_i16 v32, v34, v32 clamp
	v_perm_b32 v32, v32, v33, s20
	v_and_b32_sdwa v33, v28, s19 dst_sel:DWORD dst_unused:UNUSED_PAD src0_sel:WORD_1 src1_sel:DWORD
	v_lshlrev_b16_sdwa v28, v21, v28 dst_sel:DWORD dst_unused:UNUSED_PAD src0_sel:DWORD src1_sel:WORD_1
	v_lshlrev_b16_e32 v31, 8, v31
	v_sub_i16 v33, v33, v35 clamp
	v_sub_i16 v28, v28, v31 clamp
	v_perm_b32 v28, v28, v33, s20
	v_lshl_or_b32 v28, v28, 16, v32
	v_dot4_i32_i8 v27, v30, v5, v27
	v_dot4_i32_i8 v28, v28, v26, v27
	v_lshrrev_b32_e32 v27, 31, v28
	v_add_u32_e32 v27, v28, v27
	v_ashrrev_i32_e32 v27, 1, v27
	v_mad_u64_u32 v[27:28], s[12:13], v28, v29, v[27:28]
	v_lshrrev_b32_e32 v28, 31, v27
	v_add_u32_e32 v27, v27, v28
	v_ashrrev_i32_e32 v27, 1, v27
	v_cvt_f32_i32_e32 v16, v27
	v_fmac_f32_e32 v18, v15, v16
	v_add_u32_e32 v15, v25, v17
	v_mad_i64_i32 v[15:16], s[12:13], v15, s3, v[11:12]
	v_add_u32_e32 v17, 8, v17
	v_add_co_u32_e32 v27, vcc, v15, v23
	v_addc_co_u32_e32 v28, vcc, 0, v16, vcc
	global_load_dwordx2 v[27:28], v[27:28], off offset:2
	v_add_co_u32_e32 v29, vcc, v15, v22
	v_addc_co_u32_e32 v30, vcc, 0, v16, vcc
	global_load_dword v29, v[29:30], off offset:66
	v_add_co_u32_e32 v13, vcc, 0x900, v13
	v_addc_co_u32_e32 v14, vcc, 0, v14, vcc
	v_cmp_le_u32_e32 vcc, s15, v17
	s_or_b64 s[4:5], vcc, s[4:5]
	s_waitcnt vmcnt(1)
	v_lshlrev_b32_sdwa v30, v20, v27 dst_sel:DWORD dst_unused:UNUSED_PAD src0_sel:DWORD src1_sel:BYTE_0
	global_load_dword v30, v30, s[0:1]
	v_lshlrev_b32_sdwa v31, v20, v27 dst_sel:DWORD dst_unused:UNUSED_PAD src0_sel:DWORD src1_sel:BYTE_1
	global_load_dword v31, v31, s[0:1]
	s_waitcnt vmcnt(2)
	v_and_b32_e32 v32, 0xff, v29
	v_bcnt_u32_b32 v33, v32, 0
	v_and_b32_e32 v33, 1, v33
	v_lshlrev_b32_e32 v33, 7, v33
	v_xor_b32_e32 v32, v33, v32
	v_mul_lo_u32 v32, v32, s10
	v_and_b32_e32 v33, 0x8040201, v32
	v_cmp_ne_u16_sdwa s[12:13], v33, v10 src0_sel:BYTE_3 src1_sel:DWORD
	v_cmp_ne_u16_sdwa s[16:17], v33, v10 src0_sel:BYTE_1 src1_sel:DWORD
	v_lshrrev_b32_e32 v34, 18, v32
	v_cndmask_b32_e64 v35, 0, -1, s[16:17]
	v_cndmask_b32_e64 v37, 0, -1, s[12:13]
	v_bfe_i32 v33, v32, 0, 1
	v_lshlrev_b16_e32 v35, 8, v35
	v_bfe_i32 v34, v34, 0, 1
	v_lshlrev_b16_e32 v37, 8, v37
	v_or_b32_sdwa v36, v33, v35 dst_sel:DWORD dst_unused:UNUSED_PAD src0_sel:BYTE_0 src1_sel:DWORD
	v_or_b32_sdwa v38, v34, v37 dst_sel:WORD_1 dst_unused:UNUSED_PAD src0_sel:BYTE_0 src1_sel:DWORD
	v_or_b32_sdwa v36, v36, v38 dst_sel:DWORD dst_unused:UNUSED_PAD src0_sel:WORD_0 src1_sel:DWORD
	v_lshlrev_b16_e32 v33, 8, v33
	v_lshlrev_b16_e32 v34, 8, v34
	s_waitcnt vmcnt(1)
	v_xor_b32_e32 v30, v30, v36
	v_and_b32_e32 v36, 0xffffff00, v30
	v_sub_i16 v35, v36, v35 clamp
	v_lshlrev_b16_e32 v36, 8, v30
	v_sub_i16 v33, v36, v33 clamp
	v_perm_b32 v33, v33, v35, s20
	v_and_b32_sdwa v35, v30, s19 dst_sel:DWORD dst_unused:UNUSED_PAD src0_sel:WORD_1 src1_sel:DWORD
	v_lshlrev_b16_sdwa v30, v21, v30 dst_sel:DWORD dst_unused:UNUSED_PAD src0_sel:DWORD src1_sel:WORD_1
	v_sub_i16 v35, v35, v37 clamp
	v_sub_i16 v30, v30, v34 clamp
	v_perm_b32 v30, v30, v35, s20
	v_lshl_or_b32 v30, v30, 16, v33
	v_and_b32_e32 v33, 0x80402010, v32
	v_cmp_ne_u16_sdwa s[12:13], v33, v10 src0_sel:BYTE_3 src1_sel:DWORD
	v_cmp_ne_u16_sdwa s[16:17], v33, v10 src0_sel:BYTE_1 src1_sel:DWORD
	v_lshrrev_b32_e32 v32, 22, v32
	v_lshrrev_b16_e32 v33, 4, v33
	v_cndmask_b32_e64 v34, 0, -1, s[16:17]
	v_cndmask_b32_e64 v36, 0, -1, s[12:13]
	v_bfe_i32 v33, v33, 0, 1
	v_lshlrev_b16_e32 v34, 8, v34
	v_bfe_i32 v32, v32, 0, 1
	v_lshlrev_b16_e32 v36, 8, v36
	v_or_b32_sdwa v35, v33, v34 dst_sel:DWORD dst_unused:UNUSED_PAD src0_sel:BYTE_0 src1_sel:DWORD
	v_or_b32_sdwa v37, v32, v36 dst_sel:WORD_1 dst_unused:UNUSED_PAD src0_sel:BYTE_0 src1_sel:DWORD
	v_or_b32_sdwa v35, v35, v37 dst_sel:DWORD dst_unused:UNUSED_PAD src0_sel:WORD_0 src1_sel:DWORD
	s_waitcnt vmcnt(0)
	v_xor_b32_e32 v31, v31, v35
	v_and_b32_e32 v35, 0xffffff00, v31
	v_sub_i16 v34, v35, v34 clamp
	v_lshlrev_b16_e32 v35, 8, v31
	v_lshlrev_b16_e32 v33, 8, v33
	v_sub_i16 v33, v35, v33 clamp
	v_perm_b32 v33, v33, v34, s20
	v_and_b32_sdwa v34, v31, s19 dst_sel:DWORD dst_unused:UNUSED_PAD src0_sel:WORD_1 src1_sel:DWORD
	v_lshlrev_b16_sdwa v31, v21, v31 dst_sel:DWORD dst_unused:UNUSED_PAD src0_sel:DWORD src1_sel:WORD_1
	v_lshlrev_b16_e32 v32, 8, v32
	v_sub_i16 v34, v34, v36 clamp
	v_sub_i16 v31, v31, v32 clamp
	v_perm_b32 v31, v31, v34, s20
	v_lshl_or_b32 v31, v31, 16, v33
	v_dot4_i32_i8 v7, v30, v7, 0
	v_dot4_i32_i8 v7, v31, v8, v7
	v_lshlrev_b32_sdwa v8, v20, v27 dst_sel:DWORD dst_unused:UNUSED_PAD src0_sel:DWORD src1_sel:BYTE_2
	global_load_dword v8, v8, s[0:1]
	v_lshlrev_b32_sdwa v27, v20, v27 dst_sel:DWORD dst_unused:UNUSED_PAD src0_sel:DWORD src1_sel:BYTE_3
	global_load_dword v27, v27, s[0:1]
	v_bfe_u32 v30, v29, 7, 8
	v_bcnt_u32_b32 v31, v30, 0
	v_and_b32_e32 v31, 1, v31
	v_lshlrev_b32_e32 v31, 7, v31
	v_xor_b32_e32 v30, v31, v30
	v_mul_lo_u32 v30, v30, s10
	v_and_b32_e32 v31, 0x8040201, v30
	v_cmp_ne_u16_sdwa s[12:13], v31, v10 src0_sel:BYTE_3 src1_sel:DWORD
	v_cmp_ne_u16_sdwa s[16:17], v31, v10 src0_sel:BYTE_1 src1_sel:DWORD
	v_lshrrev_b32_e32 v32, 18, v30
	v_cndmask_b32_e64 v33, 0, -1, s[16:17]
	v_cndmask_b32_e64 v35, 0, -1, s[12:13]
	v_bfe_i32 v31, v30, 0, 1
	v_lshlrev_b16_e32 v33, 8, v33
	v_bfe_i32 v32, v32, 0, 1
	v_lshlrev_b16_e32 v35, 8, v35
	v_or_b32_sdwa v34, v31, v33 dst_sel:DWORD dst_unused:UNUSED_PAD src0_sel:BYTE_0 src1_sel:DWORD
	v_or_b32_sdwa v36, v32, v35 dst_sel:WORD_1 dst_unused:UNUSED_PAD src0_sel:BYTE_0 src1_sel:DWORD
	v_or_b32_sdwa v34, v34, v36 dst_sel:DWORD dst_unused:UNUSED_PAD src0_sel:WORD_0 src1_sel:DWORD
	v_lshlrev_b16_e32 v31, 8, v31
	v_lshlrev_b16_e32 v32, 8, v32
	s_waitcnt vmcnt(1)
	v_xor_b32_e32 v8, v8, v34
	v_and_b32_e32 v34, 0xffffff00, v8
	v_sub_i16 v33, v34, v33 clamp
	v_lshlrev_b16_e32 v34, 8, v8
	v_sub_i16 v31, v34, v31 clamp
	v_perm_b32 v31, v31, v33, s20
	v_and_b32_sdwa v33, v8, s19 dst_sel:DWORD dst_unused:UNUSED_PAD src0_sel:WORD_1 src1_sel:DWORD
	v_lshlrev_b16_sdwa v8, v21, v8 dst_sel:DWORD dst_unused:UNUSED_PAD src0_sel:DWORD src1_sel:WORD_1
	v_sub_i16 v33, v33, v35 clamp
	v_sub_i16 v8, v8, v32 clamp
	v_perm_b32 v8, v8, v33, s20
	v_lshl_or_b32 v8, v8, 16, v31
	v_and_b32_e32 v31, 0x80402010, v30
	v_cmp_ne_u16_sdwa s[12:13], v31, v10 src0_sel:BYTE_3 src1_sel:DWORD
	v_cmp_ne_u16_sdwa s[16:17], v31, v10 src0_sel:BYTE_1 src1_sel:DWORD
	v_lshrrev_b32_e32 v30, 22, v30
	v_lshrrev_b16_e32 v31, 4, v31
	v_cndmask_b32_e64 v32, 0, -1, s[16:17]
	v_cndmask_b32_e64 v34, 0, -1, s[12:13]
	v_bfe_i32 v31, v31, 0, 1
	v_lshlrev_b16_e32 v32, 8, v32
	v_bfe_i32 v30, v30, 0, 1
	v_lshlrev_b16_e32 v34, 8, v34
	v_or_b32_sdwa v33, v31, v32 dst_sel:DWORD dst_unused:UNUSED_PAD src0_sel:BYTE_0 src1_sel:DWORD
	v_or_b32_sdwa v35, v30, v34 dst_sel:WORD_1 dst_unused:UNUSED_PAD src0_sel:BYTE_0 src1_sel:DWORD
	v_or_b32_sdwa v33, v33, v35 dst_sel:DWORD dst_unused:UNUSED_PAD src0_sel:WORD_0 src1_sel:DWORD
	s_waitcnt vmcnt(0)
	v_xor_b32_e32 v27, v27, v33
	v_and_b32_e32 v33, 0xffffff00, v27
	v_sub_i16 v32, v33, v32 clamp
	v_lshlrev_b16_e32 v33, 8, v27
	v_lshlrev_b16_e32 v31, 8, v31
	v_sub_i16 v31, v33, v31 clamp
	v_perm_b32 v31, v31, v32, s20
	v_and_b32_sdwa v32, v27, s19 dst_sel:DWORD dst_unused:UNUSED_PAD src0_sel:WORD_1 src1_sel:DWORD
	v_lshlrev_b16_sdwa v27, v21, v27 dst_sel:DWORD dst_unused:UNUSED_PAD src0_sel:DWORD src1_sel:WORD_1
	v_lshlrev_b16_e32 v30, 8, v30
	v_sub_i16 v32, v32, v34 clamp
	v_sub_i16 v27, v27, v30 clamp
	v_perm_b32 v27, v27, v32, s20
	v_lshl_or_b32 v27, v27, 16, v31
	v_dot4_i32_i8 v7, v8, v9, v7
	v_dot4_i32_i8 v2, v27, v2, v7
	v_lshlrev_b32_sdwa v7, v20, v28 dst_sel:DWORD dst_unused:UNUSED_PAD src0_sel:DWORD src1_sel:BYTE_0
	global_load_dword v7, v7, s[0:1]
	v_lshlrev_b32_sdwa v8, v20, v28 dst_sel:DWORD dst_unused:UNUSED_PAD src0_sel:DWORD src1_sel:BYTE_1
	global_load_dword v8, v8, s[0:1]
	v_bfe_u32 v9, v29, 14, 8
	v_bcnt_u32_b32 v27, v9, 0
	v_and_b32_e32 v27, 1, v27
	v_lshlrev_b32_e32 v27, 7, v27
	v_xor_b32_e32 v9, v27, v9
	v_mul_lo_u32 v9, v9, s10
	v_and_b32_e32 v27, 0x8040201, v9
	v_cmp_ne_u16_sdwa s[12:13], v27, v10 src0_sel:BYTE_3 src1_sel:DWORD
	v_cmp_ne_u16_sdwa s[16:17], v27, v10 src0_sel:BYTE_1 src1_sel:DWORD
	v_lshrrev_b32_e32 v30, 18, v9
	v_cndmask_b32_e64 v31, 0, -1, s[16:17]
	v_cndmask_b32_e64 v33, 0, -1, s[12:13]
	v_bfe_i32 v27, v9, 0, 1
	v_lshlrev_b16_e32 v31, 8, v31
	v_bfe_i32 v30, v30, 0, 1
	v_lshlrev_b16_e32 v33, 8, v33
	v_or_b32_sdwa v32, v27, v31 dst_sel:DWORD dst_unused:UNUSED_PAD src0_sel:BYTE_0 src1_sel:DWORD
	v_or_b32_sdwa v34, v30, v33 dst_sel:WORD_1 dst_unused:UNUSED_PAD src0_sel:BYTE_0 src1_sel:DWORD
	v_or_b32_sdwa v32, v32, v34 dst_sel:DWORD dst_unused:UNUSED_PAD src0_sel:WORD_0 src1_sel:DWORD
	v_lshlrev_b16_e32 v27, 8, v27
	v_lshlrev_b16_e32 v30, 8, v30
	s_waitcnt vmcnt(1)
	v_xor_b32_e32 v7, v7, v32
	v_and_b32_e32 v32, 0xffffff00, v7
	v_sub_i16 v31, v32, v31 clamp
	v_lshlrev_b16_e32 v32, 8, v7
	v_sub_i16 v27, v32, v27 clamp
	v_perm_b32 v27, v27, v31, s20
	v_and_b32_sdwa v31, v7, s19 dst_sel:DWORD dst_unused:UNUSED_PAD src0_sel:WORD_1 src1_sel:DWORD
	v_lshlrev_b16_sdwa v7, v21, v7 dst_sel:DWORD dst_unused:UNUSED_PAD src0_sel:DWORD src1_sel:WORD_1
	v_sub_i16 v31, v31, v33 clamp
	v_sub_i16 v7, v7, v30 clamp
	v_perm_b32 v7, v7, v31, s20
	v_lshl_or_b32 v7, v7, 16, v27
	v_and_b32_e32 v27, 0x80402010, v9
	v_cmp_ne_u16_sdwa s[12:13], v27, v10 src0_sel:BYTE_3 src1_sel:DWORD
	v_cmp_ne_u16_sdwa s[16:17], v27, v10 src0_sel:BYTE_1 src1_sel:DWORD
	v_dot4_i32_i8 v2, v7, v3, v2
	v_lshlrev_b32_sdwa v3, v20, v28 dst_sel:DWORD dst_unused:UNUSED_PAD src0_sel:DWORD src1_sel:BYTE_2
	v_lshrrev_b32_e32 v9, 22, v9
	v_lshrrev_b16_e32 v27, 4, v27
	v_cndmask_b32_e64 v30, 0, -1, s[16:17]
	v_cndmask_b32_e64 v32, 0, -1, s[12:13]
	global_load_dword v3, v3, s[0:1]
	v_bfe_i32 v27, v27, 0, 1
	v_lshlrev_b16_e32 v30, 8, v30
	v_bfe_i32 v9, v9, 0, 1
	v_lshlrev_b16_e32 v32, 8, v32
	v_or_b32_sdwa v31, v27, v30 dst_sel:DWORD dst_unused:UNUSED_PAD src0_sel:BYTE_0 src1_sel:DWORD
	v_or_b32_sdwa v33, v9, v32 dst_sel:WORD_1 dst_unused:UNUSED_PAD src0_sel:BYTE_0 src1_sel:DWORD
	v_or_b32_sdwa v31, v31, v33 dst_sel:DWORD dst_unused:UNUSED_PAD src0_sel:WORD_0 src1_sel:DWORD
	s_waitcnt vmcnt(1)
	v_xor_b32_e32 v8, v8, v31
	v_and_b32_e32 v31, 0xffffff00, v8
	v_sub_i16 v30, v31, v30 clamp
	v_lshlrev_b16_e32 v31, 8, v8
	v_lshlrev_b16_e32 v27, 8, v27
	v_sub_i16 v27, v31, v27 clamp
	v_perm_b32 v27, v27, v30, s20
	v_and_b32_sdwa v30, v8, s19 dst_sel:DWORD dst_unused:UNUSED_PAD src0_sel:WORD_1 src1_sel:DWORD
	v_lshlrev_b16_sdwa v8, v21, v8 dst_sel:DWORD dst_unused:UNUSED_PAD src0_sel:DWORD src1_sel:WORD_1
	v_lshlrev_b16_e32 v9, 8, v9
	v_sub_i16 v30, v30, v32 clamp
	v_sub_i16 v8, v8, v9 clamp
	v_perm_b32 v8, v8, v30, s20
	v_lshl_or_b32 v8, v8, 16, v27
	v_dot4_i32_i8 v2, v8, v4, v2
	v_lshlrev_b32_sdwa v4, v20, v28 dst_sel:DWORD dst_unused:UNUSED_PAD src0_sel:DWORD src1_sel:BYTE_3
	global_load_dword v4, v4, s[0:1]
	v_bfe_u32 v7, v29, 21, 8
	v_bcnt_u32_b32 v8, v7, 0
	v_and_b32_e32 v8, 1, v8
	v_lshlrev_b32_e32 v8, 7, v8
	v_xor_b32_e32 v7, v8, v7
	v_mul_lo_u32 v7, v7, s10
	v_and_b32_e32 v8, 0x8040201, v7
	v_cmp_ne_u16_sdwa s[0:1], v8, v10 src0_sel:BYTE_3 src1_sel:DWORD
	v_cmp_ne_u16_sdwa s[12:13], v8, v10 src0_sel:BYTE_1 src1_sel:DWORD
	v_lshrrev_b32_e32 v9, 18, v7
	v_cndmask_b32_e64 v27, 0, -1, s[12:13]
	v_cndmask_b32_e64 v30, 0, -1, s[0:1]
	v_bfe_i32 v8, v7, 0, 1
	v_lshlrev_b16_e32 v27, 8, v27
	v_bfe_i32 v9, v9, 0, 1
	v_lshlrev_b16_e32 v30, 8, v30
	v_or_b32_sdwa v28, v8, v27 dst_sel:DWORD dst_unused:UNUSED_PAD src0_sel:BYTE_0 src1_sel:DWORD
	v_or_b32_sdwa v31, v9, v30 dst_sel:WORD_1 dst_unused:UNUSED_PAD src0_sel:BYTE_0 src1_sel:DWORD
	v_or_b32_sdwa v28, v28, v31 dst_sel:DWORD dst_unused:UNUSED_PAD src0_sel:WORD_0 src1_sel:DWORD
	v_lshlrev_b16_e32 v8, 8, v8
	v_lshlrev_b16_e32 v9, 8, v9
	s_waitcnt vmcnt(1)
	v_xor_b32_e32 v3, v3, v28
	v_and_b32_e32 v28, 0xffffff00, v3
	v_sub_i16 v27, v28, v27 clamp
	v_lshlrev_b16_e32 v28, 8, v3
	v_sub_i16 v8, v28, v8 clamp
	v_perm_b32 v8, v8, v27, s20
	v_and_b32_sdwa v27, v3, s19 dst_sel:DWORD dst_unused:UNUSED_PAD src0_sel:WORD_1 src1_sel:DWORD
	v_lshlrev_b16_sdwa v3, v21, v3 dst_sel:DWORD dst_unused:UNUSED_PAD src0_sel:DWORD src1_sel:WORD_1
	v_sub_i16 v27, v27, v30 clamp
	v_sub_i16 v3, v3, v9 clamp
	v_perm_b32 v3, v3, v27, s20
	v_lshl_or_b32 v3, v3, 16, v8
	v_and_b32_e32 v8, 0x80402010, v7
	v_cmp_ne_u16_sdwa s[0:1], v8, v10 src0_sel:BYTE_3 src1_sel:DWORD
	v_cmp_ne_u16_sdwa s[12:13], v8, v10 src0_sel:BYTE_1 src1_sel:DWORD
	v_lshrrev_b32_e32 v7, 22, v7
	v_lshrrev_b16_e32 v8, 4, v8
	v_cndmask_b32_e64 v9, 0, -1, s[12:13]
	v_cndmask_b32_e64 v28, 0, -1, s[0:1]
	v_bfe_i32 v8, v8, 0, 1
	v_lshlrev_b16_e32 v9, 8, v9
	v_bfe_i32 v7, v7, 0, 1
	v_lshlrev_b16_e32 v28, 8, v28
	v_or_b32_sdwa v27, v8, v9 dst_sel:DWORD dst_unused:UNUSED_PAD src0_sel:BYTE_0 src1_sel:DWORD
	v_or_b32_sdwa v30, v7, v28 dst_sel:WORD_1 dst_unused:UNUSED_PAD src0_sel:BYTE_0 src1_sel:DWORD
	v_or_b32_sdwa v27, v27, v30 dst_sel:DWORD dst_unused:UNUSED_PAD src0_sel:WORD_0 src1_sel:DWORD
	s_waitcnt vmcnt(0)
	v_xor_b32_e32 v4, v4, v27
	v_and_b32_e32 v27, 0xffffff00, v4
	v_sub_i16 v9, v27, v9 clamp
	v_lshlrev_b16_e32 v27, 8, v4
	v_lshlrev_b16_e32 v8, 8, v8
	v_sub_i16 v8, v27, v8 clamp
	v_perm_b32 v8, v8, v9, s20
	v_and_b32_sdwa v9, v4, s19 dst_sel:DWORD dst_unused:UNUSED_PAD src0_sel:WORD_1 src1_sel:DWORD
	v_lshlrev_b16_sdwa v4, v21, v4 dst_sel:DWORD dst_unused:UNUSED_PAD src0_sel:DWORD src1_sel:WORD_1
	v_lshlrev_b16_e32 v7, 8, v7
	v_sub_i16 v9, v9, v28 clamp
	v_sub_i16 v4, v4, v7 clamp
	v_perm_b32 v4, v4, v9, s20
	v_lshl_or_b32 v4, v4, 16, v8
	v_dot4_i32_i8 v2, v3, v5, v2
	v_dot4_i32_i8 v3, v4, v26, v2
	v_lshrrev_b32_e32 v2, 31, v3
	v_add_u32_e32 v2, v3, v2
	v_lshrrev_b32_e32 v4, 28, v29
	v_ashrrev_i32_e32 v2, 1, v2
	v_mad_u64_u32 v[2:3], s[0:1], v3, v4, v[2:3]
	v_lshrrev_b32_e32 v3, 31, v2
	v_add_u32_e32 v2, v2, v3
	global_load_ushort v3, v[15:16], off
	v_ashrrev_i32_e32 v2, 1, v2
	v_cvt_f32_i32_e32 v2, v2
	s_waitcnt vmcnt(0)
	v_cvt_f32_f16_e32 v3, v3
	v_mul_f32_e32 v3, v3, v6
	v_fmac_f32_e32 v19, v3, v2
	s_andn2_b64 exec, exec, s[4:5]
	s_cbranch_execnz .LBB192_3
; %bb.4:
	s_or_b64 exec, exec, s[4:5]
.LBB192_5:
	s_or_b64 exec, exec, s[24:25]
	v_mbcnt_lo_u32_b32 v2, -1, 0
	v_mbcnt_hi_u32_b32 v2, -1, v2
	v_and_b32_e32 v3, 64, v2
	v_add_u32_e32 v3, 64, v3
	v_xor_b32_e32 v4, 32, v2
	v_cmp_lt_i32_e32 vcc, v4, v3
	v_cndmask_b32_e32 v4, v2, v4, vcc
	v_lshlrev_b32_e32 v4, 2, v4
	ds_bpermute_b32 v7, v4, v18
	ds_bpermute_b32 v4, v4, v19
	v_xor_b32_e32 v5, 16, v2
	v_cmp_lt_i32_e32 vcc, v5, v3
	v_cndmask_b32_e32 v5, v2, v5, vcc
	v_lshlrev_b32_e32 v5, 2, v5
	s_waitcnt lgkmcnt(1)
	v_add_f32_e32 v7, v18, v7
	s_waitcnt lgkmcnt(0)
	v_add_f32_e32 v4, v19, v4
	ds_bpermute_b32 v9, v5, v7
	ds_bpermute_b32 v5, v5, v4
	v_xor_b32_e32 v6, 8, v2
	v_cmp_lt_i32_e32 vcc, v6, v3
	v_cndmask_b32_e32 v6, v2, v6, vcc
	v_lshlrev_b32_e32 v6, 2, v6
	s_waitcnt lgkmcnt(1)
	v_add_f32_e32 v7, v7, v9
	s_waitcnt lgkmcnt(0)
	v_add_f32_e32 v4, v4, v5
	;; [unrolled: 10-line block ×5, first 2 shown]
	ds_bpermute_b32 v3, v6, v2
	ds_bpermute_b32 v5, v6, v4
	v_add_u32_e32 v6, s6, v0
	v_cmp_gt_u32_e32 vcc, 2, v0
	v_cmp_gt_u32_e64 s[0:1], s8, v6
	s_and_b64 s[0:1], vcc, s[0:1]
	s_and_b64 exec, exec, s[0:1]
	s_cbranch_execz .LBB192_7
; %bb.6:
	v_mul_lo_u32 v1, s11, v1
	v_cmp_eq_u32_e32 vcc, 1, v0
	s_mul_i32 s0, s14, s7
	v_or_b32_e32 v0, s6, v0
	v_add3_u32 v0, v0, v1, s0
	v_mov_b32_e32 v1, 0
	v_lshlrev_b64 v[0:1], 2, v[0:1]
	s_waitcnt lgkmcnt(1)
	v_add_f32_e32 v2, v2, v3
	s_waitcnt lgkmcnt(0)
	v_add_f32_e32 v3, v4, v5
	v_cndmask_b32_e32 v2, v2, v3, vcc
	v_mov_b32_e32 v3, s23
	v_add_co_u32_e32 v0, vcc, s22, v0
	v_addc_co_u32_e32 v1, vcc, v3, v1, vcc
	global_store_dword v[0:1], v2, off
.LBB192_7:
	s_endpgm
	.section	.rodata,"a",@progbits
	.p2align	6, 0x0
	.amdhsa_kernel _ZL17mul_mat_vec_q_moeIL9ggml_type18ELi2EEvPKvS2_PKiPfj15HIP_vector_typeIjLj3EEjjjjjjjjj
		.amdhsa_group_segment_fixed_size 0
		.amdhsa_private_segment_fixed_size 0
		.amdhsa_kernarg_size 84
		.amdhsa_user_sgpr_count 6
		.amdhsa_user_sgpr_private_segment_buffer 1
		.amdhsa_user_sgpr_dispatch_ptr 0
		.amdhsa_user_sgpr_queue_ptr 0
		.amdhsa_user_sgpr_kernarg_segment_ptr 1
		.amdhsa_user_sgpr_dispatch_id 0
		.amdhsa_user_sgpr_flat_scratch_init 0
		.amdhsa_user_sgpr_private_segment_size 0
		.amdhsa_uses_dynamic_stack 0
		.amdhsa_system_sgpr_private_segment_wavefront_offset 0
		.amdhsa_system_sgpr_workgroup_id_x 1
		.amdhsa_system_sgpr_workgroup_id_y 1
		.amdhsa_system_sgpr_workgroup_id_z 0
		.amdhsa_system_sgpr_workgroup_info 0
		.amdhsa_system_vgpr_workitem_id 1
		.amdhsa_next_free_vgpr 39
		.amdhsa_next_free_sgpr 28
		.amdhsa_reserve_vcc 1
		.amdhsa_reserve_flat_scratch 0
		.amdhsa_float_round_mode_32 0
		.amdhsa_float_round_mode_16_64 0
		.amdhsa_float_denorm_mode_32 3
		.amdhsa_float_denorm_mode_16_64 3
		.amdhsa_dx10_clamp 1
		.amdhsa_ieee_mode 1
		.amdhsa_fp16_overflow 0
		.amdhsa_exception_fp_ieee_invalid_op 0
		.amdhsa_exception_fp_denorm_src 0
		.amdhsa_exception_fp_ieee_div_zero 0
		.amdhsa_exception_fp_ieee_overflow 0
		.amdhsa_exception_fp_ieee_underflow 0
		.amdhsa_exception_fp_ieee_inexact 0
		.amdhsa_exception_int_div_zero 0
	.end_amdhsa_kernel
	.section	.text._ZL17mul_mat_vec_q_moeIL9ggml_type18ELi2EEvPKvS2_PKiPfj15HIP_vector_typeIjLj3EEjjjjjjjjj,"axG",@progbits,_ZL17mul_mat_vec_q_moeIL9ggml_type18ELi2EEvPKvS2_PKiPfj15HIP_vector_typeIjLj3EEjjjjjjjjj,comdat
.Lfunc_end192:
	.size	_ZL17mul_mat_vec_q_moeIL9ggml_type18ELi2EEvPKvS2_PKiPfj15HIP_vector_typeIjLj3EEjjjjjjjjj, .Lfunc_end192-_ZL17mul_mat_vec_q_moeIL9ggml_type18ELi2EEvPKvS2_PKiPfj15HIP_vector_typeIjLj3EEjjjjjjjjj
                                        ; -- End function
	.set _ZL17mul_mat_vec_q_moeIL9ggml_type18ELi2EEvPKvS2_PKiPfj15HIP_vector_typeIjLj3EEjjjjjjjjj.num_vgpr, 39
	.set _ZL17mul_mat_vec_q_moeIL9ggml_type18ELi2EEvPKvS2_PKiPfj15HIP_vector_typeIjLj3EEjjjjjjjjj.num_agpr, 0
	.set _ZL17mul_mat_vec_q_moeIL9ggml_type18ELi2EEvPKvS2_PKiPfj15HIP_vector_typeIjLj3EEjjjjjjjjj.numbered_sgpr, 28
	.set _ZL17mul_mat_vec_q_moeIL9ggml_type18ELi2EEvPKvS2_PKiPfj15HIP_vector_typeIjLj3EEjjjjjjjjj.num_named_barrier, 0
	.set _ZL17mul_mat_vec_q_moeIL9ggml_type18ELi2EEvPKvS2_PKiPfj15HIP_vector_typeIjLj3EEjjjjjjjjj.private_seg_size, 0
	.set _ZL17mul_mat_vec_q_moeIL9ggml_type18ELi2EEvPKvS2_PKiPfj15HIP_vector_typeIjLj3EEjjjjjjjjj.uses_vcc, 1
	.set _ZL17mul_mat_vec_q_moeIL9ggml_type18ELi2EEvPKvS2_PKiPfj15HIP_vector_typeIjLj3EEjjjjjjjjj.uses_flat_scratch, 0
	.set _ZL17mul_mat_vec_q_moeIL9ggml_type18ELi2EEvPKvS2_PKiPfj15HIP_vector_typeIjLj3EEjjjjjjjjj.has_dyn_sized_stack, 0
	.set _ZL17mul_mat_vec_q_moeIL9ggml_type18ELi2EEvPKvS2_PKiPfj15HIP_vector_typeIjLj3EEjjjjjjjjj.has_recursion, 0
	.set _ZL17mul_mat_vec_q_moeIL9ggml_type18ELi2EEvPKvS2_PKiPfj15HIP_vector_typeIjLj3EEjjjjjjjjj.has_indirect_call, 0
	.section	.AMDGPU.csdata,"",@progbits
; Kernel info:
; codeLenInByte = 4848
; TotalNumSgprs: 32
; NumVgprs: 39
; ScratchSize: 0
; MemoryBound: 0
; FloatMode: 240
; IeeeMode: 1
; LDSByteSize: 0 bytes/workgroup (compile time only)
; SGPRBlocks: 3
; VGPRBlocks: 9
; NumSGPRsForWavesPerEU: 32
; NumVGPRsForWavesPerEU: 39
; Occupancy: 6
; WaveLimiterHint : 1
; COMPUTE_PGM_RSRC2:SCRATCH_EN: 0
; COMPUTE_PGM_RSRC2:USER_SGPR: 6
; COMPUTE_PGM_RSRC2:TRAP_HANDLER: 0
; COMPUTE_PGM_RSRC2:TGID_X_EN: 1
; COMPUTE_PGM_RSRC2:TGID_Y_EN: 1
; COMPUTE_PGM_RSRC2:TGID_Z_EN: 0
; COMPUTE_PGM_RSRC2:TIDIG_COMP_CNT: 1
	.section	.text._ZL13mul_mat_vec_qIL9ggml_type18ELi1ELb1ELb1EEvPKvS2_PKi31ggml_cuda_mm_fusion_args_devicePfj15HIP_vector_typeIjLj3EEjjjS8_jjjS8_jjjj,"axG",@progbits,_ZL13mul_mat_vec_qIL9ggml_type18ELi1ELb1ELb1EEvPKvS2_PKi31ggml_cuda_mm_fusion_args_devicePfj15HIP_vector_typeIjLj3EEjjjS8_jjjS8_jjjj,comdat
	.globl	_ZL13mul_mat_vec_qIL9ggml_type18ELi1ELb1ELb1EEvPKvS2_PKi31ggml_cuda_mm_fusion_args_devicePfj15HIP_vector_typeIjLj3EEjjjS8_jjjS8_jjjj ; -- Begin function _ZL13mul_mat_vec_qIL9ggml_type18ELi1ELb1ELb1EEvPKvS2_PKi31ggml_cuda_mm_fusion_args_devicePfj15HIP_vector_typeIjLj3EEjjjS8_jjjS8_jjjj
	.p2align	8
	.type	_ZL13mul_mat_vec_qIL9ggml_type18ELi1ELb1ELb1EEvPKvS2_PKi31ggml_cuda_mm_fusion_args_devicePfj15HIP_vector_typeIjLj3EEjjjS8_jjjS8_jjjj,@function
_ZL13mul_mat_vec_qIL9ggml_type18ELi1ELb1ELb1EEvPKvS2_PKi31ggml_cuda_mm_fusion_args_devicePfj15HIP_vector_typeIjLj3EEjjjS8_jjjS8_jjjj: ; @_ZL13mul_mat_vec_qIL9ggml_type18ELi1ELb1ELb1EEvPKvS2_PKi31ggml_cuda_mm_fusion_args_devicePfj15HIP_vector_typeIjLj3EEjjjS8_jjjS8_jjjj
; %bb.0:
	s_load_dwordx8 s[12:19], s[4:5], 0x0
	s_load_dwordx4 s[28:31], s[4:5], 0x20
	s_load_dwordx4 s[36:39], s[4:5], 0x40
	s_mov_b32 s34, s7
	s_mov_b64 s[2:3], 0
	s_waitcnt lgkmcnt(0)
	s_cmp_lg_u64 s[16:17], 0
	s_cselect_b64 s[0:1], -1, 0
	s_cmp_eq_u64 s[16:17], 0
	s_cbranch_scc1 .LBB193_5
; %bb.1:
	s_mov_b32 s35, 0
	s_lshl_b64 s[10:11], s[34:35], 2
	s_add_u32 s10, s16, s10
	s_addc_u32 s11, s17, s11
	s_load_dword s21, s[10:11], 0x0
	s_load_dword s20, s[4:5], 0x50
	;; [unrolled: 1-line block ×3, first 2 shown]
	s_andn2_b64 vcc, exec, s[2:3]
	s_cbranch_vccnz .LBB193_3
.LBB193_2:
	s_load_dwordx2 s[2:3], s[4:5], 0x5c
	s_waitcnt lgkmcnt(0)
	s_mul_hi_u32 s2, s2, s34
	s_add_i32 s2, s34, s2
	s_lshr_b32 s21, s2, s3
.LBB193_3:
	s_andn2_b64 vcc, exec, s[0:1]
	s_cbranch_vccnz .LBB193_6
; %bb.4:
	s_mul_hi_u32 s0, s37, s34
	s_add_i32 s0, s34, s0
	s_lshr_b32 s0, s0, s38
	s_mul_i32 s0, s0, s39
	s_sub_i32 s23, s34, s0
	s_waitcnt lgkmcnt(0)
	s_mov_b32 s24, s21
	s_branch .LBB193_7
.LBB193_5:
                                        ; implicit-def: $sgpr21
	s_load_dword s20, s[4:5], 0x50
	s_load_dword s22, s[4:5], 0x78
	s_branch .LBB193_2
.LBB193_6:
	s_mov_b32 s24, s34
	s_mov_b32 s23, s34
.LBB193_7:
	s_load_dword s9, s[4:5], 0x58
	s_lshl_b32 s16, s6, 1
	s_cmp_eq_u64 s[18:19], 0
	s_cselect_b64 s[0:1], -1, 0
	v_mov_b32_e32 v26, 0
	s_and_b64 vcc, exec, s[0:1]
	v_cmp_gt_u32_e64 s[2:3], 2, v0
	v_cmp_eq_u32_e64 s[6:7], 0, v1
	v_add_u32_e32 v25, s16, v0
	v_mov_b32_e32 v27, 0
	s_cbranch_vccnz .LBB193_11
; %bb.8:
	s_waitcnt lgkmcnt(0)
	v_cmp_gt_u32_e32 vcc, s9, v25
	s_and_b64 s[2:3], s[2:3], vcc
	s_mov_b32 s11, 0
	s_and_b64 s[6:7], s[2:3], s[6:7]
	v_mov_b32_e32 v27, 0
	s_and_saveexec_b64 s[2:3], s[6:7]
	s_cbranch_execz .LBB193_10
; %bb.9:
	s_load_dwordx4 s[40:43], s[4:5], 0x80
	v_lshlrev_b32_e32 v2, 2, v0
	s_waitcnt lgkmcnt(0)
	s_mul_i32 s10, s42, s8
	s_load_dwordx4 s[40:43], s[4:5], 0x68
	s_lshl_b64 s[6:7], s[10:11], 2
	s_add_u32 s17, s18, s6
	s_addc_u32 s18, s19, s7
	s_waitcnt lgkmcnt(0)
	s_mul_i32 s10, s24, s42
	s_lshl_b64 s[6:7], s[10:11], 2
	s_add_u32 s10, s17, s6
	s_addc_u32 s11, s18, s7
	s_ashr_i32 s17, s16, 31
	s_lshl_b64 s[6:7], s[16:17], 2
	s_add_u32 s6, s10, s6
	s_addc_u32 s7, s11, s7
	global_load_dword v27, v2, s[6:7]
.LBB193_10:
	s_or_b64 exec, exec, s[2:3]
.LBB193_11:
	s_cmp_lg_u64 s[28:29], 0
	s_cselect_b64 s[18:19], -1, 0
	s_cmp_eq_u64 s[28:29], 0
	s_cselect_b64 s[2:3], -1, 0
	s_cmp_lg_u64 s[30:31], 0
	s_cselect_b64 s[26:27], -1, 0
                                        ; implicit-def: $vgpr82 : SGPR spill to VGPR lane
	s_and_b64 s[6:7], s[26:27], s[18:19]
	v_writelane_b32 v82, s2, 0
	s_andn2_b64 vcc, exec, s[6:7]
	s_waitcnt lgkmcnt(0)
	v_cmp_gt_u32_e64 s[6:7], s9, v25
	v_writelane_b32 v82, s3, 1
	s_cbranch_vccnz .LBB193_15
; %bb.12:
	v_cmp_gt_u32_e32 vcc, 2, v0
	v_cmp_eq_u32_e64 s[10:11], 0, v1
	s_and_b64 s[6:7], vcc, s[6:7]
	s_mov_b32 s41, 0
	s_and_b64 s[10:11], s[6:7], s[10:11]
	v_mov_b32_e32 v26, 0
	s_and_saveexec_b64 s[6:7], s[10:11]
	s_cbranch_execz .LBB193_14
; %bb.13:
	s_load_dwordx4 s[44:47], s[4:5], 0x80
	v_lshlrev_b32_e32 v2, 2, v0
	s_waitcnt lgkmcnt(0)
	s_mul_i32 s40, s46, s8
	s_load_dwordx4 s[44:47], s[4:5], 0x68
	s_lshl_b64 s[10:11], s[40:41], 2
	s_add_u32 s2, s30, s10
	s_addc_u32 s3, s31, s11
	s_waitcnt lgkmcnt(0)
	s_mul_i32 s40, s24, s46
	s_lshl_b64 s[10:11], s[40:41], 2
	s_add_u32 s2, s2, s10
	s_addc_u32 s3, s3, s11
	s_ashr_i32 s17, s16, 31
	s_lshl_b64 s[10:11], s[16:17], 2
	s_add_u32 s10, s2, s10
	s_addc_u32 s11, s3, s11
	global_load_dword v26, v2, s[10:11]
.LBB193_14:
	s_or_b64 exec, exec, s[6:7]
.LBB193_15:
	v_lshl_add_u32 v2, v1, 6, v0
	v_mov_b32_e32 v12, 0
	s_lshr_b32 s17, s36, 8
	v_lshrrev_b32_e32 v29, 3, v2
	v_mov_b32_e32 v13, v12
	v_mov_b32_e32 v10, v12
	v_cmp_gt_u32_e32 vcc, s17, v29
	v_cndmask_b32_e64 v28, 0, 1, s[18:19]
	v_mov_b32_e32 v14, v12
	v_mov_b32_e32 v11, v13
	s_and_saveexec_b64 s[30:31], vcc
	s_cbranch_execz .LBB193_23
; %bb.16:
	v_writelane_b32 v82, s26, 2
	v_writelane_b32 v82, s27, 3
	s_load_dwordx4 s[24:27], s[4:5], 0x68
	s_load_dwordx4 s[36:39], s[4:5], 0x80
	v_lshlrev_b32_e32 v3, 1, v0
	v_and_b32_e32 v4, 14, v3
	v_lshrrev_b32_e32 v7, 3, v2
	s_waitcnt lgkmcnt(0)
	s_mul_hi_u32 s2, s27, s8
	s_add_i32 s2, s8, s2
	s_lshr_b32 s2, s2, s22
	s_mul_i32 s3, s21, s24
	s_mul_i32 s2, s2, s36
	;; [unrolled: 1-line block ×3, first 2 shown]
	s_add_i32 s27, s3, s2
	s_mul_hi_u32 s2, s6, 36
	s_mul_i32 s6, s6, 36
	v_mov_b32_e32 v2, s6
	v_mov_b32_e32 v3, s2
	s_movk_i32 s2, 0x120
	v_mad_u64_u32 v[2:3], s[6:7], v7, s2, v[2:3]
	s_mul_i32 s10, s37, s8
	v_and_b32_e32 v6, 7, v0
	v_mad_u64_u32 v[2:3], s[6:7], s10, 36, v[2:3]
	s_mul_i32 s2, s16, s20
	v_mov_b32_e32 v13, 0
	v_mad_u64_u32 v[2:3], s[6:7], v6, 36, v[2:3]
	v_mov_b32_e32 v6, s15
	s_add_i32 s23, s27, s2
	v_add_co_u32_e32 v2, vcc, s14, v2
	s_add_i32 s2, s16, 1
	v_addc_co_u32_e32 v3, vcc, v6, v3, vcc
	v_lshlrev_b32_e32 v5, 1, v4
	s_mul_i32 s20, s20, s2
	v_add_co_u32_e32 v15, vcc, 32, v2
	v_mov_b32_e32 v14, v13
	v_mov_b32_e32 v18, s13
	v_mov_b32_e32 v10, v13
	s_add_i32 s27, s27, s20
	v_addc_co_u32_e32 v16, vcc, 0, v3, vcc
	s_mov_b64 s[14:15], 0
	s_movk_i32 s33, 0x62
	v_mov_b32_e32 v17, s12
	v_lshlrev_b32_e32 v30, 1, v4
	s_mov_b32 s35, 0x1010101
	s_movk_i32 s26, 0xff00
	s_mov_b32 s22, 0xc0c0105
	v_lshlrev_b32_e32 v31, 1, v5
	v_mov_b32_e32 v32, 2
	v_cmp_ne_u32_e64 s[6:7], 1, v28
	v_mov_b32_e32 v33, 8
	v_mov_b32_e32 v11, v14
	;; [unrolled: 1-line block ×4, first 2 shown]
	s_branch .LBB193_18
.LBB193_17:                             ;   in Loop: Header=BB193_18 Depth=1
	v_lshrrev_b32_e32 v19, 18, v62
	v_cndmask_b32_e64 v67, 0, -1, s[94:95]
	v_cndmask_b32_e64 v69, 0, -1, s[92:93]
	v_bfe_i32 v20, v62, 0, 1
	v_lshlrev_b16_e32 v67, 8, v67
	v_bfe_i32 v19, v19, 0, 1
	v_lshlrev_b16_e32 v69, 8, v69
	v_or_b32_sdwa v68, v20, v67 dst_sel:DWORD dst_unused:UNUSED_PAD src0_sel:BYTE_0 src1_sel:DWORD
	v_or_b32_sdwa v70, v19, v69 dst_sel:WORD_1 dst_unused:UNUSED_PAD src0_sel:BYTE_0 src1_sel:DWORD
	v_or_b32_sdwa v68, v68, v70 dst_sel:DWORD dst_unused:UNUSED_PAD src0_sel:WORD_0 src1_sel:DWORD
	v_xor_b32_e32 v44, v44, v68
	v_and_b32_e32 v68, 0xffffff00, v44
	v_sub_i16 v67, v68, v67 clamp
	v_lshlrev_b16_e32 v68, 8, v44
	v_lshlrev_b16_e32 v20, 8, v20
	v_sub_i16 v20, v68, v20 clamp
	v_perm_b32 v20, v20, v67, s22
	v_and_b32_sdwa v67, v44, s26 dst_sel:DWORD dst_unused:UNUSED_PAD src0_sel:WORD_1 src1_sel:DWORD
	v_lshlrev_b16_sdwa v44, v33, v44 dst_sel:DWORD dst_unused:UNUSED_PAD src0_sel:DWORD src1_sel:WORD_1
	v_lshlrev_b16_e32 v19, 8, v19
	v_sub_i16 v67, v67, v69 clamp
	v_sub_i16 v19, v44, v19 clamp
	v_perm_b32 v19, v19, v67, s22
	v_lshl_or_b32 v19, v19, 16, v20
	v_lshrrev_b32_e32 v20, 22, v62
	v_lshrrev_b16_e32 v44, 4, v66
	v_cndmask_b32_e64 v62, 0, -1, s[88:89]
	v_cndmask_b32_e64 v67, 0, -1, s[84:85]
	v_bfe_i32 v44, v44, 0, 1
	v_lshlrev_b16_e32 v62, 8, v62
	v_bfe_i32 v20, v20, 0, 1
	v_lshlrev_b16_e32 v67, 8, v67
	v_or_b32_sdwa v66, v44, v62 dst_sel:DWORD dst_unused:UNUSED_PAD src0_sel:BYTE_0 src1_sel:DWORD
	v_or_b32_sdwa v68, v20, v67 dst_sel:WORD_1 dst_unused:UNUSED_PAD src0_sel:BYTE_0 src1_sel:DWORD
	v_or_b32_sdwa v66, v66, v68 dst_sel:DWORD dst_unused:UNUSED_PAD src0_sel:WORD_0 src1_sel:DWORD
	v_xor_b32_e32 v43, v43, v66
	v_and_b32_e32 v66, 0xffffff00, v43
	v_sub_i16 v62, v66, v62 clamp
	v_lshlrev_b16_e32 v66, 8, v43
	v_lshlrev_b16_e32 v44, 8, v44
	v_sub_i16 v44, v66, v44 clamp
	v_perm_b32 v44, v44, v62, s22
	v_and_b32_sdwa v62, v43, s26 dst_sel:DWORD dst_unused:UNUSED_PAD src0_sel:WORD_1 src1_sel:DWORD
	v_lshlrev_b16_sdwa v43, v33, v43 dst_sel:DWORD dst_unused:UNUSED_PAD src0_sel:DWORD src1_sel:WORD_1
	v_lshlrev_b16_e32 v20, 8, v20
	v_sub_i16 v62, v62, v67 clamp
	v_sub_i16 v20, v43, v20 clamp
	v_perm_b32 v20, v20, v62, s22
	v_lshl_or_b32 v20, v20, 16, v44
	v_dot4_i32_i8 v19, v19, v7, 0
	v_dot4_i32_i8 v19, v20, v8, v19
	v_lshrrev_b32_e32 v20, 18, v59
	v_cndmask_b32_e64 v44, 0, -1, s[90:91]
	v_cndmask_b32_e64 v66, 0, -1, s[86:87]
	v_bfe_i32 v43, v59, 0, 1
	v_lshlrev_b16_e32 v44, 8, v44
	v_bfe_i32 v20, v20, 0, 1
	v_lshlrev_b16_e32 v66, 8, v66
	v_or_b32_sdwa v62, v43, v44 dst_sel:DWORD dst_unused:UNUSED_PAD src0_sel:BYTE_0 src1_sel:DWORD
	v_or_b32_sdwa v67, v20, v66 dst_sel:WORD_1 dst_unused:UNUSED_PAD src0_sel:BYTE_0 src1_sel:DWORD
	v_or_b32_sdwa v62, v62, v67 dst_sel:DWORD dst_unused:UNUSED_PAD src0_sel:WORD_0 src1_sel:DWORD
	v_xor_b32_e32 v42, v42, v62
	v_and_b32_e32 v62, 0xffffff00, v42
	v_sub_i16 v44, v62, v44 clamp
	v_lshlrev_b16_e32 v62, 8, v42
	v_lshlrev_b16_e32 v43, 8, v43
	v_sub_i16 v43, v62, v43 clamp
	v_perm_b32 v43, v43, v44, s22
	v_and_b32_sdwa v44, v42, s26 dst_sel:DWORD dst_unused:UNUSED_PAD src0_sel:WORD_1 src1_sel:DWORD
	v_lshlrev_b16_sdwa v42, v33, v42 dst_sel:DWORD dst_unused:UNUSED_PAD src0_sel:DWORD src1_sel:WORD_1
	v_lshlrev_b16_e32 v20, 8, v20
	v_sub_i16 v44, v44, v66 clamp
	v_sub_i16 v20, v42, v20 clamp
	v_perm_b32 v20, v20, v44, s22
	v_lshl_or_b32 v20, v20, 16, v43
	v_lshrrev_b32_e32 v42, 22, v59
	v_lshrrev_b16_e32 v43, 4, v65
	v_cndmask_b32_e64 v44, 0, -1, s[82:83]
	v_cndmask_b32_e64 v62, 0, -1, s[80:81]
	v_bfe_i32 v43, v43, 0, 1
	v_lshlrev_b16_e32 v44, 8, v44
	v_bfe_i32 v42, v42, 0, 1
	v_lshlrev_b16_e32 v62, 8, v62
	v_or_b32_sdwa v59, v43, v44 dst_sel:DWORD dst_unused:UNUSED_PAD src0_sel:BYTE_0 src1_sel:DWORD
	v_or_b32_sdwa v65, v42, v62 dst_sel:WORD_1 dst_unused:UNUSED_PAD src0_sel:BYTE_0 src1_sel:DWORD
	v_or_b32_sdwa v59, v59, v65 dst_sel:DWORD dst_unused:UNUSED_PAD src0_sel:WORD_0 src1_sel:DWORD
	v_xor_b32_e32 v41, v41, v59
	v_and_b32_e32 v59, 0xffffff00, v41
	v_sub_i16 v44, v59, v44 clamp
	v_lshlrev_b16_e32 v59, 8, v41
	v_lshlrev_b16_e32 v43, 8, v43
	v_sub_i16 v43, v59, v43 clamp
	v_perm_b32 v43, v43, v44, s22
	v_and_b32_sdwa v44, v41, s26 dst_sel:DWORD dst_unused:UNUSED_PAD src0_sel:WORD_1 src1_sel:DWORD
	v_lshlrev_b16_sdwa v41, v33, v41 dst_sel:DWORD dst_unused:UNUSED_PAD src0_sel:DWORD src1_sel:WORD_1
	v_lshlrev_b16_e32 v42, 8, v42
	v_sub_i16 v44, v44, v62 clamp
	v_sub_i16 v41, v41, v42 clamp
	v_perm_b32 v41, v41, v44, s22
	v_lshl_or_b32 v41, v41, 16, v43
	v_dot4_i32_i8 v19, v20, v9, v19
	v_lshrrev_b32_e32 v20, 18, v63
	v_cndmask_b32_e64 v42, 0, -1, s[78:79]
	v_cndmask_b32_e64 v44, 0, -1, s[76:77]
	v_dot4_i32_i8 v19, v41, v2, v19
	v_bfe_i32 v41, v63, 0, 1
	v_lshlrev_b16_e32 v42, 8, v42
	v_bfe_i32 v20, v20, 0, 1
	v_lshlrev_b16_e32 v44, 8, v44
	v_or_b32_sdwa v43, v41, v42 dst_sel:DWORD dst_unused:UNUSED_PAD src0_sel:BYTE_0 src1_sel:DWORD
	v_or_b32_sdwa v59, v20, v44 dst_sel:WORD_1 dst_unused:UNUSED_PAD src0_sel:BYTE_0 src1_sel:DWORD
	v_or_b32_sdwa v43, v43, v59 dst_sel:DWORD dst_unused:UNUSED_PAD src0_sel:WORD_0 src1_sel:DWORD
	v_xor_b32_e32 v40, v40, v43
	v_and_b32_e32 v43, 0xffffff00, v40
	v_sub_i16 v42, v43, v42 clamp
	v_lshlrev_b16_e32 v43, 8, v40
	v_lshlrev_b16_e32 v41, 8, v41
	v_sub_i16 v41, v43, v41 clamp
	v_perm_b32 v41, v41, v42, s22
	v_and_b32_sdwa v42, v40, s26 dst_sel:DWORD dst_unused:UNUSED_PAD src0_sel:WORD_1 src1_sel:DWORD
	v_lshlrev_b16_sdwa v40, v33, v40 dst_sel:DWORD dst_unused:UNUSED_PAD src0_sel:DWORD src1_sel:WORD_1
	v_lshlrev_b16_e32 v20, 8, v20
	v_sub_i16 v42, v42, v44 clamp
	v_sub_i16 v20, v40, v20 clamp
	v_perm_b32 v20, v20, v42, s22
	v_lshl_or_b32 v20, v20, 16, v41
	v_lshrrev_b32_e32 v40, 22, v63
	v_lshrrev_b16_e32 v41, 4, v64
	v_cndmask_b32_e64 v42, 0, -1, s[74:75]
	v_cndmask_b32_e64 v44, 0, -1, s[72:73]
	v_bfe_i32 v41, v41, 0, 1
	v_lshlrev_b16_e32 v42, 8, v42
	v_bfe_i32 v40, v40, 0, 1
	v_lshlrev_b16_e32 v44, 8, v44
	v_or_b32_sdwa v43, v41, v42 dst_sel:DWORD dst_unused:UNUSED_PAD src0_sel:BYTE_0 src1_sel:DWORD
	v_or_b32_sdwa v59, v40, v44 dst_sel:WORD_1 dst_unused:UNUSED_PAD src0_sel:BYTE_0 src1_sel:DWORD
	v_or_b32_sdwa v43, v43, v59 dst_sel:DWORD dst_unused:UNUSED_PAD src0_sel:WORD_0 src1_sel:DWORD
	v_xor_b32_e32 v39, v39, v43
	v_and_b32_e32 v43, 0xffffff00, v39
	v_sub_i16 v42, v43, v42 clamp
	v_lshlrev_b16_e32 v43, 8, v39
	v_lshlrev_b16_e32 v41, 8, v41
	v_sub_i16 v41, v43, v41 clamp
	v_perm_b32 v41, v41, v42, s22
	v_and_b32_sdwa v42, v39, s26 dst_sel:DWORD dst_unused:UNUSED_PAD src0_sel:WORD_1 src1_sel:DWORD
	v_lshlrev_b16_sdwa v39, v33, v39 dst_sel:DWORD dst_unused:UNUSED_PAD src0_sel:DWORD src1_sel:WORD_1
	v_lshlrev_b16_e32 v40, 8, v40
	v_sub_i16 v42, v42, v44 clamp
	v_sub_i16 v39, v39, v40 clamp
	v_perm_b32 v39, v39, v42, s22
	v_lshl_or_b32 v39, v39, 16, v41
	v_dot4_i32_i8 v19, v20, v3, v19
	v_lshrrev_b32_e32 v20, 18, v60
	v_cndmask_b32_e64 v40, 0, -1, s[70:71]
	v_cndmask_b32_e64 v42, 0, -1, s[68:69]
	v_dot4_i32_i8 v19, v39, v4, v19
	v_bfe_i32 v39, v60, 0, 1
	v_lshlrev_b16_e32 v40, 8, v40
	v_bfe_i32 v20, v20, 0, 1
	v_lshlrev_b16_e32 v42, 8, v42
	v_or_b32_sdwa v41, v39, v40 dst_sel:DWORD dst_unused:UNUSED_PAD src0_sel:BYTE_0 src1_sel:DWORD
	v_or_b32_sdwa v43, v20, v42 dst_sel:WORD_1 dst_unused:UNUSED_PAD src0_sel:BYTE_0 src1_sel:DWORD
	v_or_b32_sdwa v41, v41, v43 dst_sel:DWORD dst_unused:UNUSED_PAD src0_sel:WORD_0 src1_sel:DWORD
	v_xor_b32_e32 v38, v38, v41
	v_and_b32_e32 v41, 0xffffff00, v38
	v_sub_i16 v40, v41, v40 clamp
	v_lshlrev_b16_e32 v41, 8, v38
	v_lshlrev_b16_e32 v39, 8, v39
	v_sub_i16 v39, v41, v39 clamp
	v_perm_b32 v39, v39, v40, s22
	v_and_b32_sdwa v40, v38, s26 dst_sel:DWORD dst_unused:UNUSED_PAD src0_sel:WORD_1 src1_sel:DWORD
	v_lshlrev_b16_sdwa v38, v33, v38 dst_sel:DWORD dst_unused:UNUSED_PAD src0_sel:DWORD src1_sel:WORD_1
	v_lshlrev_b16_e32 v20, 8, v20
	v_sub_i16 v40, v40, v42 clamp
	v_sub_i16 v20, v38, v20 clamp
	v_perm_b32 v20, v20, v40, s22
	v_lshl_or_b32 v20, v20, 16, v39
	v_lshrrev_b32_e32 v38, 22, v60
	v_lshrrev_b16_e32 v39, 4, v61
	v_cndmask_b32_e64 v40, 0, -1, s[66:67]
	v_cndmask_b32_e64 v42, 0, -1, s[64:65]
	v_bfe_i32 v39, v39, 0, 1
	v_lshlrev_b16_e32 v40, 8, v40
	v_bfe_i32 v38, v38, 0, 1
	v_lshlrev_b16_e32 v42, 8, v42
	v_or_b32_sdwa v41, v39, v40 dst_sel:DWORD dst_unused:UNUSED_PAD src0_sel:BYTE_0 src1_sel:DWORD
	v_or_b32_sdwa v43, v38, v42 dst_sel:WORD_1 dst_unused:UNUSED_PAD src0_sel:BYTE_0 src1_sel:DWORD
	v_or_b32_sdwa v41, v41, v43 dst_sel:DWORD dst_unused:UNUSED_PAD src0_sel:WORD_0 src1_sel:DWORD
	v_xor_b32_e32 v37, v37, v41
	v_and_b32_e32 v41, 0xffffff00, v37
	v_sub_i16 v40, v41, v40 clamp
	v_lshlrev_b16_e32 v41, 8, v37
	v_lshlrev_b16_e32 v39, 8, v39
	v_sub_i16 v39, v41, v39 clamp
	v_perm_b32 v39, v39, v40, s22
	v_and_b32_sdwa v40, v37, s26 dst_sel:DWORD dst_unused:UNUSED_PAD src0_sel:WORD_1 src1_sel:DWORD
	v_lshlrev_b16_sdwa v37, v33, v37 dst_sel:DWORD dst_unused:UNUSED_PAD src0_sel:DWORD src1_sel:WORD_1
	v_lshlrev_b16_e32 v38, 8, v38
	v_sub_i16 v40, v40, v42 clamp
	v_sub_i16 v37, v37, v38 clamp
	v_perm_b32 v37, v37, v40, s22
	v_lshl_or_b32 v37, v37, 16, v39
	v_dot4_i32_i8 v19, v20, v5, v19
	v_dot4_i32_i8 v20, v37, v34, v19
	v_lshrrev_b32_e32 v19, 31, v20
	v_add_u32_e32 v19, v20, v19
	v_lshrrev_b32_e32 v36, 28, v36
	v_ashrrev_i32_e32 v19, 1, v19
	v_mad_u64_u32 v[19:20], s[2:3], v20, v36, v[19:20]
	v_cndmask_b32_e64 v37, 0, -1, s[62:63]
	v_cndmask_b32_e64 v39, 0, -1, s[60:61]
	v_lshrrev_b32_e32 v20, 31, v19
	v_add_u32_e32 v19, v19, v20
	v_lshrrev_b32_e32 v20, 18, v57
	v_bfe_i32 v36, v57, 0, 1
	v_lshlrev_b16_e32 v37, 8, v37
	v_bfe_i32 v20, v20, 0, 1
	v_lshlrev_b16_e32 v39, 8, v39
	v_or_b32_sdwa v38, v36, v37 dst_sel:DWORD dst_unused:UNUSED_PAD src0_sel:BYTE_0 src1_sel:DWORD
	v_or_b32_sdwa v40, v20, v39 dst_sel:WORD_1 dst_unused:UNUSED_PAD src0_sel:BYTE_0 src1_sel:DWORD
	v_or_b32_sdwa v38, v38, v40 dst_sel:DWORD dst_unused:UNUSED_PAD src0_sel:WORD_0 src1_sel:DWORD
	s_waitcnt vmcnt(7)
	v_xor_b32_e32 v38, v55, v38
	v_and_b32_e32 v40, 0xffffff00, v38
	v_sub_i16 v37, v40, v37 clamp
	v_lshlrev_b16_e32 v40, 8, v38
	v_lshlrev_b16_e32 v36, 8, v36
	v_sub_i16 v36, v40, v36 clamp
	v_perm_b32 v36, v36, v37, s22
	v_and_b32_sdwa v37, v38, s26 dst_sel:DWORD dst_unused:UNUSED_PAD src0_sel:WORD_1 src1_sel:DWORD
	v_lshlrev_b16_sdwa v38, v33, v38 dst_sel:DWORD dst_unused:UNUSED_PAD src0_sel:DWORD src1_sel:WORD_1
	v_lshlrev_b16_e32 v20, 8, v20
	v_sub_i16 v37, v37, v39 clamp
	v_sub_i16 v20, v38, v20 clamp
	v_perm_b32 v20, v20, v37, s22
	v_lshl_or_b32 v20, v20, 16, v36
	v_lshrrev_b32_e32 v36, 22, v57
	v_lshrrev_b16_e32 v37, 4, v58
	v_cndmask_b32_e64 v38, 0, -1, s[58:59]
	v_cndmask_b32_e64 v40, 0, -1, s[56:57]
	v_bfe_i32 v37, v37, 0, 1
	v_lshlrev_b16_e32 v38, 8, v38
	v_bfe_i32 v36, v36, 0, 1
	v_lshlrev_b16_e32 v40, 8, v40
	v_or_b32_sdwa v39, v37, v38 dst_sel:DWORD dst_unused:UNUSED_PAD src0_sel:BYTE_0 src1_sel:DWORD
	v_or_b32_sdwa v41, v36, v40 dst_sel:WORD_1 dst_unused:UNUSED_PAD src0_sel:BYTE_0 src1_sel:DWORD
	v_or_b32_sdwa v39, v39, v41 dst_sel:DWORD dst_unused:UNUSED_PAD src0_sel:WORD_0 src1_sel:DWORD
	s_waitcnt vmcnt(6)
	v_xor_b32_e32 v39, v53, v39
	v_and_b32_e32 v41, 0xffffff00, v39
	v_sub_i16 v38, v41, v38 clamp
	v_lshlrev_b16_e32 v41, 8, v39
	v_lshlrev_b16_e32 v37, 8, v37
	v_sub_i16 v37, v41, v37 clamp
	v_perm_b32 v37, v37, v38, s22
	v_and_b32_sdwa v38, v39, s26 dst_sel:DWORD dst_unused:UNUSED_PAD src0_sel:WORD_1 src1_sel:DWORD
	v_lshlrev_b16_sdwa v39, v33, v39 dst_sel:DWORD dst_unused:UNUSED_PAD src0_sel:DWORD src1_sel:WORD_1
	v_lshlrev_b16_e32 v36, 8, v36
	v_sub_i16 v38, v38, v40 clamp
	v_sub_i16 v36, v39, v36 clamp
	v_perm_b32 v36, v36, v38, s22
	v_lshl_or_b32 v36, v36, 16, v37
	v_dot4_i32_i8 v7, v20, v7, 0
	v_dot4_i32_i8 v7, v36, v8, v7
	v_lshrrev_b32_e32 v8, 18, v54
	v_cndmask_b32_e64 v36, 0, -1, s[54:55]
	v_cndmask_b32_e64 v38, 0, -1, s[52:53]
	v_bfe_i32 v20, v54, 0, 1
	v_lshlrev_b16_e32 v36, 8, v36
	v_bfe_i32 v8, v8, 0, 1
	v_lshlrev_b16_e32 v38, 8, v38
	v_or_b32_sdwa v37, v20, v36 dst_sel:DWORD dst_unused:UNUSED_PAD src0_sel:BYTE_0 src1_sel:DWORD
	v_or_b32_sdwa v39, v8, v38 dst_sel:WORD_1 dst_unused:UNUSED_PAD src0_sel:BYTE_0 src1_sel:DWORD
	v_or_b32_sdwa v37, v37, v39 dst_sel:DWORD dst_unused:UNUSED_PAD src0_sel:WORD_0 src1_sel:DWORD
	s_waitcnt vmcnt(5)
	v_xor_b32_e32 v37, v50, v37
	v_and_b32_e32 v39, 0xffffff00, v37
	v_sub_i16 v36, v39, v36 clamp
	v_lshlrev_b16_e32 v39, 8, v37
	v_lshlrev_b16_e32 v20, 8, v20
	v_sub_i16 v20, v39, v20 clamp
	v_perm_b32 v20, v20, v36, s22
	v_and_b32_sdwa v36, v37, s26 dst_sel:DWORD dst_unused:UNUSED_PAD src0_sel:WORD_1 src1_sel:DWORD
	v_lshlrev_b16_sdwa v37, v33, v37 dst_sel:DWORD dst_unused:UNUSED_PAD src0_sel:DWORD src1_sel:WORD_1
	v_lshlrev_b16_e32 v8, 8, v8
	v_sub_i16 v36, v36, v38 clamp
	v_sub_i16 v8, v37, v8 clamp
	v_perm_b32 v8, v8, v36, s22
	v_lshl_or_b32 v8, v8, 16, v20
	v_lshrrev_b32_e32 v20, 22, v54
	v_lshrrev_b16_e32 v36, 4, v56
	v_cndmask_b32_e64 v37, 0, -1, s[50:51]
	v_cndmask_b32_e64 v39, 0, -1, s[48:49]
	v_bfe_i32 v36, v36, 0, 1
	v_lshlrev_b16_e32 v37, 8, v37
	v_bfe_i32 v20, v20, 0, 1
	v_lshlrev_b16_e32 v39, 8, v39
	v_or_b32_sdwa v38, v36, v37 dst_sel:DWORD dst_unused:UNUSED_PAD src0_sel:BYTE_0 src1_sel:DWORD
	v_or_b32_sdwa v40, v20, v39 dst_sel:WORD_1 dst_unused:UNUSED_PAD src0_sel:BYTE_0 src1_sel:DWORD
	v_or_b32_sdwa v38, v38, v40 dst_sel:DWORD dst_unused:UNUSED_PAD src0_sel:WORD_0 src1_sel:DWORD
	s_waitcnt vmcnt(4)
	v_xor_b32_e32 v38, v49, v38
	v_and_b32_e32 v40, 0xffffff00, v38
	v_sub_i16 v37, v40, v37 clamp
	v_lshlrev_b16_e32 v40, 8, v38
	v_lshlrev_b16_e32 v36, 8, v36
	v_sub_i16 v36, v40, v36 clamp
	v_perm_b32 v36, v36, v37, s22
	v_and_b32_sdwa v37, v38, s26 dst_sel:DWORD dst_unused:UNUSED_PAD src0_sel:WORD_1 src1_sel:DWORD
	v_lshlrev_b16_sdwa v38, v33, v38 dst_sel:DWORD dst_unused:UNUSED_PAD src0_sel:DWORD src1_sel:WORD_1
	v_lshlrev_b16_e32 v20, 8, v20
	v_sub_i16 v37, v37, v39 clamp
	v_sub_i16 v20, v38, v20 clamp
	v_perm_b32 v20, v20, v37, s22
	v_lshl_or_b32 v20, v20, 16, v36
	v_dot4_i32_i8 v7, v8, v9, v7
	v_dot4_i32_i8 v2, v20, v2, v7
	v_lshrrev_b32_e32 v7, 18, v51
	v_cndmask_b32_e64 v9, 0, -1, s[46:47]
	v_cndmask_b32_e64 v36, 0, -1, s[44:45]
	v_bfe_i32 v8, v51, 0, 1
	v_lshlrev_b16_e32 v9, 8, v9
	v_bfe_i32 v7, v7, 0, 1
	v_lshlrev_b16_e32 v36, 8, v36
	v_or_b32_sdwa v20, v8, v9 dst_sel:DWORD dst_unused:UNUSED_PAD src0_sel:BYTE_0 src1_sel:DWORD
	v_or_b32_sdwa v37, v7, v36 dst_sel:WORD_1 dst_unused:UNUSED_PAD src0_sel:BYTE_0 src1_sel:DWORD
	v_or_b32_sdwa v20, v20, v37 dst_sel:DWORD dst_unused:UNUSED_PAD src0_sel:WORD_0 src1_sel:DWORD
	s_waitcnt vmcnt(3)
	v_xor_b32_e32 v20, v46, v20
	v_and_b32_e32 v37, 0xffffff00, v20
	v_sub_i16 v9, v37, v9 clamp
	v_lshlrev_b16_e32 v37, 8, v20
	v_lshlrev_b16_e32 v8, 8, v8
	v_sub_i16 v8, v37, v8 clamp
	v_perm_b32 v8, v8, v9, s22
	v_and_b32_sdwa v9, v20, s26 dst_sel:DWORD dst_unused:UNUSED_PAD src0_sel:WORD_1 src1_sel:DWORD
	v_lshlrev_b16_sdwa v20, v33, v20 dst_sel:DWORD dst_unused:UNUSED_PAD src0_sel:DWORD src1_sel:WORD_1
	v_lshlrev_b16_e32 v7, 8, v7
	v_sub_i16 v9, v9, v36 clamp
	v_sub_i16 v7, v20, v7 clamp
	v_perm_b32 v7, v7, v9, s22
	v_lshl_or_b32 v7, v7, 16, v8
	v_lshrrev_b32_e32 v8, 22, v51
	v_lshrrev_b16_e32 v9, 4, v52
	v_cndmask_b32_e64 v20, 0, -1, s[42:43]
	v_cndmask_b32_e64 v37, 0, -1, s[40:41]
	v_bfe_i32 v9, v9, 0, 1
	v_lshlrev_b16_e32 v20, 8, v20
	v_bfe_i32 v8, v8, 0, 1
	v_lshlrev_b16_e32 v37, 8, v37
	v_or_b32_sdwa v36, v9, v20 dst_sel:DWORD dst_unused:UNUSED_PAD src0_sel:BYTE_0 src1_sel:DWORD
	v_or_b32_sdwa v38, v8, v37 dst_sel:WORD_1 dst_unused:UNUSED_PAD src0_sel:BYTE_0 src1_sel:DWORD
	v_or_b32_sdwa v36, v36, v38 dst_sel:DWORD dst_unused:UNUSED_PAD src0_sel:WORD_0 src1_sel:DWORD
	s_waitcnt vmcnt(2)
	v_xor_b32_e32 v36, v45, v36
	v_and_b32_e32 v38, 0xffffff00, v36
	v_sub_i16 v20, v38, v20 clamp
	v_lshlrev_b16_e32 v38, 8, v36
	v_lshlrev_b16_e32 v9, 8, v9
	v_sub_i16 v9, v38, v9 clamp
	v_perm_b32 v9, v9, v20, s22
	v_and_b32_sdwa v20, v36, s26 dst_sel:DWORD dst_unused:UNUSED_PAD src0_sel:WORD_1 src1_sel:DWORD
	v_lshlrev_b16_sdwa v36, v33, v36 dst_sel:DWORD dst_unused:UNUSED_PAD src0_sel:DWORD src1_sel:WORD_1
	v_lshlrev_b16_e32 v8, 8, v8
	v_sub_i16 v20, v20, v37 clamp
	v_sub_i16 v8, v36, v8 clamp
	v_perm_b32 v8, v8, v20, s22
	v_lshl_or_b32 v8, v8, 16, v9
	v_dot4_i32_i8 v2, v7, v3, v2
	v_lshrrev_b32_e32 v3, 18, v47
	v_cndmask_b32_e64 v7, 0, -1, s[36:37]
	v_cndmask_b32_e64 v9, 0, -1, s[24:25]
	v_dot4_i32_i8 v2, v8, v4, v2
	v_bfe_i32 v4, v47, 0, 1
	v_lshlrev_b16_e32 v7, 8, v7
	v_bfe_i32 v3, v3, 0, 1
	v_lshlrev_b16_e32 v9, 8, v9
	v_or_b32_sdwa v8, v4, v7 dst_sel:DWORD dst_unused:UNUSED_PAD src0_sel:BYTE_0 src1_sel:DWORD
	v_or_b32_sdwa v20, v3, v9 dst_sel:WORD_1 dst_unused:UNUSED_PAD src0_sel:BYTE_0 src1_sel:DWORD
	v_or_b32_sdwa v8, v8, v20 dst_sel:DWORD dst_unused:UNUSED_PAD src0_sel:WORD_0 src1_sel:DWORD
	s_waitcnt vmcnt(1)
	v_xor_b32_e32 v8, v24, v8
	v_and_b32_e32 v20, 0xffffff00, v8
	v_sub_i16 v7, v20, v7 clamp
	v_lshlrev_b16_e32 v20, 8, v8
	v_lshlrev_b16_e32 v4, 8, v4
	v_sub_i16 v4, v20, v4 clamp
	v_perm_b32 v4, v4, v7, s22
	v_and_b32_sdwa v7, v8, s26 dst_sel:DWORD dst_unused:UNUSED_PAD src0_sel:WORD_1 src1_sel:DWORD
	v_lshlrev_b16_sdwa v8, v33, v8 dst_sel:DWORD dst_unused:UNUSED_PAD src0_sel:DWORD src1_sel:WORD_1
	v_lshlrev_b16_e32 v3, 8, v3
	v_sub_i16 v7, v7, v9 clamp
	v_sub_i16 v3, v8, v3 clamp
	v_perm_b32 v3, v3, v7, s22
	v_lshl_or_b32 v3, v3, 16, v4
	v_lshrrev_b32_e32 v4, 22, v47
	v_lshrrev_b16_e32 v7, 4, v48
	v_cndmask_b32_e64 v8, 0, -1, s[20:21]
	v_cndmask_b32_e64 v20, 0, -1, s[10:11]
	v_bfe_i32 v7, v7, 0, 1
	v_lshlrev_b16_e32 v8, 8, v8
	v_bfe_i32 v4, v4, 0, 1
	v_lshlrev_b16_e32 v20, 8, v20
	v_or_b32_sdwa v9, v7, v8 dst_sel:DWORD dst_unused:UNUSED_PAD src0_sel:BYTE_0 src1_sel:DWORD
	v_or_b32_sdwa v24, v4, v20 dst_sel:WORD_1 dst_unused:UNUSED_PAD src0_sel:BYTE_0 src1_sel:DWORD
	v_or_b32_sdwa v9, v9, v24 dst_sel:DWORD dst_unused:UNUSED_PAD src0_sel:WORD_0 src1_sel:DWORD
	s_waitcnt vmcnt(0)
	v_xor_b32_e32 v9, v23, v9
	v_and_b32_e32 v23, 0xffffff00, v9
	v_sub_i16 v8, v23, v8 clamp
	v_lshlrev_b16_e32 v23, 8, v9
	v_lshlrev_b16_e32 v7, 8, v7
	v_sub_i16 v7, v23, v7 clamp
	v_perm_b32 v7, v7, v8, s22
	v_and_b32_sdwa v8, v9, s26 dst_sel:DWORD dst_unused:UNUSED_PAD src0_sel:WORD_1 src1_sel:DWORD
	v_lshlrev_b16_sdwa v9, v33, v9 dst_sel:DWORD dst_unused:UNUSED_PAD src0_sel:DWORD src1_sel:WORD_1
	v_lshlrev_b16_e32 v4, 8, v4
	v_sub_i16 v8, v8, v20 clamp
	v_sub_i16 v4, v9, v4 clamp
	v_perm_b32 v4, v4, v8, s22
	v_lshl_or_b32 v4, v4, 16, v7
	v_dot4_i32_i8 v2, v3, v5, v2
	v_dot4_i32_i8 v3, v4, v34, v2
	v_lshrrev_b32_e32 v2, 31, v3
	v_add_u32_e32 v2, v3, v2
	v_lshrrev_b32_e32 v4, 28, v21
	v_ashrrev_i32_e32 v2, 1, v2
	v_mad_u64_u32 v[2:3], s[2:3], v3, v4, v[2:3]
	v_ashrrev_i32_e32 v3, 1, v19
	v_cvt_f32_f16_e32 v4, v35
	v_lshrrev_b32_e32 v5, 31, v2
	v_add_u32_e32 v2, v2, v5
	v_cvt_f32_i32_e32 v3, v3
	v_ashrrev_i32_e32 v2, 1, v2
	v_cvt_f32_f16_e32 v5, v22
	v_cvt_f32_i32_e32 v2, v2
	v_mul_f32_e32 v4, v4, v6
	v_add_u32_e32 v29, 16, v29
	v_fmac_f32_e32 v14, v4, v3
	v_mul_f32_e32 v3, v5, v6
	v_add_co_u32_e32 v15, vcc, 0x1200, v15
	v_cmp_le_u32_e64 s[10:11], s17, v29
	v_fmac_f32_e32 v12, v3, v2
	s_or_b64 s[14:15], s[10:11], s[14:15]
	v_addc_co_u32_e32 v16, vcc, 0, v16, vcc
	s_andn2_b64 exec, exec, s[14:15]
	s_cbranch_execz .LBB193_22
.LBB193_18:                             ; =>This Inner Loop Header: Depth=1
	v_add_u32_e32 v19, s23, v29
	v_mad_i64_i32 v[2:3], s[10:11], v19, s33, v[17:18]
	s_getpc_b64 s[10:11]
	s_add_u32 s10, s10, _ZL11iq3xxs_grid@rel32@lo+4
	s_addc_u32 s11, s11, _ZL11iq3xxs_grid@rel32@hi+12
	v_add_co_u32_e32 v4, vcc, v2, v31
	v_addc_co_u32_e32 v5, vcc, 0, v3, vcc
	global_load_dwordx2 v[20:21], v[4:5], off offset:2
	global_load_dword v34, v[15:16], off
	v_add_co_u32_e32 v4, vcc, v2, v30
	v_addc_co_u32_e32 v5, vcc, 0, v3, vcc
	global_load_dwordx4 v[6:9], v[15:16], off offset:-32
	global_load_dword v36, v[4:5], off offset:66
	global_load_ushort v35, v[2:3], off
	s_and_b64 vcc, exec, s[6:7]
	s_waitcnt vmcnt(4)
	v_lshlrev_b32_sdwa v22, v32, v20 dst_sel:DWORD dst_unused:UNUSED_PAD src0_sel:DWORD src1_sel:BYTE_0
	v_lshlrev_b32_sdwa v23, v32, v20 dst_sel:DWORD dst_unused:UNUSED_PAD src0_sel:DWORD src1_sel:BYTE_1
	v_lshlrev_b32_sdwa v24, v32, v20 dst_sel:DWORD dst_unused:UNUSED_PAD src0_sel:DWORD src1_sel:BYTE_2
	v_lshlrev_b32_sdwa v20, v32, v20 dst_sel:DWORD dst_unused:UNUSED_PAD src0_sel:DWORD src1_sel:BYTE_3
	v_lshlrev_b32_sdwa v45, v32, v21 dst_sel:DWORD dst_unused:UNUSED_PAD src0_sel:DWORD src1_sel:BYTE_0
	v_lshlrev_b32_sdwa v46, v32, v21 dst_sel:DWORD dst_unused:UNUSED_PAD src0_sel:DWORD src1_sel:BYTE_1
	v_lshlrev_b32_sdwa v47, v32, v21 dst_sel:DWORD dst_unused:UNUSED_PAD src0_sel:DWORD src1_sel:BYTE_2
	v_lshlrev_b32_sdwa v21, v32, v21 dst_sel:DWORD dst_unused:UNUSED_PAD src0_sel:DWORD src1_sel:BYTE_3
	global_load_dword v44, v22, s[10:11]
	global_load_dword v43, v23, s[10:11]
	;; [unrolled: 1-line block ×8, first 2 shown]
	global_load_dwordx4 v[2:5], v[15:16], off offset:-16
	s_waitcnt vmcnt(11)
	v_cvt_f32_f16_e32 v6, v6
	s_cbranch_vccnz .LBB193_20
; %bb.19:                               ;   in Loop: Header=BB193_18 Depth=1
	v_mov_b32_e32 v20, s28
	v_mov_b32_e32 v21, s29
	v_mad_i64_i32 v[21:22], s[20:21], v19, s33, v[20:21]
	v_add_co_u32_e32 v19, vcc, v21, v31
	v_addc_co_u32_e32 v20, vcc, 0, v22, vcc
	global_load_dwordx2 v[19:20], v[19:20], off offset:2
	v_add_co_u32_e32 v23, vcc, v21, v30
	v_addc_co_u32_e32 v24, vcc, 0, v22, vcc
	global_load_dword v45, v[23:24], off offset:66
	global_load_ushort v46, v[21:22], off
	s_waitcnt vmcnt(2)
	v_lshlrev_b32_sdwa v21, v32, v19 dst_sel:DWORD dst_unused:UNUSED_PAD src0_sel:DWORD src1_sel:BYTE_0
	v_lshlrev_b32_sdwa v22, v32, v19 dst_sel:DWORD dst_unused:UNUSED_PAD src0_sel:DWORD src1_sel:BYTE_1
	v_lshlrev_b32_sdwa v24, v32, v19 dst_sel:DWORD dst_unused:UNUSED_PAD src0_sel:DWORD src1_sel:BYTE_2
	v_lshlrev_b32_sdwa v19, v32, v19 dst_sel:DWORD dst_unused:UNUSED_PAD src0_sel:DWORD src1_sel:BYTE_3
	v_lshlrev_b32_sdwa v48, v32, v20 dst_sel:DWORD dst_unused:UNUSED_PAD src0_sel:DWORD src1_sel:BYTE_0
	v_lshlrev_b32_sdwa v49, v32, v20 dst_sel:DWORD dst_unused:UNUSED_PAD src0_sel:DWORD src1_sel:BYTE_1
	v_lshlrev_b32_sdwa v51, v32, v20 dst_sel:DWORD dst_unused:UNUSED_PAD src0_sel:DWORD src1_sel:BYTE_2
	v_lshlrev_b32_sdwa v20, v32, v20 dst_sel:DWORD dst_unused:UNUSED_PAD src0_sel:DWORD src1_sel:BYTE_3
	global_load_dword v55, v21, s[10:11]
	global_load_dword v56, v22, s[10:11]
	;; [unrolled: 1-line block ×8, first 2 shown]
	s_waitcnt vmcnt(9)
	v_and_b32_e32 v23, 0xff, v45
	v_bcnt_u32_b32 v52, v23, 0
	v_and_b32_e32 v19, 1, v52
	v_lshlrev_b32_e32 v19, 7, v19
	v_bfe_u32 v47, v45, 7, 8
	v_xor_b32_e32 v19, v19, v23
	v_bcnt_u32_b32 v53, v47, 0
	v_mul_lo_u32 v19, v19, s35
	v_and_b32_e32 v20, 1, v53
	v_lshlrev_b32_e32 v20, 7, v20
	v_bfe_u32 v50, v45, 14, 8
	v_xor_b32_e32 v20, v20, v47
	v_bcnt_u32_b32 v54, v50, 0
	v_mul_lo_u32 v20, v20, s35
	v_and_b32_e32 v22, 0x8040201, v19
	v_and_b32_e32 v21, 1, v54
	v_cmp_ne_u16_sdwa s[20:21], v22, v13 src0_sel:BYTE_1 src1_sel:DWORD
	v_lshlrev_b32_e32 v21, 7, v21
	v_and_b32_e32 v47, 0x80402010, v19
	v_cndmask_b32_e64 v63, 0, -1, s[20:21]
	v_cmp_ne_u16_sdwa s[20:21], v22, v13 src0_sel:BYTE_3 src1_sel:DWORD
	v_xor_b32_e32 v21, v21, v50
	v_cndmask_b32_e64 v22, 0, -1, s[20:21]
	v_cmp_ne_u16_sdwa s[20:21], v47, v13 src0_sel:BYTE_1 src1_sel:DWORD
	v_mul_lo_u32 v21, v21, s35
	v_and_b32_e32 v48, 0x8040201, v20
	v_cndmask_b32_e64 v66, 0, -1, s[20:21]
	v_cmp_ne_u16_sdwa s[20:21], v47, v13 src0_sel:BYTE_3 src1_sel:DWORD
	v_lshrrev_b16_e32 v65, 4, v47
	v_cndmask_b32_e64 v47, 0, -1, s[20:21]
	v_cmp_ne_u16_sdwa s[20:21], v48, v13 src0_sel:BYTE_1 src1_sel:DWORD
	v_and_b32_e32 v51, 0x80402010, v20
	v_cndmask_b32_e64 v67, 0, -1, s[20:21]
	v_cmp_ne_u16_sdwa s[20:21], v48, v13 src0_sel:BYTE_3 src1_sel:DWORD
	v_cndmask_b32_e64 v48, 0, -1, s[20:21]
	v_cmp_ne_u16_sdwa s[20:21], v51, v13 src0_sel:BYTE_1 src1_sel:DWORD
	v_and_b32_e32 v52, 0x8040201, v21
	v_cndmask_b32_e64 v70, 0, -1, s[20:21]
	v_cmp_ne_u16_sdwa s[20:21], v51, v13 src0_sel:BYTE_3 src1_sel:DWORD
	v_lshrrev_b32_e32 v23, 18, v19
	v_lshrrev_b16_e32 v69, 4, v51
	v_cndmask_b32_e64 v51, 0, -1, s[20:21]
	v_cmp_ne_u16_sdwa s[20:21], v52, v13 src0_sel:BYTE_1 src1_sel:DWORD
	v_bfe_i32 v24, v19, 0, 1
	v_lshrrev_b32_e32 v19, 22, v19
	v_bfe_i32 v23, v23, 0, 1
	v_cndmask_b32_e64 v71, 0, -1, s[20:21]
	v_cmp_ne_u16_sdwa s[20:21], v52, v13 src0_sel:BYTE_3 src1_sel:DWORD
	v_lshlrev_b16_e32 v63, 8, v63
	v_lshlrev_b16_e32 v22, 8, v22
	v_lshrrev_b32_e32 v49, 18, v20
	v_bfe_i32 v50, v20, 0, 1
	v_lshrrev_b32_e32 v20, 22, v20
	v_lshrrev_b32_e32 v53, 18, v21
	v_lshlrev_b16_e32 v64, 8, v24
	v_bfe_i32 v19, v19, 0, 1
	v_cndmask_b32_e64 v52, 0, -1, s[20:21]
	v_lshlrev_b16_e32 v72, 8, v23
	v_bfe_i32 v65, v65, 0, 1
	v_lshlrev_b16_e32 v66, 8, v66
	v_lshlrev_b16_e32 v47, 8, v47
	v_or_b32_sdwa v24, v24, v63 dst_sel:DWORD dst_unused:UNUSED_PAD src0_sel:BYTE_0 src1_sel:DWORD
	v_or_b32_sdwa v23, v23, v22 dst_sel:WORD_1 dst_unused:UNUSED_PAD src0_sel:BYTE_0 src1_sel:DWORD
	v_bfe_i32 v54, v21, 0, 1
	v_bfe_i32 v49, v49, 0, 1
	;; [unrolled: 1-line block ×4, first 2 shown]
	v_lshlrev_b16_e32 v73, 8, v19
	v_lshlrev_b16_e32 v67, 8, v67
	;; [unrolled: 1-line block ×3, first 2 shown]
	v_bfe_i32 v69, v69, 0, 1
	v_lshlrev_b16_e32 v70, 8, v70
	v_lshlrev_b16_e32 v51, 8, v51
	;; [unrolled: 1-line block ×4, first 2 shown]
	v_or_b32_sdwa v76, v65, v66 dst_sel:DWORD dst_unused:UNUSED_PAD src0_sel:BYTE_0 src1_sel:DWORD
	v_or_b32_sdwa v19, v19, v47 dst_sel:WORD_1 dst_unused:UNUSED_PAD src0_sel:BYTE_0 src1_sel:DWORD
	v_or_b32_sdwa v23, v24, v23 dst_sel:DWORD dst_unused:UNUSED_PAD src0_sel:WORD_0 src1_sel:DWORD
	v_lshlrev_b16_e32 v68, 8, v50
	v_lshlrev_b16_e32 v74, 8, v49
	;; [unrolled: 1-line block ×3, first 2 shown]
	v_or_b32_sdwa v50, v50, v67 dst_sel:DWORD dst_unused:UNUSED_PAD src0_sel:BYTE_0 src1_sel:DWORD
	v_or_b32_sdwa v49, v49, v48 dst_sel:WORD_1 dst_unused:UNUSED_PAD src0_sel:BYTE_0 src1_sel:DWORD
	v_or_b32_sdwa v77, v69, v70 dst_sel:DWORD dst_unused:UNUSED_PAD src0_sel:BYTE_0 src1_sel:DWORD
	v_or_b32_sdwa v20, v20, v51 dst_sel:WORD_1 dst_unused:UNUSED_PAD src0_sel:BYTE_0 src1_sel:DWORD
	;; [unrolled: 2-line block ×3, first 2 shown]
	v_or_b32_sdwa v19, v76, v19 dst_sel:DWORD dst_unused:UNUSED_PAD src0_sel:WORD_0 src1_sel:DWORD
	s_waitcnt vmcnt(7)
	v_xor_b32_e32 v23, v55, v23
	v_or_b32_sdwa v24, v50, v49 dst_sel:DWORD dst_unused:UNUSED_PAD src0_sel:WORD_0 src1_sel:DWORD
	v_or_b32_sdwa v20, v77, v20 dst_sel:DWORD dst_unused:UNUSED_PAD src0_sel:WORD_0 src1_sel:DWORD
	;; [unrolled: 1-line block ×3, first 2 shown]
	s_waitcnt vmcnt(6)
	v_xor_b32_e32 v19, v56, v19
	v_and_b32_e32 v50, 0xffffff00, v23
	v_lshlrev_b16_e32 v55, 8, v23
	v_and_b32_sdwa v56, v23, s26 dst_sel:DWORD dst_unused:UNUSED_PAD src0_sel:WORD_1 src1_sel:DWORD
	v_lshlrev_b16_sdwa v23, v33, v23 dst_sel:DWORD dst_unused:UNUSED_PAD src0_sel:DWORD src1_sel:WORD_1
	v_lshlrev_b16_e32 v65, 8, v65
	s_waitcnt vmcnt(5)
	v_xor_b32_e32 v24, v57, v24
	s_waitcnt vmcnt(4)
	v_xor_b32_e32 v20, v58, v20
	;; [unrolled: 2-line block ×3, first 2 shown]
	v_and_b32_e32 v57, 0xffffff00, v19
	v_lshlrev_b16_e32 v58, 8, v19
	v_and_b32_sdwa v59, v19, s26 dst_sel:DWORD dst_unused:UNUSED_PAD src0_sel:WORD_1 src1_sel:DWORD
	v_lshlrev_b16_sdwa v19, v33, v19 dst_sel:DWORD dst_unused:UNUSED_PAD src0_sel:DWORD src1_sel:WORD_1
	v_sub_i16 v50, v50, v63 clamp
	v_sub_i16 v55, v55, v64 clamp
	;; [unrolled: 1-line block ×4, first 2 shown]
	v_and_b32_e32 v76, 0xffffff00, v24
	v_lshlrev_b16_e32 v77, 8, v24
	v_and_b32_sdwa v78, v24, s26 dst_sel:DWORD dst_unused:UNUSED_PAD src0_sel:WORD_1 src1_sel:DWORD
	v_lshlrev_b16_sdwa v24, v33, v24 dst_sel:DWORD dst_unused:UNUSED_PAD src0_sel:DWORD src1_sel:WORD_1
	v_sub_i16 v56, v57, v66 clamp
	v_sub_i16 v57, v58, v65 clamp
	;; [unrolled: 1-line block ×4, first 2 shown]
	v_perm_b32 v50, v55, v50, s22
	v_perm_b32 v22, v23, v22, s22
	v_lshlrev_b16_e32 v69, 8, v69
	v_and_b32_e32 v79, 0xffffff00, v20
	v_lshlrev_b16_e32 v80, 8, v20
	v_and_b32_sdwa v81, v20, s26 dst_sel:DWORD dst_unused:UNUSED_PAD src0_sel:WORD_1 src1_sel:DWORD
	v_lshlrev_b16_sdwa v20, v33, v20 dst_sel:DWORD dst_unused:UNUSED_PAD src0_sel:DWORD src1_sel:WORD_1
	v_sub_i16 v58, v76, v67 clamp
	v_sub_i16 v59, v77, v68 clamp
	;; [unrolled: 1-line block ×4, first 2 shown]
	v_perm_b32 v23, v57, v56, s22
	v_perm_b32 v19, v19, v47, s22
	v_lshl_or_b32 v22, v22, 16, v50
	v_sub_i16 v63, v79, v70 clamp
	v_sub_i16 v64, v80, v69 clamp
	;; [unrolled: 1-line block ×4, first 2 shown]
	v_perm_b32 v47, v59, v58, s22
	v_perm_b32 v24, v24, v48, s22
	v_lshl_or_b32 v19, v19, 16, v23
	v_dot4_i32_i8 v22, v22, v7, 0
	v_perm_b32 v48, v64, v63, s22
	v_perm_b32 v20, v20, v51, s22
	v_lshl_or_b32 v23, v24, 16, v47
	v_dot4_i32_i8 v19, v19, v8, v22
	v_lshl_or_b32 v20, v20, 16, v48
	v_dot4_i32_i8 v19, v23, v9, v19
	v_dot4_i32_i8 v19, v20, v2, v19
	v_and_b32_e32 v20, 0xffffff00, v49
	v_lshlrev_b16_e32 v22, 8, v49
	v_lshlrev_b16_e32 v23, 8, v54
	v_sub_i16 v20, v20, v71 clamp
	v_sub_i16 v22, v22, v23 clamp
	v_perm_b32 v20, v22, v20, s22
	v_and_b32_sdwa v22, v49, s26 dst_sel:DWORD dst_unused:UNUSED_PAD src0_sel:WORD_1 src1_sel:DWORD
	v_lshlrev_b16_sdwa v23, v33, v49 dst_sel:DWORD dst_unused:UNUSED_PAD src0_sel:DWORD src1_sel:WORD_1
	v_lshlrev_b16_e32 v24, 8, v53
	v_sub_i16 v22, v22, v52 clamp
	v_sub_i16 v23, v23, v24 clamp
	v_perm_b32 v22, v23, v22, s22
	v_lshl_or_b32 v20, v22, 16, v20
	v_and_b32_e32 v22, 0x80402010, v21
	v_cmp_ne_u16_sdwa s[20:21], v22, v13 src0_sel:BYTE_1 src1_sel:DWORD
	v_cndmask_b32_e64 v24, 0, -1, s[20:21]
	v_cmp_ne_u16_sdwa s[20:21], v22, v13 src0_sel:BYTE_3 src1_sel:DWORD
	v_lshrrev_b32_e32 v21, 22, v21
	v_lshrrev_b16_e32 v23, 4, v22
	v_cndmask_b32_e64 v22, 0, -1, s[20:21]
	v_bfe_i32 v23, v23, 0, 1
	v_lshlrev_b16_e32 v24, 8, v24
	v_bfe_i32 v21, v21, 0, 1
	v_lshlrev_b16_e32 v22, 8, v22
	v_or_b32_sdwa v47, v23, v24 dst_sel:DWORD dst_unused:UNUSED_PAD src0_sel:BYTE_0 src1_sel:DWORD
	v_or_b32_sdwa v48, v21, v22 dst_sel:WORD_1 dst_unused:UNUSED_PAD src0_sel:BYTE_0 src1_sel:DWORD
	v_or_b32_sdwa v47, v47, v48 dst_sel:DWORD dst_unused:UNUSED_PAD src0_sel:WORD_0 src1_sel:DWORD
	s_waitcnt vmcnt(2)
	v_xor_b32_e32 v47, v60, v47
	v_and_b32_e32 v48, 0xffffff00, v47
	v_sub_i16 v24, v48, v24 clamp
	v_lshlrev_b16_e32 v48, 8, v47
	v_lshlrev_b16_e32 v23, 8, v23
	v_sub_i16 v23, v48, v23 clamp
	v_perm_b32 v23, v23, v24, s22
	v_and_b32_sdwa v24, v47, s26 dst_sel:DWORD dst_unused:UNUSED_PAD src0_sel:WORD_1 src1_sel:DWORD
	v_sub_i16 v22, v24, v22 clamp
	v_lshlrev_b16_sdwa v24, v33, v47 dst_sel:DWORD dst_unused:UNUSED_PAD src0_sel:DWORD src1_sel:WORD_1
	v_lshlrev_b16_e32 v21, 8, v21
	v_sub_i16 v21, v24, v21 clamp
	v_perm_b32 v21, v21, v22, s22
	v_bfe_u32 v22, v45, 21, 8
	v_bcnt_u32_b32 v24, v22, 0
	v_and_b32_e32 v24, 1, v24
	v_lshlrev_b32_e32 v24, 7, v24
	v_xor_b32_e32 v22, v24, v22
	v_mul_lo_u32 v22, v22, s35
	v_dot4_i32_i8 v19, v20, v3, v19
	v_lshl_or_b32 v21, v21, 16, v23
	v_dot4_i32_i8 v19, v21, v4, v19
	v_and_b32_e32 v20, 0x8040201, v22
	v_cmp_ne_u16_sdwa s[20:21], v20, v13 src0_sel:BYTE_1 src1_sel:DWORD
	v_cndmask_b32_e64 v24, 0, -1, s[20:21]
	v_cmp_ne_u16_sdwa s[20:21], v20, v13 src0_sel:BYTE_3 src1_sel:DWORD
	v_lshrrev_b32_e32 v21, 18, v22
	v_cndmask_b32_e64 v20, 0, -1, s[20:21]
	v_bfe_i32 v23, v22, 0, 1
	v_lshlrev_b16_e32 v24, 8, v24
	v_bfe_i32 v21, v21, 0, 1
	v_lshlrev_b16_e32 v20, 8, v20
	v_or_b32_sdwa v47, v23, v24 dst_sel:DWORD dst_unused:UNUSED_PAD src0_sel:BYTE_0 src1_sel:DWORD
	v_or_b32_sdwa v48, v21, v20 dst_sel:WORD_1 dst_unused:UNUSED_PAD src0_sel:BYTE_0 src1_sel:DWORD
	v_or_b32_sdwa v47, v47, v48 dst_sel:DWORD dst_unused:UNUSED_PAD src0_sel:WORD_0 src1_sel:DWORD
	s_waitcnt vmcnt(1)
	v_xor_b32_e32 v47, v61, v47
	v_and_b32_e32 v48, 0xffffff00, v47
	v_sub_i16 v24, v48, v24 clamp
	v_lshlrev_b16_e32 v48, 8, v47
	v_lshlrev_b16_e32 v23, 8, v23
	v_sub_i16 v23, v48, v23 clamp
	v_perm_b32 v23, v23, v24, s22
	v_and_b32_sdwa v24, v47, s26 dst_sel:DWORD dst_unused:UNUSED_PAD src0_sel:WORD_1 src1_sel:DWORD
	v_sub_i16 v20, v24, v20 clamp
	v_lshlrev_b16_sdwa v24, v33, v47 dst_sel:DWORD dst_unused:UNUSED_PAD src0_sel:DWORD src1_sel:WORD_1
	v_lshlrev_b16_e32 v21, 8, v21
	v_sub_i16 v21, v24, v21 clamp
	v_perm_b32 v20, v21, v20, s22
	v_and_b32_e32 v21, 0x80402010, v22
	v_cmp_ne_u16_sdwa s[20:21], v21, v13 src0_sel:BYTE_1 src1_sel:DWORD
	v_cndmask_b32_e64 v24, 0, -1, s[20:21]
	v_cmp_ne_u16_sdwa s[20:21], v21, v13 src0_sel:BYTE_3 src1_sel:DWORD
	v_lshl_or_b32 v20, v20, 16, v23
	v_lshrrev_b32_e32 v22, 22, v22
	v_lshrrev_b16_e32 v23, 4, v21
	v_cndmask_b32_e64 v21, 0, -1, s[20:21]
	v_bfe_i32 v23, v23, 0, 1
	v_lshlrev_b16_e32 v24, 8, v24
	v_bfe_i32 v22, v22, 0, 1
	v_lshlrev_b16_e32 v21, 8, v21
	v_or_b32_sdwa v47, v23, v24 dst_sel:DWORD dst_unused:UNUSED_PAD src0_sel:BYTE_0 src1_sel:DWORD
	v_or_b32_sdwa v48, v22, v21 dst_sel:WORD_1 dst_unused:UNUSED_PAD src0_sel:BYTE_0 src1_sel:DWORD
	v_or_b32_sdwa v47, v47, v48 dst_sel:DWORD dst_unused:UNUSED_PAD src0_sel:WORD_0 src1_sel:DWORD
	s_waitcnt vmcnt(0)
	v_xor_b32_e32 v47, v62, v47
	v_and_b32_e32 v48, 0xffffff00, v47
	v_sub_i16 v24, v48, v24 clamp
	v_lshlrev_b16_e32 v48, 8, v47
	v_lshlrev_b16_e32 v23, 8, v23
	v_sub_i16 v23, v48, v23 clamp
	v_perm_b32 v23, v23, v24, s22
	v_and_b32_sdwa v24, v47, s26 dst_sel:DWORD dst_unused:UNUSED_PAD src0_sel:WORD_1 src1_sel:DWORD
	v_sub_i16 v21, v24, v21 clamp
	v_lshlrev_b16_sdwa v24, v33, v47 dst_sel:DWORD dst_unused:UNUSED_PAD src0_sel:DWORD src1_sel:WORD_1
	v_lshlrev_b16_e32 v22, 8, v22
	v_sub_i16 v22, v24, v22 clamp
	v_perm_b32 v21, v22, v21, s22
	v_lshl_or_b32 v21, v21, 16, v23
	v_dot4_i32_i8 v19, v20, v5, v19
	v_dot4_i32_i8 v20, v21, v34, v19
	v_lshrrev_b32_e32 v19, 31, v20
	v_add_u32_e32 v19, v20, v19
	v_lshrrev_b32_e32 v21, 28, v45
	v_ashrrev_i32_e32 v19, 1, v19
	v_mad_u64_u32 v[19:20], s[20:21], v20, v21, v[19:20]
	v_lshrrev_b32_e32 v20, 31, v19
	v_add_u32_e32 v19, v19, v20
	v_ashrrev_i32_e32 v19, 1, v19
	v_cvt_f32_f16_e32 v20, v46
	v_cvt_f32_i32_e32 v19, v19
	v_mul_f32_e32 v20, v6, v20
	v_fma_f32 v10, v20, v19, v10
.LBB193_20:                             ;   in Loop: Header=BB193_18 Depth=1
	v_mov_b32_e32 v21, s13
	v_add_u32_e32 v19, s27, v29
	v_mov_b32_e32 v20, s12
	v_mad_i64_i32 v[22:23], s[20:21], v19, s33, v[20:21]
	s_waitcnt vmcnt(10)
	v_bfe_u32 v24, v36, 7, 8
	v_bcnt_u32_b32 v48, v24, 0
	v_add_co_u32_e32 v20, vcc, v22, v31
	v_addc_co_u32_e32 v21, vcc, 0, v23, vcc
	global_load_dwordx2 v[45:46], v[20:21], off offset:2
	v_add_co_u32_e32 v20, vcc, v22, v30
	v_addc_co_u32_e32 v21, vcc, 0, v23, vcc
	global_load_dword v21, v[20:21], off offset:66
	v_and_b32_e32 v48, 1, v48
	global_load_ushort v22, v[22:23], off
	v_and_b32_e32 v20, 0xff, v36
	v_bcnt_u32_b32 v47, v20, 0
	v_and_b32_e32 v47, 1, v47
	v_lshlrev_b32_e32 v47, 7, v47
	v_xor_b32_e32 v20, v47, v20
	v_mul_lo_u32 v62, v20, s35
	v_lshlrev_b32_e32 v48, 7, v48
	v_xor_b32_e32 v20, v48, v24
	v_mul_lo_u32 v59, v20, s35
	v_and_b32_e32 v20, 0x8040201, v62
	v_cmp_ne_u16_sdwa s[92:93], v20, v13 src0_sel:BYTE_3 src1_sel:DWORD
	v_cmp_ne_u16_sdwa s[94:95], v20, v13 src0_sel:BYTE_1 src1_sel:DWORD
	v_and_b32_e32 v66, 0x80402010, v62
	v_and_b32_e32 v65, 0x80402010, v59
	v_cmp_ne_u16_sdwa s[84:85], v66, v13 src0_sel:BYTE_3 src1_sel:DWORD
	v_cmp_ne_u16_sdwa s[88:89], v66, v13 src0_sel:BYTE_1 src1_sel:DWORD
	v_cmp_ne_u16_sdwa s[80:81], v65, v13 src0_sel:BYTE_3 src1_sel:DWORD
	v_cmp_ne_u16_sdwa s[82:83], v65, v13 src0_sel:BYTE_1 src1_sel:DWORD
	s_and_b64 vcc, exec, s[6:7]
	s_waitcnt vmcnt(2)
	v_lshlrev_b32_sdwa v20, v32, v45 dst_sel:DWORD dst_unused:UNUSED_PAD src0_sel:DWORD src1_sel:BYTE_0
	v_lshlrev_b32_sdwa v47, v32, v45 dst_sel:DWORD dst_unused:UNUSED_PAD src0_sel:DWORD src1_sel:BYTE_1
	v_lshlrev_b32_sdwa v48, v32, v45 dst_sel:DWORD dst_unused:UNUSED_PAD src0_sel:DWORD src1_sel:BYTE_2
	v_lshlrev_b32_sdwa v51, v32, v45 dst_sel:DWORD dst_unused:UNUSED_PAD src0_sel:DWORD src1_sel:BYTE_3
	v_lshlrev_b32_sdwa v52, v32, v46 dst_sel:DWORD dst_unused:UNUSED_PAD src0_sel:DWORD src1_sel:BYTE_0
	v_lshlrev_b32_sdwa v54, v32, v46 dst_sel:DWORD dst_unused:UNUSED_PAD src0_sel:DWORD src1_sel:BYTE_1
	v_lshlrev_b32_sdwa v56, v32, v46 dst_sel:DWORD dst_unused:UNUSED_PAD src0_sel:DWORD src1_sel:BYTE_2
	v_lshlrev_b32_sdwa v57, v32, v46 dst_sel:DWORD dst_unused:UNUSED_PAD src0_sel:DWORD src1_sel:BYTE_3
	global_load_dword v55, v20, s[10:11]
	global_load_dword v53, v47, s[10:11]
	;; [unrolled: 1-line block ×8, first 2 shown]
	v_and_b32_e32 v20, 0x8040201, v59
	v_cmp_ne_u16_sdwa s[86:87], v20, v13 src0_sel:BYTE_3 src1_sel:DWORD
	v_cmp_ne_u16_sdwa s[90:91], v20, v13 src0_sel:BYTE_1 src1_sel:DWORD
	v_bfe_u32 v20, v36, 14, 8
	v_bcnt_u32_b32 v47, v20, 0
	v_and_b32_e32 v47, 1, v47
	v_lshlrev_b32_e32 v47, 7, v47
	v_xor_b32_e32 v20, v47, v20
	v_mul_lo_u32 v63, v20, s35
	v_and_b32_e32 v20, 0x8040201, v63
	v_cmp_ne_u16_sdwa s[76:77], v20, v13 src0_sel:BYTE_3 src1_sel:DWORD
	v_cmp_ne_u16_sdwa s[78:79], v20, v13 src0_sel:BYTE_1 src1_sel:DWORD
	v_bfe_u32 v20, v36, 21, 8
	v_bcnt_u32_b32 v47, v20, 0
	v_and_b32_e32 v47, 1, v47
	v_lshlrev_b32_e32 v47, 7, v47
	v_xor_b32_e32 v20, v47, v20
	v_mul_lo_u32 v60, v20, s35
	v_and_b32_e32 v64, 0x80402010, v63
	v_cmp_ne_u16_sdwa s[72:73], v64, v13 src0_sel:BYTE_3 src1_sel:DWORD
	v_cmp_ne_u16_sdwa s[74:75], v64, v13 src0_sel:BYTE_1 src1_sel:DWORD
	v_and_b32_e32 v20, 0x8040201, v60
	v_cmp_ne_u16_sdwa s[68:69], v20, v13 src0_sel:BYTE_3 src1_sel:DWORD
	v_cmp_ne_u16_sdwa s[70:71], v20, v13 src0_sel:BYTE_1 src1_sel:DWORD
	s_waitcnt vmcnt(9)
	v_and_b32_e32 v20, 0xff, v21
	v_bcnt_u32_b32 v47, v20, 0
	v_and_b32_e32 v47, 1, v47
	v_lshlrev_b32_e32 v47, 7, v47
	v_xor_b32_e32 v20, v47, v20
	v_mul_lo_u32 v57, v20, s35
	v_and_b32_e32 v61, 0x80402010, v60
	v_cmp_ne_u16_sdwa s[64:65], v61, v13 src0_sel:BYTE_3 src1_sel:DWORD
	v_cmp_ne_u16_sdwa s[66:67], v61, v13 src0_sel:BYTE_1 src1_sel:DWORD
	v_and_b32_e32 v20, 0x8040201, v57
	v_cmp_ne_u16_sdwa s[60:61], v20, v13 src0_sel:BYTE_3 src1_sel:DWORD
	v_cmp_ne_u16_sdwa s[62:63], v20, v13 src0_sel:BYTE_1 src1_sel:DWORD
	v_bfe_u32 v20, v21, 7, 8
	v_bcnt_u32_b32 v47, v20, 0
	v_and_b32_e32 v47, 1, v47
	v_lshlrev_b32_e32 v47, 7, v47
	v_xor_b32_e32 v20, v47, v20
	v_mul_lo_u32 v54, v20, s35
	v_and_b32_e32 v58, 0x80402010, v57
	v_cmp_ne_u16_sdwa s[56:57], v58, v13 src0_sel:BYTE_3 src1_sel:DWORD
	v_cmp_ne_u16_sdwa s[58:59], v58, v13 src0_sel:BYTE_1 src1_sel:DWORD
	v_and_b32_e32 v20, 0x8040201, v54
	v_cmp_ne_u16_sdwa s[52:53], v20, v13 src0_sel:BYTE_3 src1_sel:DWORD
	v_cmp_ne_u16_sdwa s[54:55], v20, v13 src0_sel:BYTE_1 src1_sel:DWORD
	v_bfe_u32 v20, v21, 14, 8
	;; [unrolled: 12-line block ×3, first 2 shown]
	v_bcnt_u32_b32 v47, v20, 0
	v_and_b32_e32 v47, 1, v47
	v_lshlrev_b32_e32 v47, 7, v47
	v_xor_b32_e32 v20, v47, v20
	v_mul_lo_u32 v47, v20, s35
	v_and_b32_e32 v52, 0x80402010, v51
	v_cmp_ne_u16_sdwa s[40:41], v52, v13 src0_sel:BYTE_3 src1_sel:DWORD
	v_cmp_ne_u16_sdwa s[42:43], v52, v13 src0_sel:BYTE_1 src1_sel:DWORD
	v_and_b32_e32 v20, 0x8040201, v47
	v_and_b32_e32 v48, 0x80402010, v47
	v_cmp_ne_u16_sdwa s[24:25], v20, v13 src0_sel:BYTE_3 src1_sel:DWORD
	v_cmp_ne_u16_sdwa s[36:37], v20, v13 src0_sel:BYTE_1 src1_sel:DWORD
	v_cmp_ne_u16_sdwa s[10:11], v48, v13 src0_sel:BYTE_3 src1_sel:DWORD
	v_cmp_ne_u16_sdwa s[20:21], v48, v13 src0_sel:BYTE_1 src1_sel:DWORD
	s_cbranch_vccnz .LBB193_17
; %bb.21:                               ;   in Loop: Header=BB193_18 Depth=1
	v_mov_b32_e32 v68, s29
	v_mov_b32_e32 v67, s28
	v_mad_i64_i32 v[19:20], vcc, v19, s33, v[67:68]
	v_add_co_u32_e32 v67, vcc, v19, v31
	v_addc_co_u32_e32 v68, vcc, 0, v20, vcc
	global_load_dwordx2 v[67:68], v[67:68], off offset:2
	v_add_co_u32_e32 v69, vcc, v19, v30
	v_addc_co_u32_e32 v70, vcc, 0, v20, vcc
	global_load_dword v69, v[69:70], off offset:66
	s_getpc_b64 vcc
	s_add_u32 vcc_lo, vcc_lo, _ZL11iq3xxs_grid@rel32@lo+4
	s_addc_u32 vcc_hi, vcc_hi, _ZL11iq3xxs_grid@rel32@hi+12
	global_load_ushort v19, v[19:20], off
	s_waitcnt vmcnt(2)
	v_lshlrev_b32_sdwa v70, v32, v67 dst_sel:DWORD dst_unused:UNUSED_PAD src0_sel:DWORD src1_sel:BYTE_0
	global_load_dword v70, v70, vcc
	v_lshlrev_b32_sdwa v71, v32, v67 dst_sel:DWORD dst_unused:UNUSED_PAD src0_sel:DWORD src1_sel:BYTE_1
	global_load_dword v71, v71, vcc
	s_waitcnt vmcnt(3)
	v_and_b32_e32 v72, 0xff, v69
	v_bcnt_u32_b32 v73, v72, 0
	v_and_b32_e32 v73, 1, v73
	v_lshlrev_b32_e32 v73, 7, v73
	v_xor_b32_e32 v72, v73, v72
	v_mul_lo_u32 v72, v72, s35
	s_waitcnt vmcnt(2)
	v_cvt_f32_f16_e32 v19, v19
	v_and_b32_e32 v73, 0x8040201, v72
	v_cmp_ne_u16_sdwa s[38:39], v73, v13 src0_sel:BYTE_3 src1_sel:DWORD
	v_cmp_ne_u16_sdwa s[2:3], v73, v13 src0_sel:BYTE_1 src1_sel:DWORD
	v_lshrrev_b32_e32 v74, 18, v72
	v_cndmask_b32_e64 v75, 0, -1, s[2:3]
	v_cndmask_b32_e64 v77, 0, -1, s[38:39]
	v_bfe_i32 v73, v72, 0, 1
	v_lshlrev_b16_e32 v75, 8, v75
	v_bfe_i32 v74, v74, 0, 1
	v_lshlrev_b16_e32 v77, 8, v77
	v_or_b32_sdwa v76, v73, v75 dst_sel:DWORD dst_unused:UNUSED_PAD src0_sel:BYTE_0 src1_sel:DWORD
	v_or_b32_sdwa v78, v74, v77 dst_sel:WORD_1 dst_unused:UNUSED_PAD src0_sel:BYTE_0 src1_sel:DWORD
	v_or_b32_sdwa v76, v76, v78 dst_sel:DWORD dst_unused:UNUSED_PAD src0_sel:WORD_0 src1_sel:DWORD
	v_lshlrev_b16_e32 v73, 8, v73
	v_lshlrev_b16_e32 v74, 8, v74
	v_mul_f32_e32 v19, v6, v19
	s_waitcnt vmcnt(1)
	v_xor_b32_e32 v70, v70, v76
	v_and_b32_e32 v76, 0xffffff00, v70
	v_sub_i16 v75, v76, v75 clamp
	v_lshlrev_b16_e32 v76, 8, v70
	v_sub_i16 v73, v76, v73 clamp
	v_perm_b32 v73, v73, v75, s22
	v_and_b32_sdwa v75, v70, s26 dst_sel:DWORD dst_unused:UNUSED_PAD src0_sel:WORD_1 src1_sel:DWORD
	v_lshlrev_b16_sdwa v70, v33, v70 dst_sel:DWORD dst_unused:UNUSED_PAD src0_sel:DWORD src1_sel:WORD_1
	v_sub_i16 v75, v75, v77 clamp
	v_sub_i16 v70, v70, v74 clamp
	v_perm_b32 v70, v70, v75, s22
	v_lshl_or_b32 v70, v70, 16, v73
	v_and_b32_e32 v73, 0x80402010, v72
	v_cmp_ne_u16_sdwa s[2:3], v73, v13 src0_sel:BYTE_3 src1_sel:DWORD
	v_cmp_ne_u16_sdwa s[38:39], v73, v13 src0_sel:BYTE_1 src1_sel:DWORD
	v_lshrrev_b32_e32 v72, 22, v72
	v_lshrrev_b16_e32 v73, 4, v73
	v_cndmask_b32_e64 v74, 0, -1, s[38:39]
	v_cndmask_b32_e64 v76, 0, -1, s[2:3]
	v_bfe_i32 v73, v73, 0, 1
	v_lshlrev_b16_e32 v74, 8, v74
	v_bfe_i32 v72, v72, 0, 1
	v_lshlrev_b16_e32 v76, 8, v76
	v_or_b32_sdwa v75, v73, v74 dst_sel:DWORD dst_unused:UNUSED_PAD src0_sel:BYTE_0 src1_sel:DWORD
	v_or_b32_sdwa v77, v72, v76 dst_sel:WORD_1 dst_unused:UNUSED_PAD src0_sel:BYTE_0 src1_sel:DWORD
	v_or_b32_sdwa v75, v75, v77 dst_sel:DWORD dst_unused:UNUSED_PAD src0_sel:WORD_0 src1_sel:DWORD
	s_waitcnt vmcnt(0)
	v_xor_b32_e32 v71, v71, v75
	v_and_b32_e32 v75, 0xffffff00, v71
	v_sub_i16 v74, v75, v74 clamp
	v_lshlrev_b16_e32 v75, 8, v71
	v_lshlrev_b16_e32 v73, 8, v73
	v_sub_i16 v73, v75, v73 clamp
	v_perm_b32 v73, v73, v74, s22
	v_and_b32_sdwa v74, v71, s26 dst_sel:DWORD dst_unused:UNUSED_PAD src0_sel:WORD_1 src1_sel:DWORD
	v_lshlrev_b16_sdwa v71, v33, v71 dst_sel:DWORD dst_unused:UNUSED_PAD src0_sel:DWORD src1_sel:WORD_1
	v_lshlrev_b16_e32 v72, 8, v72
	v_sub_i16 v74, v74, v76 clamp
	v_sub_i16 v71, v71, v72 clamp
	v_perm_b32 v71, v71, v74, s22
	v_lshl_or_b32 v71, v71, 16, v73
	v_dot4_i32_i8 v70, v70, v7, 0
	v_dot4_i32_i8 v70, v71, v8, v70
	v_lshlrev_b32_sdwa v71, v32, v67 dst_sel:DWORD dst_unused:UNUSED_PAD src0_sel:DWORD src1_sel:BYTE_2
	global_load_dword v71, v71, vcc
	v_lshlrev_b32_sdwa v67, v32, v67 dst_sel:DWORD dst_unused:UNUSED_PAD src0_sel:DWORD src1_sel:BYTE_3
	global_load_dword v67, v67, vcc
	v_bfe_u32 v72, v69, 7, 8
	v_bcnt_u32_b32 v73, v72, 0
	v_and_b32_e32 v73, 1, v73
	v_lshlrev_b32_e32 v73, 7, v73
	v_xor_b32_e32 v72, v73, v72
	v_mul_lo_u32 v72, v72, s35
	v_and_b32_e32 v73, 0x8040201, v72
	v_cmp_ne_u16_sdwa s[2:3], v73, v13 src0_sel:BYTE_3 src1_sel:DWORD
	v_cmp_ne_u16_sdwa s[38:39], v73, v13 src0_sel:BYTE_1 src1_sel:DWORD
	v_lshrrev_b32_e32 v74, 18, v72
	v_cndmask_b32_e64 v75, 0, -1, s[38:39]
	v_cndmask_b32_e64 v77, 0, -1, s[2:3]
	v_bfe_i32 v73, v72, 0, 1
	v_lshlrev_b16_e32 v75, 8, v75
	v_bfe_i32 v74, v74, 0, 1
	v_lshlrev_b16_e32 v77, 8, v77
	v_or_b32_sdwa v76, v73, v75 dst_sel:DWORD dst_unused:UNUSED_PAD src0_sel:BYTE_0 src1_sel:DWORD
	v_or_b32_sdwa v78, v74, v77 dst_sel:WORD_1 dst_unused:UNUSED_PAD src0_sel:BYTE_0 src1_sel:DWORD
	v_or_b32_sdwa v76, v76, v78 dst_sel:DWORD dst_unused:UNUSED_PAD src0_sel:WORD_0 src1_sel:DWORD
	v_lshlrev_b16_e32 v73, 8, v73
	v_lshlrev_b16_e32 v74, 8, v74
	s_waitcnt vmcnt(1)
	v_xor_b32_e32 v71, v71, v76
	v_and_b32_e32 v76, 0xffffff00, v71
	v_sub_i16 v75, v76, v75 clamp
	v_lshlrev_b16_e32 v76, 8, v71
	v_sub_i16 v73, v76, v73 clamp
	v_perm_b32 v73, v73, v75, s22
	v_and_b32_sdwa v75, v71, s26 dst_sel:DWORD dst_unused:UNUSED_PAD src0_sel:WORD_1 src1_sel:DWORD
	v_lshlrev_b16_sdwa v71, v33, v71 dst_sel:DWORD dst_unused:UNUSED_PAD src0_sel:DWORD src1_sel:WORD_1
	v_sub_i16 v75, v75, v77 clamp
	v_sub_i16 v71, v71, v74 clamp
	v_perm_b32 v71, v71, v75, s22
	v_lshl_or_b32 v71, v71, 16, v73
	v_and_b32_e32 v73, 0x80402010, v72
	v_cmp_ne_u16_sdwa s[2:3], v73, v13 src0_sel:BYTE_3 src1_sel:DWORD
	v_cmp_ne_u16_sdwa s[38:39], v73, v13 src0_sel:BYTE_1 src1_sel:DWORD
	v_lshrrev_b32_e32 v72, 22, v72
	v_lshrrev_b16_e32 v73, 4, v73
	v_cndmask_b32_e64 v74, 0, -1, s[38:39]
	v_cndmask_b32_e64 v76, 0, -1, s[2:3]
	v_bfe_i32 v73, v73, 0, 1
	v_lshlrev_b16_e32 v74, 8, v74
	v_bfe_i32 v72, v72, 0, 1
	v_lshlrev_b16_e32 v76, 8, v76
	v_or_b32_sdwa v75, v73, v74 dst_sel:DWORD dst_unused:UNUSED_PAD src0_sel:BYTE_0 src1_sel:DWORD
	v_or_b32_sdwa v77, v72, v76 dst_sel:WORD_1 dst_unused:UNUSED_PAD src0_sel:BYTE_0 src1_sel:DWORD
	v_or_b32_sdwa v75, v75, v77 dst_sel:DWORD dst_unused:UNUSED_PAD src0_sel:WORD_0 src1_sel:DWORD
	s_waitcnt vmcnt(0)
	v_xor_b32_e32 v67, v67, v75
	v_and_b32_e32 v75, 0xffffff00, v67
	v_sub_i16 v74, v75, v74 clamp
	v_lshlrev_b16_e32 v75, 8, v67
	v_lshlrev_b16_e32 v73, 8, v73
	v_sub_i16 v73, v75, v73 clamp
	v_perm_b32 v73, v73, v74, s22
	v_and_b32_sdwa v74, v67, s26 dst_sel:DWORD dst_unused:UNUSED_PAD src0_sel:WORD_1 src1_sel:DWORD
	v_lshlrev_b16_sdwa v67, v33, v67 dst_sel:DWORD dst_unused:UNUSED_PAD src0_sel:DWORD src1_sel:WORD_1
	v_lshlrev_b16_e32 v72, 8, v72
	v_sub_i16 v74, v74, v76 clamp
	v_sub_i16 v67, v67, v72 clamp
	v_perm_b32 v67, v67, v74, s22
	v_lshl_or_b32 v67, v67, 16, v73
	v_dot4_i32_i8 v70, v71, v9, v70
	v_dot4_i32_i8 v67, v67, v2, v70
	v_lshlrev_b32_sdwa v70, v32, v68 dst_sel:DWORD dst_unused:UNUSED_PAD src0_sel:DWORD src1_sel:BYTE_0
	global_load_dword v70, v70, vcc
	v_lshlrev_b32_sdwa v71, v32, v68 dst_sel:DWORD dst_unused:UNUSED_PAD src0_sel:DWORD src1_sel:BYTE_1
	v_bfe_u32 v72, v69, 14, 8
	global_load_dword v71, v71, vcc
	v_bcnt_u32_b32 v73, v72, 0
	v_and_b32_e32 v73, 1, v73
	v_lshlrev_b32_e32 v73, 7, v73
	v_xor_b32_e32 v72, v73, v72
	v_mul_lo_u32 v72, v72, s35
	v_and_b32_e32 v73, 0x8040201, v72
	v_cmp_ne_u16_sdwa s[2:3], v73, v13 src0_sel:BYTE_3 src1_sel:DWORD
	v_cmp_ne_u16_sdwa s[38:39], v73, v13 src0_sel:BYTE_1 src1_sel:DWORD
	v_lshrrev_b32_e32 v74, 18, v72
	v_cndmask_b32_e64 v75, 0, -1, s[38:39]
	v_cndmask_b32_e64 v77, 0, -1, s[2:3]
	v_bfe_i32 v73, v72, 0, 1
	v_lshlrev_b16_e32 v75, 8, v75
	v_bfe_i32 v74, v74, 0, 1
	v_lshlrev_b16_e32 v77, 8, v77
	v_or_b32_sdwa v76, v73, v75 dst_sel:DWORD dst_unused:UNUSED_PAD src0_sel:BYTE_0 src1_sel:DWORD
	v_or_b32_sdwa v78, v74, v77 dst_sel:WORD_1 dst_unused:UNUSED_PAD src0_sel:BYTE_0 src1_sel:DWORD
	v_or_b32_sdwa v76, v76, v78 dst_sel:DWORD dst_unused:UNUSED_PAD src0_sel:WORD_0 src1_sel:DWORD
	v_lshlrev_b16_e32 v73, 8, v73
	v_lshlrev_b16_e32 v74, 8, v74
	s_waitcnt vmcnt(1)
	v_xor_b32_e32 v70, v70, v76
	v_and_b32_e32 v76, 0xffffff00, v70
	v_sub_i16 v75, v76, v75 clamp
	v_lshlrev_b16_e32 v76, 8, v70
	v_sub_i16 v73, v76, v73 clamp
	v_perm_b32 v73, v73, v75, s22
	v_and_b32_sdwa v75, v70, s26 dst_sel:DWORD dst_unused:UNUSED_PAD src0_sel:WORD_1 src1_sel:DWORD
	v_lshlrev_b16_sdwa v70, v33, v70 dst_sel:DWORD dst_unused:UNUSED_PAD src0_sel:DWORD src1_sel:WORD_1
	v_sub_i16 v75, v75, v77 clamp
	v_sub_i16 v70, v70, v74 clamp
	v_perm_b32 v70, v70, v75, s22
	v_lshl_or_b32 v70, v70, 16, v73
	v_dot4_i32_i8 v67, v70, v3, v67
	v_lshlrev_b32_sdwa v70, v32, v68 dst_sel:DWORD dst_unused:UNUSED_PAD src0_sel:DWORD src1_sel:BYTE_2
	global_load_dword v70, v70, vcc
	v_lshlrev_b32_sdwa v68, v32, v68 dst_sel:DWORD dst_unused:UNUSED_PAD src0_sel:DWORD src1_sel:BYTE_3
	global_load_dword v68, v68, vcc
	v_and_b32_e32 v73, 0x80402010, v72
	v_cmp_ne_u16_sdwa s[2:3], v73, v13 src0_sel:BYTE_3 src1_sel:DWORD
	v_cmp_ne_u16_sdwa s[38:39], v73, v13 src0_sel:BYTE_1 src1_sel:DWORD
	v_lshrrev_b32_e32 v72, 22, v72
	v_lshrrev_b16_e32 v73, 4, v73
	v_cndmask_b32_e64 v74, 0, -1, s[38:39]
	v_cndmask_b32_e64 v76, 0, -1, s[2:3]
	v_bfe_i32 v73, v73, 0, 1
	v_lshlrev_b16_e32 v74, 8, v74
	v_bfe_i32 v72, v72, 0, 1
	v_lshlrev_b16_e32 v76, 8, v76
	v_or_b32_sdwa v75, v73, v74 dst_sel:DWORD dst_unused:UNUSED_PAD src0_sel:BYTE_0 src1_sel:DWORD
	v_or_b32_sdwa v77, v72, v76 dst_sel:WORD_1 dst_unused:UNUSED_PAD src0_sel:BYTE_0 src1_sel:DWORD
	v_or_b32_sdwa v75, v75, v77 dst_sel:DWORD dst_unused:UNUSED_PAD src0_sel:WORD_0 src1_sel:DWORD
	s_waitcnt vmcnt(2)
	v_xor_b32_e32 v71, v71, v75
	v_and_b32_e32 v75, 0xffffff00, v71
	v_sub_i16 v74, v75, v74 clamp
	v_lshlrev_b16_e32 v75, 8, v71
	v_lshlrev_b16_e32 v73, 8, v73
	v_sub_i16 v73, v75, v73 clamp
	v_perm_b32 v73, v73, v74, s22
	v_and_b32_sdwa v74, v71, s26 dst_sel:DWORD dst_unused:UNUSED_PAD src0_sel:WORD_1 src1_sel:DWORD
	v_lshlrev_b16_sdwa v71, v33, v71 dst_sel:DWORD dst_unused:UNUSED_PAD src0_sel:DWORD src1_sel:WORD_1
	v_lshlrev_b16_e32 v72, 8, v72
	v_sub_i16 v74, v74, v76 clamp
	v_sub_i16 v71, v71, v72 clamp
	v_perm_b32 v71, v71, v74, s22
	v_lshl_or_b32 v71, v71, 16, v73
	v_dot4_i32_i8 v67, v71, v4, v67
	v_bfe_u32 v71, v69, 21, 8
	v_bcnt_u32_b32 v72, v71, 0
	v_and_b32_e32 v72, 1, v72
	v_lshlrev_b32_e32 v72, 7, v72
	v_xor_b32_e32 v71, v72, v71
	v_mul_lo_u32 v71, v71, s35
	v_lshrrev_b32_e32 v69, 28, v69
	v_and_b32_e32 v72, 0x8040201, v71
	v_cmp_ne_u16_sdwa s[2:3], v72, v13 src0_sel:BYTE_3 src1_sel:DWORD
	v_cmp_ne_u16_sdwa s[38:39], v72, v13 src0_sel:BYTE_1 src1_sel:DWORD
	v_lshrrev_b32_e32 v73, 18, v71
	v_cndmask_b32_e64 v74, 0, -1, s[38:39]
	v_cndmask_b32_e64 v76, 0, -1, s[2:3]
	v_bfe_i32 v72, v71, 0, 1
	v_lshlrev_b16_e32 v74, 8, v74
	v_bfe_i32 v73, v73, 0, 1
	v_lshlrev_b16_e32 v76, 8, v76
	v_or_b32_sdwa v75, v72, v74 dst_sel:DWORD dst_unused:UNUSED_PAD src0_sel:BYTE_0 src1_sel:DWORD
	v_or_b32_sdwa v77, v73, v76 dst_sel:WORD_1 dst_unused:UNUSED_PAD src0_sel:BYTE_0 src1_sel:DWORD
	v_or_b32_sdwa v75, v75, v77 dst_sel:DWORD dst_unused:UNUSED_PAD src0_sel:WORD_0 src1_sel:DWORD
	v_lshlrev_b16_e32 v72, 8, v72
	v_lshlrev_b16_e32 v73, 8, v73
	s_waitcnt vmcnt(1)
	v_xor_b32_e32 v70, v70, v75
	v_and_b32_e32 v75, 0xffffff00, v70
	v_sub_i16 v74, v75, v74 clamp
	v_lshlrev_b16_e32 v75, 8, v70
	v_sub_i16 v72, v75, v72 clamp
	v_perm_b32 v72, v72, v74, s22
	v_and_b32_sdwa v74, v70, s26 dst_sel:DWORD dst_unused:UNUSED_PAD src0_sel:WORD_1 src1_sel:DWORD
	v_lshlrev_b16_sdwa v70, v33, v70 dst_sel:DWORD dst_unused:UNUSED_PAD src0_sel:DWORD src1_sel:WORD_1
	v_sub_i16 v74, v74, v76 clamp
	v_sub_i16 v70, v70, v73 clamp
	v_perm_b32 v70, v70, v74, s22
	v_lshl_or_b32 v70, v70, 16, v72
	v_and_b32_e32 v72, 0x80402010, v71
	v_cmp_ne_u16_sdwa s[2:3], v72, v13 src0_sel:BYTE_3 src1_sel:DWORD
	v_cmp_ne_u16_sdwa s[38:39], v72, v13 src0_sel:BYTE_1 src1_sel:DWORD
	v_lshrrev_b32_e32 v71, 22, v71
	v_lshrrev_b16_e32 v72, 4, v72
	v_cndmask_b32_e64 v73, 0, -1, s[38:39]
	v_cndmask_b32_e64 v75, 0, -1, s[2:3]
	v_bfe_i32 v72, v72, 0, 1
	v_lshlrev_b16_e32 v73, 8, v73
	v_bfe_i32 v71, v71, 0, 1
	v_lshlrev_b16_e32 v75, 8, v75
	v_or_b32_sdwa v74, v72, v73 dst_sel:DWORD dst_unused:UNUSED_PAD src0_sel:BYTE_0 src1_sel:DWORD
	v_or_b32_sdwa v76, v71, v75 dst_sel:WORD_1 dst_unused:UNUSED_PAD src0_sel:BYTE_0 src1_sel:DWORD
	v_or_b32_sdwa v74, v74, v76 dst_sel:DWORD dst_unused:UNUSED_PAD src0_sel:WORD_0 src1_sel:DWORD
	s_waitcnt vmcnt(0)
	v_xor_b32_e32 v68, v68, v74
	v_and_b32_e32 v74, 0xffffff00, v68
	v_sub_i16 v73, v74, v73 clamp
	v_lshlrev_b16_e32 v74, 8, v68
	v_lshlrev_b16_e32 v72, 8, v72
	v_sub_i16 v72, v74, v72 clamp
	v_perm_b32 v72, v72, v73, s22
	v_and_b32_sdwa v73, v68, s26 dst_sel:DWORD dst_unused:UNUSED_PAD src0_sel:WORD_1 src1_sel:DWORD
	v_lshlrev_b16_sdwa v68, v33, v68 dst_sel:DWORD dst_unused:UNUSED_PAD src0_sel:DWORD src1_sel:WORD_1
	v_lshlrev_b16_e32 v71, 8, v71
	v_sub_i16 v73, v73, v75 clamp
	v_sub_i16 v68, v68, v71 clamp
	v_perm_b32 v68, v68, v73, s22
	v_lshl_or_b32 v68, v68, 16, v72
	v_dot4_i32_i8 v67, v70, v5, v67
	v_dot4_i32_i8 v68, v68, v34, v67
	v_lshrrev_b32_e32 v67, 31, v68
	v_add_u32_e32 v67, v68, v67
	v_ashrrev_i32_e32 v67, 1, v67
	v_mad_u64_u32 v[67:68], s[2:3], v68, v69, v[67:68]
	v_lshrrev_b32_e32 v68, 31, v67
	v_add_u32_e32 v67, v67, v68
	v_ashrrev_i32_e32 v67, 1, v67
	v_cvt_f32_i32_e32 v20, v67
	v_fma_f32 v11, v19, v20, v11
	s_branch .LBB193_17
.LBB193_22:
	s_or_b64 exec, exec, s[14:15]
	v_readlane_b32 s26, v82, 2
	v_readlane_b32 s27, v82, 3
.LBB193_23:
	s_or_b64 exec, exec, s[30:31]
	s_load_dword s14, s[4:5], 0x30
	v_cmp_eq_u32_e64 s[6:7], 0, v1
	v_cmp_ne_u32_e32 vcc, 0, v1
	v_lshlrev_b32_e32 v2, 2, v0
	s_and_saveexec_b64 s[10:11], vcc
	s_cbranch_execz .LBB193_28
; %bb.24:
	v_readlane_b32 s2, v82, 0
	v_lshl_or_b32 v1, v1, 9, v2
	v_readlane_b32 s3, v82, 1
	v_add_u32_e32 v3, 0xfffffe00, v1
	s_mov_b64 s[12:13], -1
	s_and_b64 vcc, exec, s[2:3]
	ds_write_b32 v3, v14
	s_cbranch_vccz .LBB193_26
; %bb.25:
	ds_write_b32 v3, v12 offset:256
	s_mov_b64 s[12:13], 0
.LBB193_26:
	s_andn2_b64 vcc, exec, s[12:13]
	s_cbranch_vccnz .LBB193_28
; %bb.27:
	ds_write_b32 v3, v12 offset:256
	ds_write2st64_b32 v1, v10, v11 offset1:1
.LBB193_28:
	s_or_b64 exec, exec, s[10:11]
	s_waitcnt vmcnt(0) lgkmcnt(0)
	s_barrier
	s_and_saveexec_b64 s[2:3], s[6:7]
	s_cbranch_execz .LBB193_61
; %bb.29:
	ds_read_b32 v4, v2
	v_cmp_ne_u32_e64 s[6:7], 1, v28
	s_andn2_b64 vcc, exec, s[18:19]
	v_or_b32_e32 v3, 0x200, v2
	s_cbranch_vccnz .LBB193_31
; %bb.30:
	ds_read_b32 v1, v3
	s_waitcnt lgkmcnt(0)
	v_add_f32_e32 v10, v10, v1
.LBB193_31:
	v_mbcnt_lo_u32_b32 v1, -1, 0
	v_mbcnt_hi_u32_b32 v5, -1, v1
	v_and_b32_e32 v1, 64, v5
	v_add_u32_e32 v13, 64, v1
	v_xor_b32_e32 v1, 32, v5
	v_cmp_lt_i32_e32 vcc, v1, v13
	v_cndmask_b32_e32 v1, v5, v1, vcc
	v_lshlrev_b32_e32 v1, 2, v1
	s_waitcnt lgkmcnt(0)
	v_add_f32_e32 v4, v14, v4
	ds_bpermute_b32 v7, v1, v4
	v_xor_b32_e32 v6, 16, v5
	v_cmp_lt_i32_e32 vcc, v6, v13
	v_cndmask_b32_e32 v6, v5, v6, vcc
	v_lshlrev_b32_e32 v6, 2, v6
	s_waitcnt lgkmcnt(0)
	v_add_f32_e32 v4, v4, v7
	ds_bpermute_b32 v8, v6, v4
	;; [unrolled: 7-line block ×6, first 2 shown]
	s_and_b64 vcc, exec, s[6:7]
	s_cbranch_vccnz .LBB193_33
; %bb.32:
	ds_bpermute_b32 v14, v1, v10
	s_waitcnt lgkmcnt(0)
	v_add_f32_e32 v10, v10, v14
	ds_bpermute_b32 v14, v6, v10
	s_waitcnt lgkmcnt(0)
	v_add_f32_e32 v10, v10, v14
	;; [unrolled: 3-line block ×6, first 2 shown]
.LBB193_33:
	ds_read_b32 v14, v2 offset:256
	s_and_b64 vcc, exec, s[6:7]
	s_cbranch_vccnz .LBB193_35
; %bb.34:
	ds_read_b32 v3, v3 offset:256
	s_waitcnt lgkmcnt(0)
	v_add_f32_e32 v11, v11, v3
.LBB193_35:
	s_waitcnt lgkmcnt(0)
	v_add_f32_e32 v3, v12, v14
	ds_bpermute_b32 v12, v1, v3
	s_and_b64 vcc, exec, s[6:7]
	s_waitcnt lgkmcnt(0)
	v_add_f32_e32 v3, v3, v12
	ds_bpermute_b32 v12, v6, v3
	s_waitcnt lgkmcnt(0)
	v_add_f32_e32 v3, v3, v12
	ds_bpermute_b32 v12, v7, v3
	;; [unrolled: 3-line block ×5, first 2 shown]
	s_cbranch_vccnz .LBB193_37
; %bb.36:
	ds_bpermute_b32 v1, v1, v11
	s_waitcnt lgkmcnt(0)
	v_add_f32_e32 v1, v11, v1
	ds_bpermute_b32 v6, v6, v1
	s_waitcnt lgkmcnt(0)
	v_add_f32_e32 v1, v1, v6
	;; [unrolled: 3-line block ×6, first 2 shown]
.LBB193_37:
	v_cmp_gt_u32_e32 vcc, s9, v25
	v_cmp_gt_u32_e64 s[10:11], 2, v0
	s_and_b64 s[2:3], s[10:11], vcc
	s_and_b64 exec, exec, s[2:3]
	s_cbranch_execz .LBB193_61
; %bb.38:
	v_add_f32_e32 v1, v4, v5
	s_waitcnt lgkmcnt(0)
	v_add_f32_e32 v3, v3, v12
	v_cmp_eq_u32_e64 s[10:11], 1, v0
	v_cndmask_b32_e64 v0, v1, v3, s[10:11]
	v_add_f32_e32 v1, v27, v0
	s_and_b64 vcc, exec, s[6:7]
	v_cndmask_b32_e64 v0, v1, v0, s[0:1]
	s_cbranch_vccnz .LBB193_60
; %bb.39:
	v_cndmask_b32_e64 v1, v10, v11, s[10:11]
	v_add_f32_e32 v3, v26, v1
	v_cndmask_b32_e64 v1, v1, v3, s[26:27]
	s_cmp_lt_i32 s14, 2
	s_mov_b64 s[0:1], 0
	s_cbranch_scc1 .LBB193_43
; %bb.40:
	s_cmp_gt_i32 s14, 2
	s_cbranch_scc0 .LBB193_44
; %bb.41:
	s_cmp_eq_u32 s14, 3
	s_cbranch_scc0 .LBB193_45
; %bb.42:
	v_max_f32_e32 v3, v1, v1
	v_min_f32_e32 v3, 0x40e00000, v3
	v_mul_f32_e32 v4, 0xbfd9db23, v3
	s_mov_b32 s2, 0x3fb8aa3b
	v_mul_f32_e32 v5, 0x3fb8aa3b, v4
	v_fma_f32 v6, v4, s2, -v5
	v_rndne_f32_e32 v7, v5
	v_fmac_f32_e32 v6, 0x32a5705f, v4
	v_sub_f32_e32 v5, v5, v7
	v_add_f32_e32 v5, v5, v6
	v_exp_f32_e32 v5, v5
	v_cvt_i32_f32_e32 v6, v7
	s_mov_b32 s2, 0xc2ce8ed0
	v_cmp_ngt_f32_e32 vcc, s2, v4
	s_mov_b32 s2, 0x42b17218
	v_ldexp_f32 v5, v5, v6
	v_cndmask_b32_e32 v5, 0, v5, vcc
	v_mov_b32_e32 v6, 0x7f800000
	v_cmp_nlt_f32_e32 vcc, s2, v4
	v_cndmask_b32_e32 v4, v6, v5, vcc
	v_add_f32_e32 v4, 1.0, v4
	v_div_scale_f32 v5, s[2:3], v4, v4, v3
	v_div_scale_f32 v6, vcc, v3, v4, v3
	s_mov_b64 s[2:3], 0
	v_rcp_f32_e32 v7, v5
	v_fma_f32 v8, -v5, v7, 1.0
	v_fmac_f32_e32 v7, v8, v7
	v_mul_f32_e32 v8, v6, v7
	v_fma_f32 v9, -v5, v8, v6
	v_fmac_f32_e32 v8, v9, v7
	v_fma_f32 v5, -v5, v8, v6
	v_div_fmas_f32 v5, v5, v7, v8
	v_max_f32_e32 v6, v0, v0
	v_min_f32_e32 v6, 0x40e00000, v6
	v_max_f32_e32 v6, 0xc0e00000, v6
	v_add_f32_e32 v6, 1.0, v6
	v_div_fixup_f32 v3, v5, v4, v3
	v_mul_f32_e32 v3, v6, v3
	s_branch .LBB193_46
.LBB193_43:
                                        ; implicit-def: $vgpr3
	s_mov_b64 s[2:3], 0
	s_cbranch_execnz .LBB193_50
	s_branch .LBB193_51
.LBB193_44:
	s_mov_b64 s[6:7], -1
	s_mov_b64 s[2:3], 0
                                        ; implicit-def: $vgpr3
	s_branch .LBB193_47
.LBB193_45:
	s_mov_b64 s[2:3], -1
                                        ; implicit-def: $vgpr3
.LBB193_46:
	s_mov_b64 s[6:7], 0
.LBB193_47:
	s_and_b64 vcc, exec, s[6:7]
	s_cbranch_vccz .LBB193_49
; %bb.48:
	v_mul_f32_e32 v3, 0xbfb8aa3b, v1
	s_mov_b32 s6, 0xbfb8aa3b
	v_rndne_f32_e32 v4, v3
	v_sub_f32_e32 v5, v3, v4
	v_fma_f32 v3, v1, s6, -v3
	v_fmac_f32_e32 v3, 0xb2a5705f, v1
	v_add_f32_e32 v3, v5, v3
	v_exp_f32_e32 v3, v3
	v_cvt_i32_f32_e32 v4, v4
	s_mov_b32 s6, 0x42ce8ed0
	v_cmp_nlt_f32_e32 vcc, s6, v1
	s_mov_b32 s6, 0xc2b17218
	v_ldexp_f32 v3, v3, v4
	v_cndmask_b32_e32 v3, 0, v3, vcc
	v_mov_b32_e32 v4, 0x7f800000
	v_cmp_ngt_f32_e32 vcc, s6, v1
	v_cndmask_b32_e32 v3, v4, v3, vcc
	v_add_f32_e32 v3, 1.0, v3
	v_div_scale_f32 v4, s[6:7], v3, v3, v1
	v_div_scale_f32 v5, vcc, v1, v3, v1
	v_rcp_f32_e32 v6, v4
	v_fma_f32 v7, -v4, v6, 1.0
	v_fmac_f32_e32 v6, v7, v6
	v_mul_f32_e32 v7, v5, v6
	v_fma_f32 v8, -v4, v7, v5
	v_fmac_f32_e32 v7, v8, v6
	v_fma_f32 v4, -v4, v7, v5
	v_div_fmas_f32 v4, v4, v6, v7
	v_div_fixup_f32 v3, v4, v3, v1
	v_mul_f32_e32 v3, v0, v3
.LBB193_49:
	s_branch .LBB193_51
.LBB193_50:
	s_cmp_lg_u32 s14, 1
	s_mov_b64 s[0:1], -1
	s_cselect_b64 s[2:3], -1, 0
.LBB193_51:
	s_andn2_b64 vcc, exec, s[2:3]
	s_cbranch_vccz .LBB193_53
; %bb.52:
	s_andn2_b64 vcc, exec, s[0:1]
	s_cbranch_vccz .LBB193_54
	s_branch .LBB193_59
.LBB193_53:
	v_mul_f32_e32 v3, v1, v0
	s_cbranch_execnz .LBB193_59
.LBB193_54:
	v_mul_f32_e32 v4, 0x3d372713, v1
	v_mul_f32_e32 v3, 0x3f4c422a, v1
	v_fma_f32 v4, v1, v4, 1.0
	v_mul_f32_e32 v3, v3, v4
	s_mov_b32 s0, 0x3f200000
	v_cmp_nlt_f32_e64 s[0:1], |v3|, s0
                                        ; implicit-def: $vgpr4
	s_and_saveexec_b64 s[2:3], s[0:1]
	s_xor_b64 s[0:1], exec, s[2:3]
	s_cbranch_execz .LBB193_56
; %bb.55:
	v_add_f32_e64 v4, |v3|, |v3|
	v_mul_f32_e32 v5, 0x3fb8aa3b, v4
	s_mov_b32 s2, 0x3fb8aa3b
	v_rndne_f32_e32 v6, v5
	v_sub_f32_e32 v7, v5, v6
	v_fma_f32 v5, v4, s2, -v5
	v_fmac_f32_e32 v5, 0x32a5705f, v4
	v_add_f32_e32 v5, v7, v5
	v_exp_f32_e32 v5, v5
	v_cvt_i32_f32_e32 v6, v6
	s_mov_b32 s2, 0xc2ce8ed0
	v_cmp_ngt_f32_e32 vcc, s2, v4
	s_mov_b32 s2, 0x42b17218
	v_ldexp_f32 v5, v5, v6
	v_cndmask_b32_e32 v5, 0, v5, vcc
	v_mov_b32_e32 v6, 0x7f800000
	v_cmp_nlt_f32_e32 vcc, s2, v4
	v_cndmask_b32_e32 v4, v6, v5, vcc
	v_add_f32_e32 v4, 1.0, v4
	v_rcp_f32_e32 v4, v4
	v_fma_f32 v4, v4, -2.0, 1.0
.LBB193_56:
	s_andn2_saveexec_b64 s[0:1], s[0:1]
	s_cbranch_execz .LBB193_58
; %bb.57:
	v_mul_f32_e32 v4, v3, v3
	v_mov_b32_e32 v5, 0x3ca908c9
	v_fmac_f32_e32 v5, 0xbbbac73d, v4
	v_mov_b32_e32 v6, 0xbd5c1c4e
	v_fmac_f32_e32 v6, v4, v5
	;; [unrolled: 2-line block ×4, first 2 shown]
	v_mul_f32_e64 v5, |v3|, v6
	v_fma_f32 v4, v4, v5, |v3|
.LBB193_58:
	s_or_b64 exec, exec, s[0:1]
	s_brev_b32 s0, -2
	v_bfi_b32 v3, s0, v4, v3
	v_mul_f32_e32 v1, 0.5, v1
	v_add_f32_e32 v3, 1.0, v3
	v_mul_f32_e32 v1, v1, v3
	v_mul_f32_e32 v3, v0, v1
.LBB193_59:
	v_mov_b32_e32 v0, v3
.LBB193_60:
	s_load_dwordx4 s[0:3], s[4:5], 0x80
	s_waitcnt lgkmcnt(0)
	s_load_dwordx2 s[0:1], s[4:5], 0x38
	s_mul_i32 s2, s2, s8
	s_load_dwordx4 s[8:11], s[4:5], 0x68
	s_waitcnt lgkmcnt(0)
	s_mul_i32 s3, s10, s34
	s_add_i32 s3, s3, s16
	s_add_i32 s2, s3, s2
	s_mov_b32 s3, 0
	s_lshl_b64 s[2:3], s[2:3], 2
	s_add_u32 s0, s0, s2
	s_addc_u32 s1, s1, s3
	global_store_dword v2, v0, s[0:1]
.LBB193_61:
	s_endpgm
	.section	.rodata,"a",@progbits
	.p2align	6, 0x0
	.amdhsa_kernel _ZL13mul_mat_vec_qIL9ggml_type18ELi1ELb1ELb1EEvPKvS2_PKi31ggml_cuda_mm_fusion_args_devicePfj15HIP_vector_typeIjLj3EEjjjS8_jjjS8_jjjj
		.amdhsa_group_segment_fixed_size 1024
		.amdhsa_private_segment_fixed_size 0
		.amdhsa_kernarg_size 144
		.amdhsa_user_sgpr_count 6
		.amdhsa_user_sgpr_private_segment_buffer 1
		.amdhsa_user_sgpr_dispatch_ptr 0
		.amdhsa_user_sgpr_queue_ptr 0
		.amdhsa_user_sgpr_kernarg_segment_ptr 1
		.amdhsa_user_sgpr_dispatch_id 0
		.amdhsa_user_sgpr_flat_scratch_init 0
		.amdhsa_user_sgpr_private_segment_size 0
		.amdhsa_uses_dynamic_stack 0
		.amdhsa_system_sgpr_private_segment_wavefront_offset 0
		.amdhsa_system_sgpr_workgroup_id_x 1
		.amdhsa_system_sgpr_workgroup_id_y 1
		.amdhsa_system_sgpr_workgroup_id_z 1
		.amdhsa_system_sgpr_workgroup_info 0
		.amdhsa_system_vgpr_workitem_id 1
		.amdhsa_next_free_vgpr 83
		.amdhsa_next_free_sgpr 96
		.amdhsa_reserve_vcc 1
		.amdhsa_reserve_flat_scratch 0
		.amdhsa_float_round_mode_32 0
		.amdhsa_float_round_mode_16_64 0
		.amdhsa_float_denorm_mode_32 3
		.amdhsa_float_denorm_mode_16_64 3
		.amdhsa_dx10_clamp 1
		.amdhsa_ieee_mode 1
		.amdhsa_fp16_overflow 0
		.amdhsa_exception_fp_ieee_invalid_op 0
		.amdhsa_exception_fp_denorm_src 0
		.amdhsa_exception_fp_ieee_div_zero 0
		.amdhsa_exception_fp_ieee_overflow 0
		.amdhsa_exception_fp_ieee_underflow 0
		.amdhsa_exception_fp_ieee_inexact 0
		.amdhsa_exception_int_div_zero 0
	.end_amdhsa_kernel
	.section	.text._ZL13mul_mat_vec_qIL9ggml_type18ELi1ELb1ELb1EEvPKvS2_PKi31ggml_cuda_mm_fusion_args_devicePfj15HIP_vector_typeIjLj3EEjjjS8_jjjS8_jjjj,"axG",@progbits,_ZL13mul_mat_vec_qIL9ggml_type18ELi1ELb1ELb1EEvPKvS2_PKi31ggml_cuda_mm_fusion_args_devicePfj15HIP_vector_typeIjLj3EEjjjS8_jjjS8_jjjj,comdat
.Lfunc_end193:
	.size	_ZL13mul_mat_vec_qIL9ggml_type18ELi1ELb1ELb1EEvPKvS2_PKi31ggml_cuda_mm_fusion_args_devicePfj15HIP_vector_typeIjLj3EEjjjS8_jjjS8_jjjj, .Lfunc_end193-_ZL13mul_mat_vec_qIL9ggml_type18ELi1ELb1ELb1EEvPKvS2_PKi31ggml_cuda_mm_fusion_args_devicePfj15HIP_vector_typeIjLj3EEjjjS8_jjjS8_jjjj
                                        ; -- End function
	.set _ZL13mul_mat_vec_qIL9ggml_type18ELi1ELb1ELb1EEvPKvS2_PKi31ggml_cuda_mm_fusion_args_devicePfj15HIP_vector_typeIjLj3EEjjjS8_jjjS8_jjjj.num_vgpr, 83
	.set _ZL13mul_mat_vec_qIL9ggml_type18ELi1ELb1ELb1EEvPKvS2_PKi31ggml_cuda_mm_fusion_args_devicePfj15HIP_vector_typeIjLj3EEjjjS8_jjjS8_jjjj.num_agpr, 0
	.set _ZL13mul_mat_vec_qIL9ggml_type18ELi1ELb1ELb1EEvPKvS2_PKi31ggml_cuda_mm_fusion_args_devicePfj15HIP_vector_typeIjLj3EEjjjS8_jjjS8_jjjj.numbered_sgpr, 96
	.set _ZL13mul_mat_vec_qIL9ggml_type18ELi1ELb1ELb1EEvPKvS2_PKi31ggml_cuda_mm_fusion_args_devicePfj15HIP_vector_typeIjLj3EEjjjS8_jjjS8_jjjj.num_named_barrier, 0
	.set _ZL13mul_mat_vec_qIL9ggml_type18ELi1ELb1ELb1EEvPKvS2_PKi31ggml_cuda_mm_fusion_args_devicePfj15HIP_vector_typeIjLj3EEjjjS8_jjjS8_jjjj.private_seg_size, 0
	.set _ZL13mul_mat_vec_qIL9ggml_type18ELi1ELb1ELb1EEvPKvS2_PKi31ggml_cuda_mm_fusion_args_devicePfj15HIP_vector_typeIjLj3EEjjjS8_jjjS8_jjjj.uses_vcc, 1
	.set _ZL13mul_mat_vec_qIL9ggml_type18ELi1ELb1ELb1EEvPKvS2_PKi31ggml_cuda_mm_fusion_args_devicePfj15HIP_vector_typeIjLj3EEjjjS8_jjjS8_jjjj.uses_flat_scratch, 0
	.set _ZL13mul_mat_vec_qIL9ggml_type18ELi1ELb1ELb1EEvPKvS2_PKi31ggml_cuda_mm_fusion_args_devicePfj15HIP_vector_typeIjLj3EEjjjS8_jjjS8_jjjj.has_dyn_sized_stack, 0
	.set _ZL13mul_mat_vec_qIL9ggml_type18ELi1ELb1ELb1EEvPKvS2_PKi31ggml_cuda_mm_fusion_args_devicePfj15HIP_vector_typeIjLj3EEjjjS8_jjjS8_jjjj.has_recursion, 0
	.set _ZL13mul_mat_vec_qIL9ggml_type18ELi1ELb1ELb1EEvPKvS2_PKi31ggml_cuda_mm_fusion_args_devicePfj15HIP_vector_typeIjLj3EEjjjS8_jjjS8_jjjj.has_indirect_call, 0
	.section	.AMDGPU.csdata,"",@progbits
; Kernel info:
; codeLenInByte = 10748
; TotalNumSgprs: 100
; NumVgprs: 83
; ScratchSize: 0
; MemoryBound: 0
; FloatMode: 240
; IeeeMode: 1
; LDSByteSize: 1024 bytes/workgroup (compile time only)
; SGPRBlocks: 12
; VGPRBlocks: 20
; NumSGPRsForWavesPerEU: 100
; NumVGPRsForWavesPerEU: 83
; Occupancy: 3
; WaveLimiterHint : 0
; COMPUTE_PGM_RSRC2:SCRATCH_EN: 0
; COMPUTE_PGM_RSRC2:USER_SGPR: 6
; COMPUTE_PGM_RSRC2:TRAP_HANDLER: 0
; COMPUTE_PGM_RSRC2:TGID_X_EN: 1
; COMPUTE_PGM_RSRC2:TGID_Y_EN: 1
; COMPUTE_PGM_RSRC2:TGID_Z_EN: 1
; COMPUTE_PGM_RSRC2:TIDIG_COMP_CNT: 1
	.section	.text._ZL13mul_mat_vec_qIL9ggml_type18ELi1ELb0ELb1EEvPKvS2_PKi31ggml_cuda_mm_fusion_args_devicePfj15HIP_vector_typeIjLj3EEjjjS8_jjjS8_jjjj,"axG",@progbits,_ZL13mul_mat_vec_qIL9ggml_type18ELi1ELb0ELb1EEvPKvS2_PKi31ggml_cuda_mm_fusion_args_devicePfj15HIP_vector_typeIjLj3EEjjjS8_jjjS8_jjjj,comdat
	.globl	_ZL13mul_mat_vec_qIL9ggml_type18ELi1ELb0ELb1EEvPKvS2_PKi31ggml_cuda_mm_fusion_args_devicePfj15HIP_vector_typeIjLj3EEjjjS8_jjjS8_jjjj ; -- Begin function _ZL13mul_mat_vec_qIL9ggml_type18ELi1ELb0ELb1EEvPKvS2_PKi31ggml_cuda_mm_fusion_args_devicePfj15HIP_vector_typeIjLj3EEjjjS8_jjjS8_jjjj
	.p2align	8
	.type	_ZL13mul_mat_vec_qIL9ggml_type18ELi1ELb0ELb1EEvPKvS2_PKi31ggml_cuda_mm_fusion_args_devicePfj15HIP_vector_typeIjLj3EEjjjS8_jjjS8_jjjj,@function
_ZL13mul_mat_vec_qIL9ggml_type18ELi1ELb0ELb1EEvPKvS2_PKi31ggml_cuda_mm_fusion_args_devicePfj15HIP_vector_typeIjLj3EEjjjS8_jjjS8_jjjj: ; @_ZL13mul_mat_vec_qIL9ggml_type18ELi1ELb0ELb1EEvPKvS2_PKi31ggml_cuda_mm_fusion_args_devicePfj15HIP_vector_typeIjLj3EEjjjS8_jjjS8_jjjj
; %bb.0:
	s_load_dwordx2 s[0:1], s[4:5], 0x10
	s_load_dwordx4 s[16:19], s[4:5], 0x40
	s_mov_b32 s10, s7
	s_mov_b64 s[14:15], 0
	s_waitcnt lgkmcnt(0)
	s_cmp_lg_u64 s[0:1], 0
	s_cselect_b64 s[12:13], -1, 0
	s_cmp_eq_u64 s[0:1], 0
	s_cbranch_scc1 .LBB194_5
; %bb.1:
	s_mov_b32 s11, 0
	s_lshl_b64 s[2:3], s[10:11], 2
	s_add_u32 s0, s0, s2
	s_addc_u32 s1, s1, s3
	s_load_dword s21, s[0:1], 0x0
	s_nop 0
	s_load_dwordx4 s[0:3], s[4:5], 0x68
	s_load_dword s20, s[4:5], 0x50
	s_andn2_b64 vcc, exec, s[14:15]
	s_cbranch_vccnz .LBB194_3
.LBB194_2:
	s_load_dwordx2 s[14:15], s[4:5], 0x5c
	s_waitcnt lgkmcnt(0)
	s_mul_hi_u32 s7, s14, s10
	s_add_i32 s7, s10, s7
	s_lshr_b32 s21, s7, s15
.LBB194_3:
	s_load_dword s22, s[4:5], 0x78
	s_andn2_b64 vcc, exec, s[12:13]
	s_cbranch_vccnz .LBB194_6
; %bb.4:
	s_mul_hi_u32 s7, s17, s10
	s_add_i32 s7, s10, s7
	s_lshr_b32 s7, s7, s18
	s_mul_i32 s7, s7, s19
	s_sub_i32 s23, s10, s7
	s_branch .LBB194_7
.LBB194_5:
                                        ; implicit-def: $sgpr21
	s_load_dwordx4 s[0:3], s[4:5], 0x68
	s_load_dword s20, s[4:5], 0x50
	s_branch .LBB194_2
.LBB194_6:
	s_mov_b32 s23, s10
.LBB194_7:
	s_load_dwordx4 s[12:15], s[4:5], 0x80
	v_lshl_add_u32 v2, v1, 6, v0
	s_lshr_b32 s11, s16, 8
	v_lshrrev_b32_e32 v18, 3, v2
	s_lshl_b32 s9, s6, 1
	v_cmp_gt_u32_e32 vcc, s11, v18
	v_mov_b32_e32 v16, 0
	v_mov_b32_e32 v17, 0
	s_and_saveexec_b64 s[6:7], vcc
	s_cbranch_execz .LBB194_11
; %bb.8:
	s_waitcnt lgkmcnt(0)
	s_mul_hi_u32 s3, s3, s8
	s_add_i32 s3, s8, s3
	s_lshr_b32 s3, s3, s22
	s_mul_i32 s0, s21, s0
	s_mul_i32 s3, s3, s12
	;; [unrolled: 1-line block ×3, first 2 shown]
	v_lshlrev_b32_e32 v3, 1, v0
	s_add_i32 s15, s0, s3
	s_mul_hi_u32 s0, s1, 36
	s_mul_i32 s1, s1, 36
	v_and_b32_e32 v4, 14, v3
	v_lshrrev_b32_e32 v7, 3, v2
	v_mov_b32_e32 v2, s1
	v_mov_b32_e32 v3, s0
	s_movk_i32 s0, 0x120
	v_mad_u64_u32 v[2:3], s[0:1], v7, s0, v[2:3]
	s_mul_i32 s12, s13, s8
	s_mul_i32 s0, s9, s20
	s_add_i32 s3, s15, s0
	v_mad_u64_u32 v[2:3], s[0:1], s12, 36, v[2:3]
	s_load_dwordx4 s[16:19], s[4:5], 0x0
	v_and_b32_e32 v6, 7, v0
	s_add_i32 s0, s9, 1
	s_mul_i32 s20, s20, s0
	v_mad_u64_u32 v[2:3], s[0:1], v6, 36, v[2:3]
	s_waitcnt lgkmcnt(0)
	v_mov_b32_e32 v6, s19
	v_lshlrev_b32_e32 v5, 1, v4
	v_add_co_u32_e32 v2, vcc, s18, v2
	v_addc_co_u32_e32 v3, vcc, v6, v3, vcc
	v_add_co_u32_e32 v10, vcc, 32, v2
	v_mov_b32_e32 v12, s16
	v_mov_b32_e32 v19, 0
	s_add_i32 s15, s15, s20
	v_addc_co_u32_e32 v11, vcc, 0, v3, vcc
	s_mov_b64 s[0:1], 0
	s_movk_i32 s18, 0x62
	v_mov_b32_e32 v13, s17
	v_lshlrev_b32_e32 v20, 1, v5
	v_lshlrev_b32_e32 v21, 1, v4
	s_mov_b32 s16, 0x1010101
	s_movk_i32 s17, 0xff00
	s_mov_b32 s19, 0xc0c0105
	v_mov_b32_e32 v22, 2
	v_mov_b32_e32 v23, 8
	;; [unrolled: 1-line block ×4, first 2 shown]
.LBB194_9:                              ; =>This Inner Loop Header: Depth=1
	v_add_u32_e32 v14, s3, v18
	v_mad_i64_i32 v[14:15], s[12:13], v14, s18, v[12:13]
	global_load_dword v24, v[10:11], off
	global_load_dwordx4 v[2:5], v[10:11], off offset:-16
	global_load_dwordx4 v[6:9], v[10:11], off offset:-32
	s_getpc_b64 s[12:13]
	s_add_u32 s12, s12, _ZL11iq3xxs_grid@rel32@lo+4
	s_addc_u32 s13, s13, _ZL11iq3xxs_grid@rel32@hi+12
	v_add_co_u32_e32 v25, vcc, v14, v20
	v_addc_co_u32_e32 v26, vcc, 0, v15, vcc
	global_load_dwordx2 v[25:26], v[25:26], off offset:2
	v_add_co_u32_e32 v27, vcc, v14, v21
	v_addc_co_u32_e32 v28, vcc, 0, v15, vcc
	global_load_dword v27, v[27:28], off offset:66
	s_waitcnt vmcnt(2)
	v_cvt_f32_f16_e32 v6, v6
	global_load_ushort v14, v[14:15], off
	s_waitcnt vmcnt(2)
	v_lshlrev_b32_sdwa v28, v22, v25 dst_sel:DWORD dst_unused:UNUSED_PAD src0_sel:DWORD src1_sel:BYTE_0
	global_load_dword v28, v28, s[12:13]
	v_lshlrev_b32_sdwa v29, v22, v25 dst_sel:DWORD dst_unused:UNUSED_PAD src0_sel:DWORD src1_sel:BYTE_1
	global_load_dword v29, v29, s[12:13]
	s_waitcnt vmcnt(3)
	v_and_b32_e32 v30, 0xff, v27
	v_bcnt_u32_b32 v31, v30, 0
	v_and_b32_e32 v31, 1, v31
	v_lshlrev_b32_e32 v31, 7, v31
	v_xor_b32_e32 v30, v31, v30
	v_mul_lo_u32 v30, v30, s16
	v_and_b32_e32 v31, 0x8040201, v30
	v_cmp_ne_u16_sdwa s[20:21], v31, v19 src0_sel:BYTE_3 src1_sel:DWORD
	v_cmp_ne_u16_sdwa s[22:23], v31, v19 src0_sel:BYTE_1 src1_sel:DWORD
	v_lshrrev_b32_e32 v32, 18, v30
	v_cndmask_b32_e64 v33, 0, -1, s[22:23]
	v_cndmask_b32_e64 v35, 0, -1, s[20:21]
	v_bfe_i32 v31, v30, 0, 1
	v_lshlrev_b16_e32 v33, 8, v33
	v_bfe_i32 v32, v32, 0, 1
	v_lshlrev_b16_e32 v35, 8, v35
	v_or_b32_sdwa v34, v31, v33 dst_sel:DWORD dst_unused:UNUSED_PAD src0_sel:BYTE_0 src1_sel:DWORD
	v_or_b32_sdwa v36, v32, v35 dst_sel:WORD_1 dst_unused:UNUSED_PAD src0_sel:BYTE_0 src1_sel:DWORD
	v_or_b32_sdwa v34, v34, v36 dst_sel:DWORD dst_unused:UNUSED_PAD src0_sel:WORD_0 src1_sel:DWORD
	v_lshlrev_b16_e32 v31, 8, v31
	v_lshlrev_b16_e32 v32, 8, v32
	s_waitcnt vmcnt(2)
	v_cvt_f32_f16_e32 v14, v14
	v_mul_f32_e32 v14, v14, v6
	s_waitcnt vmcnt(1)
	v_xor_b32_e32 v28, v28, v34
	v_and_b32_e32 v34, 0xffffff00, v28
	v_sub_i16 v33, v34, v33 clamp
	v_lshlrev_b16_e32 v34, 8, v28
	v_sub_i16 v31, v34, v31 clamp
	v_perm_b32 v31, v31, v33, s19
	v_and_b32_sdwa v33, v28, s17 dst_sel:DWORD dst_unused:UNUSED_PAD src0_sel:WORD_1 src1_sel:DWORD
	v_lshlrev_b16_sdwa v28, v23, v28 dst_sel:DWORD dst_unused:UNUSED_PAD src0_sel:DWORD src1_sel:WORD_1
	v_sub_i16 v33, v33, v35 clamp
	v_sub_i16 v28, v28, v32 clamp
	v_perm_b32 v28, v28, v33, s19
	v_lshl_or_b32 v28, v28, 16, v31
	v_and_b32_e32 v31, 0x80402010, v30
	v_cmp_ne_u16_sdwa s[20:21], v31, v19 src0_sel:BYTE_3 src1_sel:DWORD
	v_cmp_ne_u16_sdwa s[22:23], v31, v19 src0_sel:BYTE_1 src1_sel:DWORD
	v_lshrrev_b32_e32 v30, 22, v30
	v_lshrrev_b16_e32 v31, 4, v31
	v_cndmask_b32_e64 v32, 0, -1, s[22:23]
	v_cndmask_b32_e64 v34, 0, -1, s[20:21]
	v_bfe_i32 v31, v31, 0, 1
	v_lshlrev_b16_e32 v32, 8, v32
	v_bfe_i32 v30, v30, 0, 1
	v_lshlrev_b16_e32 v34, 8, v34
	v_or_b32_sdwa v33, v31, v32 dst_sel:DWORD dst_unused:UNUSED_PAD src0_sel:BYTE_0 src1_sel:DWORD
	v_or_b32_sdwa v35, v30, v34 dst_sel:WORD_1 dst_unused:UNUSED_PAD src0_sel:BYTE_0 src1_sel:DWORD
	v_or_b32_sdwa v33, v33, v35 dst_sel:DWORD dst_unused:UNUSED_PAD src0_sel:WORD_0 src1_sel:DWORD
	s_waitcnt vmcnt(0)
	v_xor_b32_e32 v29, v29, v33
	v_and_b32_e32 v33, 0xffffff00, v29
	v_sub_i16 v32, v33, v32 clamp
	v_lshlrev_b16_e32 v33, 8, v29
	v_lshlrev_b16_e32 v31, 8, v31
	v_sub_i16 v31, v33, v31 clamp
	v_perm_b32 v31, v31, v32, s19
	v_and_b32_sdwa v32, v29, s17 dst_sel:DWORD dst_unused:UNUSED_PAD src0_sel:WORD_1 src1_sel:DWORD
	v_lshlrev_b16_sdwa v29, v23, v29 dst_sel:DWORD dst_unused:UNUSED_PAD src0_sel:DWORD src1_sel:WORD_1
	v_lshlrev_b16_e32 v30, 8, v30
	v_sub_i16 v32, v32, v34 clamp
	v_sub_i16 v29, v29, v30 clamp
	v_perm_b32 v29, v29, v32, s19
	v_lshl_or_b32 v29, v29, 16, v31
	v_dot4_i32_i8 v28, v28, v7, 0
	v_dot4_i32_i8 v28, v29, v8, v28
	v_lshlrev_b32_sdwa v29, v22, v25 dst_sel:DWORD dst_unused:UNUSED_PAD src0_sel:DWORD src1_sel:BYTE_2
	global_load_dword v29, v29, s[12:13]
	v_lshlrev_b32_sdwa v25, v22, v25 dst_sel:DWORD dst_unused:UNUSED_PAD src0_sel:DWORD src1_sel:BYTE_3
	global_load_dword v25, v25, s[12:13]
	v_bfe_u32 v30, v27, 7, 8
	v_bcnt_u32_b32 v31, v30, 0
	v_and_b32_e32 v31, 1, v31
	v_lshlrev_b32_e32 v31, 7, v31
	v_xor_b32_e32 v30, v31, v30
	v_mul_lo_u32 v30, v30, s16
	v_and_b32_e32 v31, 0x8040201, v30
	v_cmp_ne_u16_sdwa s[20:21], v31, v19 src0_sel:BYTE_3 src1_sel:DWORD
	v_cmp_ne_u16_sdwa s[22:23], v31, v19 src0_sel:BYTE_1 src1_sel:DWORD
	v_lshrrev_b32_e32 v32, 18, v30
	v_cndmask_b32_e64 v33, 0, -1, s[22:23]
	v_cndmask_b32_e64 v35, 0, -1, s[20:21]
	v_bfe_i32 v31, v30, 0, 1
	v_lshlrev_b16_e32 v33, 8, v33
	v_bfe_i32 v32, v32, 0, 1
	v_lshlrev_b16_e32 v35, 8, v35
	v_or_b32_sdwa v34, v31, v33 dst_sel:DWORD dst_unused:UNUSED_PAD src0_sel:BYTE_0 src1_sel:DWORD
	v_or_b32_sdwa v36, v32, v35 dst_sel:WORD_1 dst_unused:UNUSED_PAD src0_sel:BYTE_0 src1_sel:DWORD
	v_or_b32_sdwa v34, v34, v36 dst_sel:DWORD dst_unused:UNUSED_PAD src0_sel:WORD_0 src1_sel:DWORD
	v_lshlrev_b16_e32 v31, 8, v31
	v_lshlrev_b16_e32 v32, 8, v32
	s_waitcnt vmcnt(1)
	v_xor_b32_e32 v29, v29, v34
	v_and_b32_e32 v34, 0xffffff00, v29
	v_sub_i16 v33, v34, v33 clamp
	v_lshlrev_b16_e32 v34, 8, v29
	v_sub_i16 v31, v34, v31 clamp
	v_perm_b32 v31, v31, v33, s19
	v_and_b32_sdwa v33, v29, s17 dst_sel:DWORD dst_unused:UNUSED_PAD src0_sel:WORD_1 src1_sel:DWORD
	v_lshlrev_b16_sdwa v29, v23, v29 dst_sel:DWORD dst_unused:UNUSED_PAD src0_sel:DWORD src1_sel:WORD_1
	v_sub_i16 v33, v33, v35 clamp
	v_sub_i16 v29, v29, v32 clamp
	v_perm_b32 v29, v29, v33, s19
	v_lshl_or_b32 v29, v29, 16, v31
	v_and_b32_e32 v31, 0x80402010, v30
	v_cmp_ne_u16_sdwa s[20:21], v31, v19 src0_sel:BYTE_3 src1_sel:DWORD
	v_cmp_ne_u16_sdwa s[22:23], v31, v19 src0_sel:BYTE_1 src1_sel:DWORD
	v_lshrrev_b32_e32 v30, 22, v30
	v_lshrrev_b16_e32 v31, 4, v31
	v_cndmask_b32_e64 v32, 0, -1, s[22:23]
	v_cndmask_b32_e64 v34, 0, -1, s[20:21]
	v_bfe_i32 v31, v31, 0, 1
	v_lshlrev_b16_e32 v32, 8, v32
	v_bfe_i32 v30, v30, 0, 1
	v_lshlrev_b16_e32 v34, 8, v34
	v_or_b32_sdwa v33, v31, v32 dst_sel:DWORD dst_unused:UNUSED_PAD src0_sel:BYTE_0 src1_sel:DWORD
	v_or_b32_sdwa v35, v30, v34 dst_sel:WORD_1 dst_unused:UNUSED_PAD src0_sel:BYTE_0 src1_sel:DWORD
	v_or_b32_sdwa v33, v33, v35 dst_sel:DWORD dst_unused:UNUSED_PAD src0_sel:WORD_0 src1_sel:DWORD
	s_waitcnt vmcnt(0)
	v_xor_b32_e32 v25, v25, v33
	v_and_b32_e32 v33, 0xffffff00, v25
	v_sub_i16 v32, v33, v32 clamp
	v_lshlrev_b16_e32 v33, 8, v25
	v_lshlrev_b16_e32 v31, 8, v31
	v_sub_i16 v31, v33, v31 clamp
	v_perm_b32 v31, v31, v32, s19
	v_and_b32_sdwa v32, v25, s17 dst_sel:DWORD dst_unused:UNUSED_PAD src0_sel:WORD_1 src1_sel:DWORD
	v_lshlrev_b16_sdwa v25, v23, v25 dst_sel:DWORD dst_unused:UNUSED_PAD src0_sel:DWORD src1_sel:WORD_1
	v_lshlrev_b16_e32 v30, 8, v30
	v_sub_i16 v32, v32, v34 clamp
	v_sub_i16 v25, v25, v30 clamp
	v_perm_b32 v25, v25, v32, s19
	v_lshl_or_b32 v25, v25, 16, v31
	v_dot4_i32_i8 v28, v29, v9, v28
	v_dot4_i32_i8 v25, v25, v2, v28
	v_lshlrev_b32_sdwa v28, v22, v26 dst_sel:DWORD dst_unused:UNUSED_PAD src0_sel:DWORD src1_sel:BYTE_0
	global_load_dword v28, v28, s[12:13]
	v_lshlrev_b32_sdwa v29, v22, v26 dst_sel:DWORD dst_unused:UNUSED_PAD src0_sel:DWORD src1_sel:BYTE_1
	v_bfe_u32 v30, v27, 14, 8
	global_load_dword v29, v29, s[12:13]
	v_bcnt_u32_b32 v31, v30, 0
	v_and_b32_e32 v31, 1, v31
	v_lshlrev_b32_e32 v31, 7, v31
	v_xor_b32_e32 v30, v31, v30
	v_mul_lo_u32 v30, v30, s16
	v_and_b32_e32 v31, 0x8040201, v30
	v_cmp_ne_u16_sdwa s[20:21], v31, v19 src0_sel:BYTE_3 src1_sel:DWORD
	v_cmp_ne_u16_sdwa s[22:23], v31, v19 src0_sel:BYTE_1 src1_sel:DWORD
	v_lshrrev_b32_e32 v32, 18, v30
	v_cndmask_b32_e64 v33, 0, -1, s[22:23]
	v_cndmask_b32_e64 v35, 0, -1, s[20:21]
	v_bfe_i32 v31, v30, 0, 1
	v_lshlrev_b16_e32 v33, 8, v33
	v_bfe_i32 v32, v32, 0, 1
	v_lshlrev_b16_e32 v35, 8, v35
	v_or_b32_sdwa v34, v31, v33 dst_sel:DWORD dst_unused:UNUSED_PAD src0_sel:BYTE_0 src1_sel:DWORD
	v_or_b32_sdwa v36, v32, v35 dst_sel:WORD_1 dst_unused:UNUSED_PAD src0_sel:BYTE_0 src1_sel:DWORD
	v_or_b32_sdwa v34, v34, v36 dst_sel:DWORD dst_unused:UNUSED_PAD src0_sel:WORD_0 src1_sel:DWORD
	v_lshlrev_b16_e32 v31, 8, v31
	v_lshlrev_b16_e32 v32, 8, v32
	s_waitcnt vmcnt(1)
	v_xor_b32_e32 v28, v28, v34
	v_and_b32_e32 v34, 0xffffff00, v28
	v_sub_i16 v33, v34, v33 clamp
	v_lshlrev_b16_e32 v34, 8, v28
	v_sub_i16 v31, v34, v31 clamp
	v_perm_b32 v31, v31, v33, s19
	v_and_b32_sdwa v33, v28, s17 dst_sel:DWORD dst_unused:UNUSED_PAD src0_sel:WORD_1 src1_sel:DWORD
	v_lshlrev_b16_sdwa v28, v23, v28 dst_sel:DWORD dst_unused:UNUSED_PAD src0_sel:DWORD src1_sel:WORD_1
	v_sub_i16 v33, v33, v35 clamp
	v_sub_i16 v28, v28, v32 clamp
	v_perm_b32 v28, v28, v33, s19
	v_lshl_or_b32 v28, v28, 16, v31
	v_dot4_i32_i8 v25, v28, v3, v25
	v_lshlrev_b32_sdwa v28, v22, v26 dst_sel:DWORD dst_unused:UNUSED_PAD src0_sel:DWORD src1_sel:BYTE_2
	global_load_dword v28, v28, s[12:13]
	v_lshlrev_b32_sdwa v26, v22, v26 dst_sel:DWORD dst_unused:UNUSED_PAD src0_sel:DWORD src1_sel:BYTE_3
	global_load_dword v26, v26, s[12:13]
	v_and_b32_e32 v31, 0x80402010, v30
	v_cmp_ne_u16_sdwa s[20:21], v31, v19 src0_sel:BYTE_3 src1_sel:DWORD
	v_cmp_ne_u16_sdwa s[22:23], v31, v19 src0_sel:BYTE_1 src1_sel:DWORD
	v_lshrrev_b32_e32 v30, 22, v30
	v_lshrrev_b16_e32 v31, 4, v31
	v_cndmask_b32_e64 v32, 0, -1, s[22:23]
	v_cndmask_b32_e64 v34, 0, -1, s[20:21]
	v_bfe_i32 v31, v31, 0, 1
	v_lshlrev_b16_e32 v32, 8, v32
	v_bfe_i32 v30, v30, 0, 1
	v_lshlrev_b16_e32 v34, 8, v34
	v_or_b32_sdwa v33, v31, v32 dst_sel:DWORD dst_unused:UNUSED_PAD src0_sel:BYTE_0 src1_sel:DWORD
	v_or_b32_sdwa v35, v30, v34 dst_sel:WORD_1 dst_unused:UNUSED_PAD src0_sel:BYTE_0 src1_sel:DWORD
	v_or_b32_sdwa v33, v33, v35 dst_sel:DWORD dst_unused:UNUSED_PAD src0_sel:WORD_0 src1_sel:DWORD
	s_waitcnt vmcnt(2)
	v_xor_b32_e32 v29, v29, v33
	v_and_b32_e32 v33, 0xffffff00, v29
	v_sub_i16 v32, v33, v32 clamp
	v_lshlrev_b16_e32 v33, 8, v29
	v_lshlrev_b16_e32 v31, 8, v31
	v_sub_i16 v31, v33, v31 clamp
	v_perm_b32 v31, v31, v32, s19
	v_and_b32_sdwa v32, v29, s17 dst_sel:DWORD dst_unused:UNUSED_PAD src0_sel:WORD_1 src1_sel:DWORD
	v_lshlrev_b16_sdwa v29, v23, v29 dst_sel:DWORD dst_unused:UNUSED_PAD src0_sel:DWORD src1_sel:WORD_1
	v_lshlrev_b16_e32 v30, 8, v30
	v_sub_i16 v32, v32, v34 clamp
	v_sub_i16 v29, v29, v30 clamp
	v_perm_b32 v29, v29, v32, s19
	v_lshl_or_b32 v29, v29, 16, v31
	v_dot4_i32_i8 v25, v29, v4, v25
	v_bfe_u32 v29, v27, 21, 8
	v_bcnt_u32_b32 v30, v29, 0
	v_and_b32_e32 v30, 1, v30
	v_lshlrev_b32_e32 v30, 7, v30
	v_xor_b32_e32 v29, v30, v29
	v_mul_lo_u32 v29, v29, s16
	v_lshrrev_b32_e32 v27, 28, v27
	v_and_b32_e32 v30, 0x8040201, v29
	v_cmp_ne_u16_sdwa s[20:21], v30, v19 src0_sel:BYTE_3 src1_sel:DWORD
	v_cmp_ne_u16_sdwa s[22:23], v30, v19 src0_sel:BYTE_1 src1_sel:DWORD
	v_lshrrev_b32_e32 v31, 18, v29
	v_cndmask_b32_e64 v32, 0, -1, s[22:23]
	v_cndmask_b32_e64 v34, 0, -1, s[20:21]
	v_bfe_i32 v30, v29, 0, 1
	v_lshlrev_b16_e32 v32, 8, v32
	v_bfe_i32 v31, v31, 0, 1
	v_lshlrev_b16_e32 v34, 8, v34
	v_or_b32_sdwa v33, v30, v32 dst_sel:DWORD dst_unused:UNUSED_PAD src0_sel:BYTE_0 src1_sel:DWORD
	v_or_b32_sdwa v35, v31, v34 dst_sel:WORD_1 dst_unused:UNUSED_PAD src0_sel:BYTE_0 src1_sel:DWORD
	v_or_b32_sdwa v33, v33, v35 dst_sel:DWORD dst_unused:UNUSED_PAD src0_sel:WORD_0 src1_sel:DWORD
	v_lshlrev_b16_e32 v30, 8, v30
	v_lshlrev_b16_e32 v31, 8, v31
	s_waitcnt vmcnt(1)
	v_xor_b32_e32 v28, v28, v33
	v_and_b32_e32 v33, 0xffffff00, v28
	v_sub_i16 v32, v33, v32 clamp
	v_lshlrev_b16_e32 v33, 8, v28
	v_sub_i16 v30, v33, v30 clamp
	v_perm_b32 v30, v30, v32, s19
	v_and_b32_sdwa v32, v28, s17 dst_sel:DWORD dst_unused:UNUSED_PAD src0_sel:WORD_1 src1_sel:DWORD
	v_lshlrev_b16_sdwa v28, v23, v28 dst_sel:DWORD dst_unused:UNUSED_PAD src0_sel:DWORD src1_sel:WORD_1
	v_sub_i16 v32, v32, v34 clamp
	v_sub_i16 v28, v28, v31 clamp
	v_perm_b32 v28, v28, v32, s19
	v_lshl_or_b32 v28, v28, 16, v30
	v_and_b32_e32 v30, 0x80402010, v29
	v_cmp_ne_u16_sdwa s[20:21], v30, v19 src0_sel:BYTE_3 src1_sel:DWORD
	v_cmp_ne_u16_sdwa s[22:23], v30, v19 src0_sel:BYTE_1 src1_sel:DWORD
	v_lshrrev_b32_e32 v29, 22, v29
	v_lshrrev_b16_e32 v30, 4, v30
	v_cndmask_b32_e64 v31, 0, -1, s[22:23]
	v_cndmask_b32_e64 v33, 0, -1, s[20:21]
	v_bfe_i32 v30, v30, 0, 1
	v_lshlrev_b16_e32 v31, 8, v31
	v_bfe_i32 v29, v29, 0, 1
	v_lshlrev_b16_e32 v33, 8, v33
	v_or_b32_sdwa v32, v30, v31 dst_sel:DWORD dst_unused:UNUSED_PAD src0_sel:BYTE_0 src1_sel:DWORD
	v_or_b32_sdwa v34, v29, v33 dst_sel:WORD_1 dst_unused:UNUSED_PAD src0_sel:BYTE_0 src1_sel:DWORD
	v_or_b32_sdwa v32, v32, v34 dst_sel:DWORD dst_unused:UNUSED_PAD src0_sel:WORD_0 src1_sel:DWORD
	s_waitcnt vmcnt(0)
	v_xor_b32_e32 v26, v26, v32
	v_and_b32_e32 v32, 0xffffff00, v26
	v_sub_i16 v31, v32, v31 clamp
	v_lshlrev_b16_e32 v32, 8, v26
	v_lshlrev_b16_e32 v30, 8, v30
	v_sub_i16 v30, v32, v30 clamp
	v_perm_b32 v30, v30, v31, s19
	v_and_b32_sdwa v31, v26, s17 dst_sel:DWORD dst_unused:UNUSED_PAD src0_sel:WORD_1 src1_sel:DWORD
	v_lshlrev_b16_sdwa v26, v23, v26 dst_sel:DWORD dst_unused:UNUSED_PAD src0_sel:DWORD src1_sel:WORD_1
	v_lshlrev_b16_e32 v29, 8, v29
	v_sub_i16 v31, v31, v33 clamp
	v_sub_i16 v26, v26, v29 clamp
	v_perm_b32 v26, v26, v31, s19
	v_lshl_or_b32 v26, v26, 16, v30
	v_dot4_i32_i8 v25, v28, v5, v25
	v_dot4_i32_i8 v26, v26, v24, v25
	v_lshrrev_b32_e32 v25, 31, v26
	v_add_u32_e32 v25, v26, v25
	v_ashrrev_i32_e32 v25, 1, v25
	v_mad_u64_u32 v[25:26], s[20:21], v26, v27, v[25:26]
	v_lshrrev_b32_e32 v26, 31, v25
	v_add_u32_e32 v25, v25, v26
	v_ashrrev_i32_e32 v25, 1, v25
	v_cvt_f32_i32_e32 v15, v25
	v_fmac_f32_e32 v17, v14, v15
	v_add_u32_e32 v14, s15, v18
	v_mad_i64_i32 v[14:15], s[20:21], v14, s18, v[12:13]
	v_add_u32_e32 v18, 16, v18
	v_add_co_u32_e32 v25, vcc, v14, v20
	v_addc_co_u32_e32 v26, vcc, 0, v15, vcc
	global_load_dwordx2 v[25:26], v[25:26], off offset:2
	v_add_co_u32_e32 v27, vcc, v14, v21
	v_addc_co_u32_e32 v28, vcc, 0, v15, vcc
	global_load_dword v27, v[27:28], off offset:66
	v_add_co_u32_e32 v10, vcc, 0x1200, v10
	v_addc_co_u32_e32 v11, vcc, 0, v11, vcc
	v_cmp_le_u32_e32 vcc, s11, v18
	s_or_b64 s[0:1], vcc, s[0:1]
	s_waitcnt vmcnt(1)
	v_lshlrev_b32_sdwa v28, v22, v25 dst_sel:DWORD dst_unused:UNUSED_PAD src0_sel:DWORD src1_sel:BYTE_0
	global_load_dword v28, v28, s[12:13]
	v_lshlrev_b32_sdwa v29, v22, v25 dst_sel:DWORD dst_unused:UNUSED_PAD src0_sel:DWORD src1_sel:BYTE_1
	global_load_dword v29, v29, s[12:13]
	s_waitcnt vmcnt(2)
	v_and_b32_e32 v30, 0xff, v27
	v_bcnt_u32_b32 v31, v30, 0
	v_and_b32_e32 v31, 1, v31
	v_lshlrev_b32_e32 v31, 7, v31
	v_xor_b32_e32 v30, v31, v30
	v_mul_lo_u32 v30, v30, s16
	v_and_b32_e32 v31, 0x8040201, v30
	v_cmp_ne_u16_sdwa s[20:21], v31, v19 src0_sel:BYTE_3 src1_sel:DWORD
	v_cmp_ne_u16_sdwa s[22:23], v31, v19 src0_sel:BYTE_1 src1_sel:DWORD
	v_lshrrev_b32_e32 v32, 18, v30
	v_cndmask_b32_e64 v33, 0, -1, s[22:23]
	v_cndmask_b32_e64 v35, 0, -1, s[20:21]
	v_bfe_i32 v31, v30, 0, 1
	v_lshlrev_b16_e32 v33, 8, v33
	v_bfe_i32 v32, v32, 0, 1
	v_lshlrev_b16_e32 v35, 8, v35
	v_or_b32_sdwa v34, v31, v33 dst_sel:DWORD dst_unused:UNUSED_PAD src0_sel:BYTE_0 src1_sel:DWORD
	v_or_b32_sdwa v36, v32, v35 dst_sel:WORD_1 dst_unused:UNUSED_PAD src0_sel:BYTE_0 src1_sel:DWORD
	v_or_b32_sdwa v34, v34, v36 dst_sel:DWORD dst_unused:UNUSED_PAD src0_sel:WORD_0 src1_sel:DWORD
	v_lshlrev_b16_e32 v31, 8, v31
	v_lshlrev_b16_e32 v32, 8, v32
	s_waitcnt vmcnt(1)
	v_xor_b32_e32 v28, v28, v34
	v_and_b32_e32 v34, 0xffffff00, v28
	v_sub_i16 v33, v34, v33 clamp
	v_lshlrev_b16_e32 v34, 8, v28
	v_sub_i16 v31, v34, v31 clamp
	v_perm_b32 v31, v31, v33, s19
	v_and_b32_sdwa v33, v28, s17 dst_sel:DWORD dst_unused:UNUSED_PAD src0_sel:WORD_1 src1_sel:DWORD
	v_lshlrev_b16_sdwa v28, v23, v28 dst_sel:DWORD dst_unused:UNUSED_PAD src0_sel:DWORD src1_sel:WORD_1
	v_sub_i16 v33, v33, v35 clamp
	v_sub_i16 v28, v28, v32 clamp
	v_perm_b32 v28, v28, v33, s19
	v_lshl_or_b32 v28, v28, 16, v31
	v_and_b32_e32 v31, 0x80402010, v30
	v_cmp_ne_u16_sdwa s[20:21], v31, v19 src0_sel:BYTE_3 src1_sel:DWORD
	v_cmp_ne_u16_sdwa s[22:23], v31, v19 src0_sel:BYTE_1 src1_sel:DWORD
	v_lshrrev_b32_e32 v30, 22, v30
	v_lshrrev_b16_e32 v31, 4, v31
	v_cndmask_b32_e64 v32, 0, -1, s[22:23]
	v_cndmask_b32_e64 v34, 0, -1, s[20:21]
	v_bfe_i32 v31, v31, 0, 1
	v_lshlrev_b16_e32 v32, 8, v32
	v_bfe_i32 v30, v30, 0, 1
	v_lshlrev_b16_e32 v34, 8, v34
	v_or_b32_sdwa v33, v31, v32 dst_sel:DWORD dst_unused:UNUSED_PAD src0_sel:BYTE_0 src1_sel:DWORD
	v_or_b32_sdwa v35, v30, v34 dst_sel:WORD_1 dst_unused:UNUSED_PAD src0_sel:BYTE_0 src1_sel:DWORD
	v_or_b32_sdwa v33, v33, v35 dst_sel:DWORD dst_unused:UNUSED_PAD src0_sel:WORD_0 src1_sel:DWORD
	s_waitcnt vmcnt(0)
	v_xor_b32_e32 v29, v29, v33
	v_and_b32_e32 v33, 0xffffff00, v29
	v_sub_i16 v32, v33, v32 clamp
	v_lshlrev_b16_e32 v33, 8, v29
	v_lshlrev_b16_e32 v31, 8, v31
	v_sub_i16 v31, v33, v31 clamp
	v_perm_b32 v31, v31, v32, s19
	v_and_b32_sdwa v32, v29, s17 dst_sel:DWORD dst_unused:UNUSED_PAD src0_sel:WORD_1 src1_sel:DWORD
	v_lshlrev_b16_sdwa v29, v23, v29 dst_sel:DWORD dst_unused:UNUSED_PAD src0_sel:DWORD src1_sel:WORD_1
	v_lshlrev_b16_e32 v30, 8, v30
	v_sub_i16 v32, v32, v34 clamp
	v_sub_i16 v29, v29, v30 clamp
	v_perm_b32 v29, v29, v32, s19
	v_lshl_or_b32 v29, v29, 16, v31
	v_dot4_i32_i8 v7, v28, v7, 0
	v_dot4_i32_i8 v7, v29, v8, v7
	v_lshlrev_b32_sdwa v8, v22, v25 dst_sel:DWORD dst_unused:UNUSED_PAD src0_sel:DWORD src1_sel:BYTE_2
	global_load_dword v8, v8, s[12:13]
	v_lshlrev_b32_sdwa v25, v22, v25 dst_sel:DWORD dst_unused:UNUSED_PAD src0_sel:DWORD src1_sel:BYTE_3
	global_load_dword v25, v25, s[12:13]
	v_bfe_u32 v28, v27, 7, 8
	v_bcnt_u32_b32 v29, v28, 0
	v_and_b32_e32 v29, 1, v29
	v_lshlrev_b32_e32 v29, 7, v29
	v_xor_b32_e32 v28, v29, v28
	v_mul_lo_u32 v28, v28, s16
	v_and_b32_e32 v29, 0x8040201, v28
	v_cmp_ne_u16_sdwa s[20:21], v29, v19 src0_sel:BYTE_3 src1_sel:DWORD
	v_cmp_ne_u16_sdwa s[22:23], v29, v19 src0_sel:BYTE_1 src1_sel:DWORD
	v_lshrrev_b32_e32 v30, 18, v28
	v_cndmask_b32_e64 v31, 0, -1, s[22:23]
	v_cndmask_b32_e64 v33, 0, -1, s[20:21]
	v_bfe_i32 v29, v28, 0, 1
	v_lshlrev_b16_e32 v31, 8, v31
	v_bfe_i32 v30, v30, 0, 1
	v_lshlrev_b16_e32 v33, 8, v33
	v_or_b32_sdwa v32, v29, v31 dst_sel:DWORD dst_unused:UNUSED_PAD src0_sel:BYTE_0 src1_sel:DWORD
	v_or_b32_sdwa v34, v30, v33 dst_sel:WORD_1 dst_unused:UNUSED_PAD src0_sel:BYTE_0 src1_sel:DWORD
	v_or_b32_sdwa v32, v32, v34 dst_sel:DWORD dst_unused:UNUSED_PAD src0_sel:WORD_0 src1_sel:DWORD
	v_lshlrev_b16_e32 v29, 8, v29
	v_lshlrev_b16_e32 v30, 8, v30
	s_waitcnt vmcnt(1)
	v_xor_b32_e32 v8, v8, v32
	v_and_b32_e32 v32, 0xffffff00, v8
	v_sub_i16 v31, v32, v31 clamp
	v_lshlrev_b16_e32 v32, 8, v8
	v_sub_i16 v29, v32, v29 clamp
	v_perm_b32 v29, v29, v31, s19
	v_and_b32_sdwa v31, v8, s17 dst_sel:DWORD dst_unused:UNUSED_PAD src0_sel:WORD_1 src1_sel:DWORD
	v_lshlrev_b16_sdwa v8, v23, v8 dst_sel:DWORD dst_unused:UNUSED_PAD src0_sel:DWORD src1_sel:WORD_1
	v_sub_i16 v31, v31, v33 clamp
	v_sub_i16 v8, v8, v30 clamp
	v_perm_b32 v8, v8, v31, s19
	v_lshl_or_b32 v8, v8, 16, v29
	v_and_b32_e32 v29, 0x80402010, v28
	v_cmp_ne_u16_sdwa s[20:21], v29, v19 src0_sel:BYTE_3 src1_sel:DWORD
	v_cmp_ne_u16_sdwa s[22:23], v29, v19 src0_sel:BYTE_1 src1_sel:DWORD
	v_lshrrev_b32_e32 v28, 22, v28
	v_lshrrev_b16_e32 v29, 4, v29
	v_cndmask_b32_e64 v30, 0, -1, s[22:23]
	v_cndmask_b32_e64 v32, 0, -1, s[20:21]
	v_bfe_i32 v29, v29, 0, 1
	v_lshlrev_b16_e32 v30, 8, v30
	v_bfe_i32 v28, v28, 0, 1
	v_lshlrev_b16_e32 v32, 8, v32
	v_or_b32_sdwa v31, v29, v30 dst_sel:DWORD dst_unused:UNUSED_PAD src0_sel:BYTE_0 src1_sel:DWORD
	v_or_b32_sdwa v33, v28, v32 dst_sel:WORD_1 dst_unused:UNUSED_PAD src0_sel:BYTE_0 src1_sel:DWORD
	v_or_b32_sdwa v31, v31, v33 dst_sel:DWORD dst_unused:UNUSED_PAD src0_sel:WORD_0 src1_sel:DWORD
	s_waitcnt vmcnt(0)
	v_xor_b32_e32 v25, v25, v31
	v_and_b32_e32 v31, 0xffffff00, v25
	v_sub_i16 v30, v31, v30 clamp
	v_lshlrev_b16_e32 v31, 8, v25
	v_lshlrev_b16_e32 v29, 8, v29
	v_sub_i16 v29, v31, v29 clamp
	v_perm_b32 v29, v29, v30, s19
	v_and_b32_sdwa v30, v25, s17 dst_sel:DWORD dst_unused:UNUSED_PAD src0_sel:WORD_1 src1_sel:DWORD
	v_lshlrev_b16_sdwa v25, v23, v25 dst_sel:DWORD dst_unused:UNUSED_PAD src0_sel:DWORD src1_sel:WORD_1
	v_lshlrev_b16_e32 v28, 8, v28
	v_sub_i16 v30, v30, v32 clamp
	v_sub_i16 v25, v25, v28 clamp
	v_perm_b32 v25, v25, v30, s19
	v_lshl_or_b32 v25, v25, 16, v29
	v_dot4_i32_i8 v7, v8, v9, v7
	v_dot4_i32_i8 v2, v25, v2, v7
	v_lshlrev_b32_sdwa v7, v22, v26 dst_sel:DWORD dst_unused:UNUSED_PAD src0_sel:DWORD src1_sel:BYTE_0
	global_load_dword v7, v7, s[12:13]
	v_lshlrev_b32_sdwa v8, v22, v26 dst_sel:DWORD dst_unused:UNUSED_PAD src0_sel:DWORD src1_sel:BYTE_1
	global_load_dword v8, v8, s[12:13]
	v_bfe_u32 v9, v27, 14, 8
	v_bcnt_u32_b32 v25, v9, 0
	v_and_b32_e32 v25, 1, v25
	v_lshlrev_b32_e32 v25, 7, v25
	v_xor_b32_e32 v9, v25, v9
	v_mul_lo_u32 v9, v9, s16
	v_and_b32_e32 v25, 0x8040201, v9
	v_cmp_ne_u16_sdwa s[20:21], v25, v19 src0_sel:BYTE_3 src1_sel:DWORD
	v_cmp_ne_u16_sdwa s[22:23], v25, v19 src0_sel:BYTE_1 src1_sel:DWORD
	v_lshrrev_b32_e32 v28, 18, v9
	v_cndmask_b32_e64 v29, 0, -1, s[22:23]
	v_cndmask_b32_e64 v31, 0, -1, s[20:21]
	v_bfe_i32 v25, v9, 0, 1
	v_lshlrev_b16_e32 v29, 8, v29
	v_bfe_i32 v28, v28, 0, 1
	v_lshlrev_b16_e32 v31, 8, v31
	v_or_b32_sdwa v30, v25, v29 dst_sel:DWORD dst_unused:UNUSED_PAD src0_sel:BYTE_0 src1_sel:DWORD
	v_or_b32_sdwa v32, v28, v31 dst_sel:WORD_1 dst_unused:UNUSED_PAD src0_sel:BYTE_0 src1_sel:DWORD
	v_or_b32_sdwa v30, v30, v32 dst_sel:DWORD dst_unused:UNUSED_PAD src0_sel:WORD_0 src1_sel:DWORD
	v_lshlrev_b16_e32 v25, 8, v25
	v_lshlrev_b16_e32 v28, 8, v28
	s_waitcnt vmcnt(1)
	v_xor_b32_e32 v7, v7, v30
	v_and_b32_e32 v30, 0xffffff00, v7
	v_sub_i16 v29, v30, v29 clamp
	v_lshlrev_b16_e32 v30, 8, v7
	v_sub_i16 v25, v30, v25 clamp
	v_perm_b32 v25, v25, v29, s19
	v_and_b32_sdwa v29, v7, s17 dst_sel:DWORD dst_unused:UNUSED_PAD src0_sel:WORD_1 src1_sel:DWORD
	v_lshlrev_b16_sdwa v7, v23, v7 dst_sel:DWORD dst_unused:UNUSED_PAD src0_sel:DWORD src1_sel:WORD_1
	v_sub_i16 v29, v29, v31 clamp
	v_sub_i16 v7, v7, v28 clamp
	v_perm_b32 v7, v7, v29, s19
	v_lshl_or_b32 v7, v7, 16, v25
	v_and_b32_e32 v25, 0x80402010, v9
	v_cmp_ne_u16_sdwa s[20:21], v25, v19 src0_sel:BYTE_3 src1_sel:DWORD
	v_cmp_ne_u16_sdwa s[22:23], v25, v19 src0_sel:BYTE_1 src1_sel:DWORD
	v_dot4_i32_i8 v2, v7, v3, v2
	v_lshlrev_b32_sdwa v3, v22, v26 dst_sel:DWORD dst_unused:UNUSED_PAD src0_sel:DWORD src1_sel:BYTE_2
	v_lshrrev_b32_e32 v9, 22, v9
	v_lshrrev_b16_e32 v25, 4, v25
	v_cndmask_b32_e64 v28, 0, -1, s[22:23]
	v_cndmask_b32_e64 v30, 0, -1, s[20:21]
	global_load_dword v3, v3, s[12:13]
	v_bfe_i32 v25, v25, 0, 1
	v_lshlrev_b16_e32 v28, 8, v28
	v_bfe_i32 v9, v9, 0, 1
	v_lshlrev_b16_e32 v30, 8, v30
	v_or_b32_sdwa v29, v25, v28 dst_sel:DWORD dst_unused:UNUSED_PAD src0_sel:BYTE_0 src1_sel:DWORD
	v_or_b32_sdwa v31, v9, v30 dst_sel:WORD_1 dst_unused:UNUSED_PAD src0_sel:BYTE_0 src1_sel:DWORD
	v_or_b32_sdwa v29, v29, v31 dst_sel:DWORD dst_unused:UNUSED_PAD src0_sel:WORD_0 src1_sel:DWORD
	s_waitcnt vmcnt(1)
	v_xor_b32_e32 v8, v8, v29
	v_and_b32_e32 v29, 0xffffff00, v8
	v_sub_i16 v28, v29, v28 clamp
	v_lshlrev_b16_e32 v29, 8, v8
	v_lshlrev_b16_e32 v25, 8, v25
	v_sub_i16 v25, v29, v25 clamp
	v_perm_b32 v25, v25, v28, s19
	v_and_b32_sdwa v28, v8, s17 dst_sel:DWORD dst_unused:UNUSED_PAD src0_sel:WORD_1 src1_sel:DWORD
	v_lshlrev_b16_sdwa v8, v23, v8 dst_sel:DWORD dst_unused:UNUSED_PAD src0_sel:DWORD src1_sel:WORD_1
	v_lshlrev_b16_e32 v9, 8, v9
	v_sub_i16 v28, v28, v30 clamp
	v_sub_i16 v8, v8, v9 clamp
	v_perm_b32 v8, v8, v28, s19
	v_lshl_or_b32 v8, v8, 16, v25
	v_dot4_i32_i8 v2, v8, v4, v2
	v_lshlrev_b32_sdwa v4, v22, v26 dst_sel:DWORD dst_unused:UNUSED_PAD src0_sel:DWORD src1_sel:BYTE_3
	global_load_dword v4, v4, s[12:13]
	v_bfe_u32 v7, v27, 21, 8
	v_bcnt_u32_b32 v8, v7, 0
	v_and_b32_e32 v8, 1, v8
	v_lshlrev_b32_e32 v8, 7, v8
	v_xor_b32_e32 v7, v8, v7
	v_mul_lo_u32 v7, v7, s16
	v_and_b32_e32 v8, 0x8040201, v7
	v_cmp_ne_u16_sdwa s[12:13], v8, v19 src0_sel:BYTE_3 src1_sel:DWORD
	v_cmp_ne_u16_sdwa s[20:21], v8, v19 src0_sel:BYTE_1 src1_sel:DWORD
	v_lshrrev_b32_e32 v9, 18, v7
	v_cndmask_b32_e64 v25, 0, -1, s[20:21]
	v_cndmask_b32_e64 v28, 0, -1, s[12:13]
	v_bfe_i32 v8, v7, 0, 1
	v_lshlrev_b16_e32 v25, 8, v25
	v_bfe_i32 v9, v9, 0, 1
	v_lshlrev_b16_e32 v28, 8, v28
	v_or_b32_sdwa v26, v8, v25 dst_sel:DWORD dst_unused:UNUSED_PAD src0_sel:BYTE_0 src1_sel:DWORD
	v_or_b32_sdwa v29, v9, v28 dst_sel:WORD_1 dst_unused:UNUSED_PAD src0_sel:BYTE_0 src1_sel:DWORD
	v_or_b32_sdwa v26, v26, v29 dst_sel:DWORD dst_unused:UNUSED_PAD src0_sel:WORD_0 src1_sel:DWORD
	v_lshlrev_b16_e32 v8, 8, v8
	v_lshlrev_b16_e32 v9, 8, v9
	s_waitcnt vmcnt(1)
	v_xor_b32_e32 v3, v3, v26
	v_and_b32_e32 v26, 0xffffff00, v3
	v_sub_i16 v25, v26, v25 clamp
	v_lshlrev_b16_e32 v26, 8, v3
	v_sub_i16 v8, v26, v8 clamp
	v_perm_b32 v8, v8, v25, s19
	v_and_b32_sdwa v25, v3, s17 dst_sel:DWORD dst_unused:UNUSED_PAD src0_sel:WORD_1 src1_sel:DWORD
	v_lshlrev_b16_sdwa v3, v23, v3 dst_sel:DWORD dst_unused:UNUSED_PAD src0_sel:DWORD src1_sel:WORD_1
	v_sub_i16 v25, v25, v28 clamp
	v_sub_i16 v3, v3, v9 clamp
	v_perm_b32 v3, v3, v25, s19
	v_lshl_or_b32 v3, v3, 16, v8
	v_and_b32_e32 v8, 0x80402010, v7
	v_cmp_ne_u16_sdwa s[12:13], v8, v19 src0_sel:BYTE_3 src1_sel:DWORD
	v_cmp_ne_u16_sdwa s[20:21], v8, v19 src0_sel:BYTE_1 src1_sel:DWORD
	v_lshrrev_b32_e32 v7, 22, v7
	v_lshrrev_b16_e32 v8, 4, v8
	v_cndmask_b32_e64 v9, 0, -1, s[20:21]
	v_cndmask_b32_e64 v26, 0, -1, s[12:13]
	v_bfe_i32 v8, v8, 0, 1
	v_lshlrev_b16_e32 v9, 8, v9
	v_bfe_i32 v7, v7, 0, 1
	v_lshlrev_b16_e32 v26, 8, v26
	v_or_b32_sdwa v25, v8, v9 dst_sel:DWORD dst_unused:UNUSED_PAD src0_sel:BYTE_0 src1_sel:DWORD
	v_or_b32_sdwa v28, v7, v26 dst_sel:WORD_1 dst_unused:UNUSED_PAD src0_sel:BYTE_0 src1_sel:DWORD
	v_or_b32_sdwa v25, v25, v28 dst_sel:DWORD dst_unused:UNUSED_PAD src0_sel:WORD_0 src1_sel:DWORD
	s_waitcnt vmcnt(0)
	v_xor_b32_e32 v4, v4, v25
	v_and_b32_e32 v25, 0xffffff00, v4
	v_sub_i16 v9, v25, v9 clamp
	v_lshlrev_b16_e32 v25, 8, v4
	v_lshlrev_b16_e32 v8, 8, v8
	v_sub_i16 v8, v25, v8 clamp
	v_perm_b32 v8, v8, v9, s19
	v_and_b32_sdwa v9, v4, s17 dst_sel:DWORD dst_unused:UNUSED_PAD src0_sel:WORD_1 src1_sel:DWORD
	v_lshlrev_b16_sdwa v4, v23, v4 dst_sel:DWORD dst_unused:UNUSED_PAD src0_sel:DWORD src1_sel:WORD_1
	v_lshlrev_b16_e32 v7, 8, v7
	v_sub_i16 v9, v9, v26 clamp
	v_sub_i16 v4, v4, v7 clamp
	v_perm_b32 v4, v4, v9, s19
	v_lshl_or_b32 v4, v4, 16, v8
	v_dot4_i32_i8 v2, v3, v5, v2
	v_dot4_i32_i8 v3, v4, v24, v2
	v_lshrrev_b32_e32 v2, 31, v3
	v_add_u32_e32 v2, v3, v2
	v_lshrrev_b32_e32 v4, 28, v27
	v_ashrrev_i32_e32 v2, 1, v2
	v_mad_u64_u32 v[2:3], s[12:13], v3, v4, v[2:3]
	v_lshrrev_b32_e32 v3, 31, v2
	v_add_u32_e32 v2, v2, v3
	global_load_ushort v3, v[14:15], off
	v_ashrrev_i32_e32 v2, 1, v2
	v_cvt_f32_i32_e32 v2, v2
	s_waitcnt vmcnt(0)
	v_cvt_f32_f16_e32 v3, v3
	v_mul_f32_e32 v3, v3, v6
	v_fmac_f32_e32 v16, v3, v2
	s_andn2_b64 exec, exec, s[0:1]
	s_cbranch_execnz .LBB194_9
; %bb.10:
	s_or_b64 exec, exec, s[0:1]
.LBB194_11:
	s_or_b64 exec, exec, s[6:7]
	v_cmp_eq_u32_e32 vcc, 0, v1
	s_waitcnt lgkmcnt(0)
	v_cmp_ne_u32_e64 s[0:1], 0, v1
	v_lshlrev_b32_e32 v2, 2, v0
	s_and_saveexec_b64 s[6:7], s[0:1]
; %bb.12:
	v_lshl_or_b32 v1, v1, 9, v2
	v_add_u32_e32 v1, 0xfffffe00, v1
	ds_write2st64_b32 v1, v17, v16 offset1:1
; %bb.13:
	s_or_b64 exec, exec, s[6:7]
	s_waitcnt lgkmcnt(0)
	s_barrier
	s_and_saveexec_b64 s[0:1], vcc
	s_cbranch_execz .LBB194_16
; %bb.14:
	v_mbcnt_lo_u32_b32 v1, -1, 0
	v_mbcnt_hi_u32_b32 v1, -1, v1
	v_and_b32_e32 v3, 64, v1
	v_add_u32_e32 v5, 64, v3
	v_xor_b32_e32 v3, 32, v1
	v_cmp_lt_i32_e32 vcc, v3, v5
	v_cndmask_b32_e32 v3, v1, v3, vcc
	v_lshlrev_b32_e32 v6, 2, v3
	v_xor_b32_e32 v3, 16, v1
	v_cmp_lt_i32_e32 vcc, v3, v5
	v_cndmask_b32_e32 v3, v1, v3, vcc
	v_lshlrev_b32_e32 v7, 2, v3
	ds_read2st64_b32 v[3:4], v2 offset1:1
	v_xor_b32_e32 v8, 8, v1
	v_cmp_lt_i32_e32 vcc, v8, v5
	v_cndmask_b32_e32 v8, v1, v8, vcc
	v_lshlrev_b32_e32 v8, 2, v8
	s_waitcnt lgkmcnt(0)
	v_add_f32_e32 v3, v17, v3
	v_add_f32_e32 v4, v16, v4
	ds_bpermute_b32 v10, v6, v3
	ds_bpermute_b32 v6, v6, v4
	v_xor_b32_e32 v9, 4, v1
	v_cmp_lt_i32_e32 vcc, v9, v5
	v_cndmask_b32_e32 v9, v1, v9, vcc
	s_waitcnt lgkmcnt(1)
	v_add_f32_e32 v3, v3, v10
	s_waitcnt lgkmcnt(0)
	v_add_f32_e32 v4, v4, v6
	ds_bpermute_b32 v10, v7, v3
	ds_bpermute_b32 v6, v7, v4
	v_lshlrev_b32_e32 v7, 2, v9
	v_xor_b32_e32 v9, 2, v1
	v_cmp_lt_i32_e32 vcc, v9, v5
	s_waitcnt lgkmcnt(1)
	v_add_f32_e32 v3, v3, v10
	s_waitcnt lgkmcnt(0)
	v_add_f32_e32 v4, v4, v6
	ds_bpermute_b32 v10, v8, v3
	ds_bpermute_b32 v6, v8, v4
	v_cndmask_b32_e32 v8, v1, v9, vcc
	s_load_dword s0, s[4:5], 0x58
	s_mov_b32 s3, 0
	s_waitcnt lgkmcnt(0)
	v_add_f32_e32 v3, v3, v10
	v_add_f32_e32 v4, v4, v6
	ds_bpermute_b32 v9, v7, v3
	ds_bpermute_b32 v6, v7, v4
	v_lshlrev_b32_e32 v7, 2, v8
	v_xor_b32_e32 v8, 1, v1
	v_cmp_lt_i32_e32 vcc, v8, v5
	s_waitcnt lgkmcnt(1)
	v_add_f32_e32 v3, v3, v9
	s_waitcnt lgkmcnt(0)
	v_add_f32_e32 v4, v4, v6
	ds_bpermute_b32 v9, v7, v3
	ds_bpermute_b32 v6, v7, v4
	v_cndmask_b32_e32 v1, v1, v8, vcc
	v_lshlrev_b32_e32 v5, 2, v1
	s_waitcnt lgkmcnt(1)
	v_add_f32_e32 v1, v3, v9
	s_waitcnt lgkmcnt(0)
	v_add_f32_e32 v4, v4, v6
	ds_bpermute_b32 v3, v5, v1
	ds_bpermute_b32 v5, v5, v4
	v_or_b32_e32 v6, s9, v0
	v_cmp_gt_u32_e32 vcc, s0, v6
	v_cmp_gt_u32_e64 s[0:1], 2, v0
	s_and_b64 s[0:1], s[0:1], vcc
	s_and_b64 exec, exec, s[0:1]
	s_cbranch_execz .LBB194_16
; %bb.15:
	s_load_dwordx2 s[0:1], s[4:5], 0x38
	s_mul_i32 s2, s2, s10
	s_add_i32 s2, s2, s9
	s_mul_i32 s4, s14, s8
	s_add_i32 s2, s2, s4
	s_lshl_b64 s[2:3], s[2:3], 2
	s_waitcnt lgkmcnt(0)
	s_add_u32 s0, s0, s2
	v_add_f32_e32 v4, v4, v5
	v_add_f32_e32 v1, v1, v3
	v_cmp_eq_u32_e32 vcc, 1, v0
	s_addc_u32 s1, s1, s3
	v_cndmask_b32_e32 v0, v1, v4, vcc
	global_store_dword v2, v0, s[0:1]
.LBB194_16:
	s_endpgm
	.section	.rodata,"a",@progbits
	.p2align	6, 0x0
	.amdhsa_kernel _ZL13mul_mat_vec_qIL9ggml_type18ELi1ELb0ELb1EEvPKvS2_PKi31ggml_cuda_mm_fusion_args_devicePfj15HIP_vector_typeIjLj3EEjjjS8_jjjS8_jjjj
		.amdhsa_group_segment_fixed_size 512
		.amdhsa_private_segment_fixed_size 0
		.amdhsa_kernarg_size 144
		.amdhsa_user_sgpr_count 6
		.amdhsa_user_sgpr_private_segment_buffer 1
		.amdhsa_user_sgpr_dispatch_ptr 0
		.amdhsa_user_sgpr_queue_ptr 0
		.amdhsa_user_sgpr_kernarg_segment_ptr 1
		.amdhsa_user_sgpr_dispatch_id 0
		.amdhsa_user_sgpr_flat_scratch_init 0
		.amdhsa_user_sgpr_private_segment_size 0
		.amdhsa_uses_dynamic_stack 0
		.amdhsa_system_sgpr_private_segment_wavefront_offset 0
		.amdhsa_system_sgpr_workgroup_id_x 1
		.amdhsa_system_sgpr_workgroup_id_y 1
		.amdhsa_system_sgpr_workgroup_id_z 1
		.amdhsa_system_sgpr_workgroup_info 0
		.amdhsa_system_vgpr_workitem_id 1
		.amdhsa_next_free_vgpr 37
		.amdhsa_next_free_sgpr 24
		.amdhsa_reserve_vcc 1
		.amdhsa_reserve_flat_scratch 0
		.amdhsa_float_round_mode_32 0
		.amdhsa_float_round_mode_16_64 0
		.amdhsa_float_denorm_mode_32 3
		.amdhsa_float_denorm_mode_16_64 3
		.amdhsa_dx10_clamp 1
		.amdhsa_ieee_mode 1
		.amdhsa_fp16_overflow 0
		.amdhsa_exception_fp_ieee_invalid_op 0
		.amdhsa_exception_fp_denorm_src 0
		.amdhsa_exception_fp_ieee_div_zero 0
		.amdhsa_exception_fp_ieee_overflow 0
		.amdhsa_exception_fp_ieee_underflow 0
		.amdhsa_exception_fp_ieee_inexact 0
		.amdhsa_exception_int_div_zero 0
	.end_amdhsa_kernel
	.section	.text._ZL13mul_mat_vec_qIL9ggml_type18ELi1ELb0ELb1EEvPKvS2_PKi31ggml_cuda_mm_fusion_args_devicePfj15HIP_vector_typeIjLj3EEjjjS8_jjjS8_jjjj,"axG",@progbits,_ZL13mul_mat_vec_qIL9ggml_type18ELi1ELb0ELb1EEvPKvS2_PKi31ggml_cuda_mm_fusion_args_devicePfj15HIP_vector_typeIjLj3EEjjjS8_jjjS8_jjjj,comdat
.Lfunc_end194:
	.size	_ZL13mul_mat_vec_qIL9ggml_type18ELi1ELb0ELb1EEvPKvS2_PKi31ggml_cuda_mm_fusion_args_devicePfj15HIP_vector_typeIjLj3EEjjjS8_jjjS8_jjjj, .Lfunc_end194-_ZL13mul_mat_vec_qIL9ggml_type18ELi1ELb0ELb1EEvPKvS2_PKi31ggml_cuda_mm_fusion_args_devicePfj15HIP_vector_typeIjLj3EEjjjS8_jjjS8_jjjj
                                        ; -- End function
	.set _ZL13mul_mat_vec_qIL9ggml_type18ELi1ELb0ELb1EEvPKvS2_PKi31ggml_cuda_mm_fusion_args_devicePfj15HIP_vector_typeIjLj3EEjjjS8_jjjS8_jjjj.num_vgpr, 37
	.set _ZL13mul_mat_vec_qIL9ggml_type18ELi1ELb0ELb1EEvPKvS2_PKi31ggml_cuda_mm_fusion_args_devicePfj15HIP_vector_typeIjLj3EEjjjS8_jjjS8_jjjj.num_agpr, 0
	.set _ZL13mul_mat_vec_qIL9ggml_type18ELi1ELb0ELb1EEvPKvS2_PKi31ggml_cuda_mm_fusion_args_devicePfj15HIP_vector_typeIjLj3EEjjjS8_jjjS8_jjjj.numbered_sgpr, 24
	.set _ZL13mul_mat_vec_qIL9ggml_type18ELi1ELb0ELb1EEvPKvS2_PKi31ggml_cuda_mm_fusion_args_devicePfj15HIP_vector_typeIjLj3EEjjjS8_jjjS8_jjjj.num_named_barrier, 0
	.set _ZL13mul_mat_vec_qIL9ggml_type18ELi1ELb0ELb1EEvPKvS2_PKi31ggml_cuda_mm_fusion_args_devicePfj15HIP_vector_typeIjLj3EEjjjS8_jjjS8_jjjj.private_seg_size, 0
	.set _ZL13mul_mat_vec_qIL9ggml_type18ELi1ELb0ELb1EEvPKvS2_PKi31ggml_cuda_mm_fusion_args_devicePfj15HIP_vector_typeIjLj3EEjjjS8_jjjS8_jjjj.uses_vcc, 1
	.set _ZL13mul_mat_vec_qIL9ggml_type18ELi1ELb0ELb1EEvPKvS2_PKi31ggml_cuda_mm_fusion_args_devicePfj15HIP_vector_typeIjLj3EEjjjS8_jjjS8_jjjj.uses_flat_scratch, 0
	.set _ZL13mul_mat_vec_qIL9ggml_type18ELi1ELb0ELb1EEvPKvS2_PKi31ggml_cuda_mm_fusion_args_devicePfj15HIP_vector_typeIjLj3EEjjjS8_jjjS8_jjjj.has_dyn_sized_stack, 0
	.set _ZL13mul_mat_vec_qIL9ggml_type18ELi1ELb0ELb1EEvPKvS2_PKi31ggml_cuda_mm_fusion_args_devicePfj15HIP_vector_typeIjLj3EEjjjS8_jjjS8_jjjj.has_recursion, 0
	.set _ZL13mul_mat_vec_qIL9ggml_type18ELi1ELb0ELb1EEvPKvS2_PKi31ggml_cuda_mm_fusion_args_devicePfj15HIP_vector_typeIjLj3EEjjjS8_jjjS8_jjjj.has_indirect_call, 0
	.section	.AMDGPU.csdata,"",@progbits
; Kernel info:
; codeLenInByte = 5036
; TotalNumSgprs: 28
; NumVgprs: 37
; ScratchSize: 0
; MemoryBound: 0
; FloatMode: 240
; IeeeMode: 1
; LDSByteSize: 512 bytes/workgroup (compile time only)
; SGPRBlocks: 3
; VGPRBlocks: 9
; NumSGPRsForWavesPerEU: 28
; NumVGPRsForWavesPerEU: 37
; Occupancy: 6
; WaveLimiterHint : 0
; COMPUTE_PGM_RSRC2:SCRATCH_EN: 0
; COMPUTE_PGM_RSRC2:USER_SGPR: 6
; COMPUTE_PGM_RSRC2:TRAP_HANDLER: 0
; COMPUTE_PGM_RSRC2:TGID_X_EN: 1
; COMPUTE_PGM_RSRC2:TGID_Y_EN: 1
; COMPUTE_PGM_RSRC2:TGID_Z_EN: 1
; COMPUTE_PGM_RSRC2:TIDIG_COMP_CNT: 1
	.section	.text._ZL13mul_mat_vec_qIL9ggml_type18ELi1ELb1ELb0EEvPKvS2_PKi31ggml_cuda_mm_fusion_args_devicePfj15HIP_vector_typeIjLj3EEjjjS8_jjjS8_jjjj,"axG",@progbits,_ZL13mul_mat_vec_qIL9ggml_type18ELi1ELb1ELb0EEvPKvS2_PKi31ggml_cuda_mm_fusion_args_devicePfj15HIP_vector_typeIjLj3EEjjjS8_jjjS8_jjjj,comdat
	.globl	_ZL13mul_mat_vec_qIL9ggml_type18ELi1ELb1ELb0EEvPKvS2_PKi31ggml_cuda_mm_fusion_args_devicePfj15HIP_vector_typeIjLj3EEjjjS8_jjjS8_jjjj ; -- Begin function _ZL13mul_mat_vec_qIL9ggml_type18ELi1ELb1ELb0EEvPKvS2_PKi31ggml_cuda_mm_fusion_args_devicePfj15HIP_vector_typeIjLj3EEjjjS8_jjjS8_jjjj
	.p2align	8
	.type	_ZL13mul_mat_vec_qIL9ggml_type18ELi1ELb1ELb0EEvPKvS2_PKi31ggml_cuda_mm_fusion_args_devicePfj15HIP_vector_typeIjLj3EEjjjS8_jjjS8_jjjj,@function
_ZL13mul_mat_vec_qIL9ggml_type18ELi1ELb1ELb0EEvPKvS2_PKi31ggml_cuda_mm_fusion_args_devicePfj15HIP_vector_typeIjLj3EEjjjS8_jjjS8_jjjj: ; @_ZL13mul_mat_vec_qIL9ggml_type18ELi1ELb1ELb0EEvPKvS2_PKi31ggml_cuda_mm_fusion_args_devicePfj15HIP_vector_typeIjLj3EEjjjS8_jjjS8_jjjj
; %bb.0:
	s_load_dwordx8 s[12:19], s[4:5], 0x0
	s_load_dwordx4 s[28:31], s[4:5], 0x20
	s_load_dwordx4 s[36:39], s[4:5], 0x40
	;; [unrolled: 1-line block ×3, first 2 shown]
	s_mov_b32 s34, s7
	s_waitcnt lgkmcnt(0)
	s_cmp_lg_u64 s[16:17], 0
	s_cselect_b64 s[0:1], -1, 0
	s_cmp_eq_u64 s[16:17], 0
	s_mov_b64 s[2:3], 0
	s_cbranch_scc1 .LBB195_5
; %bb.1:
	s_mov_b32 s35, 0
	s_lshl_b64 s[10:11], s[34:35], 2
	s_add_u32 s10, s16, s10
	s_addc_u32 s11, s17, s11
	s_load_dword s9, s[10:11], 0x0
	s_load_dword s33, s[4:5], 0x50
	;; [unrolled: 1-line block ×3, first 2 shown]
	s_andn2_b64 vcc, exec, s[2:3]
	s_cbranch_vccnz .LBB195_3
.LBB195_2:
	s_load_dwordx2 s[2:3], s[4:5], 0x5c
	s_waitcnt lgkmcnt(0)
	s_mul_hi_u32 s2, s2, s34
	s_add_i32 s2, s34, s2
	s_lshr_b32 s9, s2, s3
.LBB195_3:
	s_andn2_b64 vcc, exec, s[0:1]
	s_cbranch_vccnz .LBB195_6
; %bb.4:
	s_mul_hi_u32 s0, s37, s34
	s_add_i32 s0, s34, s0
	s_lshr_b32 s0, s0, s38
	s_mul_i32 s0, s0, s39
	s_sub_i32 s37, s34, s0
	s_waitcnt lgkmcnt(0)
	s_mov_b32 s2, s9
	s_branch .LBB195_7
.LBB195_5:
                                        ; implicit-def: $sgpr9
	s_load_dword s33, s[4:5], 0x50
	s_load_dword s35, s[4:5], 0x78
	s_branch .LBB195_2
.LBB195_6:
	s_mov_b32 s2, s34
	s_mov_b32 s37, s34
.LBB195_7:
	s_load_dwordx4 s[24:27], s[4:5], 0x80
	s_cmp_lg_u64 s[18:19], 0
	v_or_b32_e32 v2, v0, v1
	s_cselect_b64 s[0:1], -1, 0
	v_cmp_eq_u32_e32 vcc, 0, v2
	s_mov_b32 s17, 0
	s_and_b64 s[38:39], s[0:1], vcc
	v_mov_b32_e32 v17, 0
	s_mul_i32 s10, s2, s22
	v_lshlrev_b32_e32 v16, 2, v0
	v_mov_b32_e32 v18, 0
	s_and_saveexec_b64 s[2:3], s[38:39]
	s_cbranch_execz .LBB195_9
; %bb.8:
	s_waitcnt lgkmcnt(0)
	s_mul_i32 s16, s26, s8
	s_lshl_b64 s[38:39], s[16:17], 2
	s_add_u32 s7, s18, s38
	s_mov_b32 s11, s17
	s_addc_u32 s18, s19, s39
	s_lshl_b64 s[16:17], s[10:11], 2
	s_add_u32 s11, s7, s16
	s_addc_u32 s18, s18, s17
	s_ashr_i32 s7, s6, 31
	s_lshl_b64 s[16:17], s[6:7], 2
	s_add_u32 s16, s11, s16
	s_addc_u32 s17, s18, s17
	global_load_dword v18, v16, s[16:17]
.LBB195_9:
	s_or_b64 exec, exec, s[2:3]
	s_cmp_lg_u64 s[28:29], 0
	s_cselect_b64 s[16:17], -1, 0
	s_cmp_lg_u64 s[30:31], 0
	s_cselect_b64 s[2:3], -1, 0
	s_and_b64 s[18:19], s[2:3], s[16:17]
	s_and_b64 s[38:39], s[18:19], vcc
	s_and_saveexec_b64 s[18:19], s[38:39]
	s_cbranch_execz .LBB195_11
; %bb.10:
	s_waitcnt lgkmcnt(0)
	s_mul_i32 s38, s26, s8
	s_mov_b32 s39, 0
	s_lshl_b64 s[40:41], s[38:39], 2
	s_add_u32 s7, s30, s40
	s_mov_b32 s11, s39
	s_addc_u32 s27, s31, s41
	s_lshl_b64 s[10:11], s[10:11], 2
	s_add_u32 s30, s7, s10
	s_addc_u32 s27, s27, s11
	s_ashr_i32 s7, s6, 31
	s_lshl_b64 s[10:11], s[6:7], 2
	s_add_u32 s10, s30, s10
	s_addc_u32 s11, s27, s11
	global_load_dword v17, v16, s[10:11]
.LBB195_11:
	s_or_b64 exec, exec, s[18:19]
	v_lshl_add_u32 v2, v1, 6, v0
	s_lshr_b32 s7, s36, 8
	v_lshrrev_b32_e32 v22, 3, v2
	v_cmp_gt_u32_e32 vcc, s7, v22
	v_mov_b32_e32 v21, 0
	v_cndmask_b32_e64 v20, 0, 1, s[16:17]
	v_mov_b32_e32 v19, 0
	s_and_saveexec_b64 s[18:19], vcc
	s_cbranch_execz .LBB195_17
; %bb.12:
	s_mul_hi_u32 s10, s23, s8
	s_add_i32 s10, s8, s10
	s_waitcnt lgkmcnt(0)
	s_lshr_b32 s10, s10, s35
	s_mul_i32 s9, s9, s20
	s_mul_i32 s20, s10, s24
	;; [unrolled: 1-line block ×3, first 2 shown]
	v_lshlrev_b32_e32 v3, 1, v0
	s_mul_hi_u32 s11, s10, 36
	s_mul_i32 s10, s10, 36
	v_and_b32_e32 v4, 14, v3
	v_lshrrev_b32_e32 v5, 3, v2
	v_mov_b32_e32 v2, s10
	v_mov_b32_e32 v3, s11
	s_movk_i32 s10, 0x120
	v_mad_u64_u32 v[2:3], s[10:11], v5, s10, v[2:3]
	s_mul_i32 s23, s25, s8
	v_and_b32_e32 v6, 7, v0
	v_mad_u64_u32 v[2:3], s[10:11], s23, 36, v[2:3]
	s_mul_i32 s33, s33, s6
	s_add_i32 s20, s20, s33
	v_mad_u64_u32 v[2:3], s[10:11], v6, 36, v[2:3]
	v_mov_b32_e32 v6, s15
	v_lshlrev_b32_e32 v5, 1, v4
	v_add_co_u32_e32 v2, vcc, s14, v2
	v_addc_co_u32_e32 v3, vcc, v6, v3, vcc
	v_add_co_u32_e32 v10, vcc, 32, v2
	v_mov_b32_e32 v12, s12
	s_add_i32 s9, s9, s20
	v_mov_b32_e32 v23, 0
	v_addc_co_u32_e32 v11, vcc, 0, v3, vcc
	s_mov_b64 s[14:15], 0
	s_movk_i32 s20, 0x62
	v_mov_b32_e32 v13, s13
	v_lshlrev_b32_e32 v24, 1, v5
	v_lshlrev_b32_e32 v25, 1, v4
	s_mov_b32 s21, 0x1010101
	s_movk_i32 s23, 0xff00
	s_mov_b32 s24, 0xc0c0105
	v_mov_b32_e32 v26, 2
	v_cmp_ne_u32_e64 s[10:11], 1, v20
	v_mov_b32_e32 v27, 8
	v_mov_b32_e32 v21, 0
	v_mov_b32_e32 v19, 0
	s_branch .LBB195_14
.LBB195_13:                             ;   in Loop: Header=BB195_14 Depth=1
	s_waitcnt vmcnt(10)
	v_and_b32_e32 v14, 0xff, v30
	v_bcnt_u32_b32 v15, v14, 0
	v_and_b32_e32 v15, 1, v15
	v_lshlrev_b32_e32 v15, 7, v15
	v_xor_b32_e32 v14, v15, v14
	v_mul_lo_u32 v14, v14, s21
	v_add_u32_e32 v22, 16, v22
	v_add_co_u32_e32 v10, vcc, 0x1200, v10
	v_and_b32_e32 v15, 0x8040201, v14
	v_cmp_ne_u16_sdwa s[12:13], v15, v23 src0_sel:BYTE_1 src1_sel:DWORD
	v_cndmask_b32_e64 v41, 0, -1, s[12:13]
	v_cmp_ne_u16_sdwa s[12:13], v15, v23 src0_sel:BYTE_3 src1_sel:DWORD
	v_lshrrev_b32_e32 v39, 18, v14
	v_cndmask_b32_e64 v15, 0, -1, s[12:13]
	v_bfe_i32 v40, v14, 0, 1
	v_lshlrev_b16_e32 v41, 8, v41
	v_bfe_i32 v39, v39, 0, 1
	v_lshlrev_b16_e32 v15, 8, v15
	v_or_b32_sdwa v42, v40, v41 dst_sel:DWORD dst_unused:UNUSED_PAD src0_sel:BYTE_0 src1_sel:DWORD
	v_or_b32_sdwa v43, v39, v15 dst_sel:WORD_1 dst_unused:UNUSED_PAD src0_sel:BYTE_0 src1_sel:DWORD
	v_or_b32_sdwa v42, v42, v43 dst_sel:DWORD dst_unused:UNUSED_PAD src0_sel:WORD_0 src1_sel:DWORD
	s_waitcnt vmcnt(8)
	v_xor_b32_e32 v38, v38, v42
	v_and_b32_e32 v42, 0xffffff00, v38
	v_sub_i16 v41, v42, v41 clamp
	v_lshlrev_b16_e32 v42, 8, v38
	v_lshlrev_b16_e32 v40, 8, v40
	v_sub_i16 v40, v42, v40 clamp
	v_perm_b32 v40, v40, v41, s24
	v_and_b32_sdwa v41, v38, s23 dst_sel:DWORD dst_unused:UNUSED_PAD src0_sel:WORD_1 src1_sel:DWORD
	v_lshlrev_b16_sdwa v38, v27, v38 dst_sel:DWORD dst_unused:UNUSED_PAD src0_sel:DWORD src1_sel:WORD_1
	v_lshlrev_b16_e32 v39, 8, v39
	v_sub_i16 v15, v41, v15 clamp
	v_sub_i16 v38, v38, v39 clamp
	v_perm_b32 v15, v38, v15, s24
	v_and_b32_e32 v38, 0x80402010, v14
	v_cmp_ne_u16_sdwa s[12:13], v38, v23 src0_sel:BYTE_1 src1_sel:DWORD
	v_lshl_or_b32 v15, v15, 16, v40
	v_cndmask_b32_e64 v40, 0, -1, s[12:13]
	v_cmp_ne_u16_sdwa s[12:13], v38, v23 src0_sel:BYTE_3 src1_sel:DWORD
	v_lshrrev_b32_e32 v14, 22, v14
	v_lshrrev_b16_e32 v39, 4, v38
	v_cndmask_b32_e64 v38, 0, -1, s[12:13]
	v_bfe_i32 v39, v39, 0, 1
	v_lshlrev_b16_e32 v40, 8, v40
	v_bfe_i32 v14, v14, 0, 1
	v_lshlrev_b16_e32 v38, 8, v38
	v_or_b32_sdwa v41, v39, v40 dst_sel:DWORD dst_unused:UNUSED_PAD src0_sel:BYTE_0 src1_sel:DWORD
	v_or_b32_sdwa v42, v14, v38 dst_sel:WORD_1 dst_unused:UNUSED_PAD src0_sel:BYTE_0 src1_sel:DWORD
	v_or_b32_sdwa v41, v41, v42 dst_sel:DWORD dst_unused:UNUSED_PAD src0_sel:WORD_0 src1_sel:DWORD
	s_waitcnt vmcnt(7)
	v_xor_b32_e32 v37, v37, v41
	v_and_b32_e32 v41, 0xffffff00, v37
	v_sub_i16 v40, v41, v40 clamp
	v_lshlrev_b16_e32 v41, 8, v37
	v_lshlrev_b16_e32 v39, 8, v39
	v_sub_i16 v39, v41, v39 clamp
	v_perm_b32 v39, v39, v40, s24
	v_and_b32_sdwa v40, v37, s23 dst_sel:DWORD dst_unused:UNUSED_PAD src0_sel:WORD_1 src1_sel:DWORD
	v_lshlrev_b16_sdwa v37, v27, v37 dst_sel:DWORD dst_unused:UNUSED_PAD src0_sel:DWORD src1_sel:WORD_1
	v_lshlrev_b16_e32 v14, 8, v14
	v_sub_i16 v38, v40, v38 clamp
	v_sub_i16 v14, v37, v14 clamp
	v_bfe_u32 v37, v30, 7, 8
	v_perm_b32 v14, v14, v38, s24
	v_bcnt_u32_b32 v38, v37, 0
	v_and_b32_e32 v38, 1, v38
	v_lshlrev_b32_e32 v38, 7, v38
	v_xor_b32_e32 v37, v38, v37
	v_mul_lo_u32 v37, v37, s21
	v_lshl_or_b32 v14, v14, 16, v39
	v_dot4_i32_i8 v7, v15, v7, 0
	v_dot4_i32_i8 v7, v14, v8, v7
	v_and_b32_e32 v8, 0x8040201, v37
	v_cmp_ne_u16_sdwa s[12:13], v8, v23 src0_sel:BYTE_1 src1_sel:DWORD
	v_cndmask_b32_e64 v38, 0, -1, s[12:13]
	v_cmp_ne_u16_sdwa s[12:13], v8, v23 src0_sel:BYTE_3 src1_sel:DWORD
	v_lshrrev_b32_e32 v14, 18, v37
	v_cndmask_b32_e64 v8, 0, -1, s[12:13]
	v_bfe_i32 v15, v37, 0, 1
	v_lshlrev_b16_e32 v38, 8, v38
	v_bfe_i32 v14, v14, 0, 1
	v_lshlrev_b16_e32 v8, 8, v8
	v_or_b32_sdwa v39, v15, v38 dst_sel:DWORD dst_unused:UNUSED_PAD src0_sel:BYTE_0 src1_sel:DWORD
	v_or_b32_sdwa v40, v14, v8 dst_sel:WORD_1 dst_unused:UNUSED_PAD src0_sel:BYTE_0 src1_sel:DWORD
	v_or_b32_sdwa v39, v39, v40 dst_sel:DWORD dst_unused:UNUSED_PAD src0_sel:WORD_0 src1_sel:DWORD
	s_waitcnt vmcnt(6)
	v_xor_b32_e32 v36, v36, v39
	v_and_b32_e32 v39, 0xffffff00, v36
	v_sub_i16 v38, v39, v38 clamp
	v_lshlrev_b16_e32 v39, 8, v36
	v_lshlrev_b16_e32 v15, 8, v15
	v_sub_i16 v15, v39, v15 clamp
	v_perm_b32 v15, v15, v38, s24
	v_and_b32_sdwa v38, v36, s23 dst_sel:DWORD dst_unused:UNUSED_PAD src0_sel:WORD_1 src1_sel:DWORD
	v_lshlrev_b16_sdwa v36, v27, v36 dst_sel:DWORD dst_unused:UNUSED_PAD src0_sel:DWORD src1_sel:WORD_1
	v_lshlrev_b16_e32 v14, 8, v14
	v_sub_i16 v8, v38, v8 clamp
	v_sub_i16 v14, v36, v14 clamp
	v_perm_b32 v8, v14, v8, s24
	v_and_b32_e32 v14, 0x80402010, v37
	v_cmp_ne_u16_sdwa s[12:13], v14, v23 src0_sel:BYTE_1 src1_sel:DWORD
	v_lshl_or_b32 v8, v8, 16, v15
	v_lshrrev_b32_e32 v15, 22, v37
	v_cndmask_b32_e64 v37, 0, -1, s[12:13]
	v_cmp_ne_u16_sdwa s[12:13], v14, v23 src0_sel:BYTE_3 src1_sel:DWORD
	v_lshrrev_b16_e32 v36, 4, v14
	v_cndmask_b32_e64 v14, 0, -1, s[12:13]
	v_bfe_i32 v36, v36, 0, 1
	v_lshlrev_b16_e32 v37, 8, v37
	v_bfe_i32 v15, v15, 0, 1
	v_lshlrev_b16_e32 v14, 8, v14
	v_or_b32_sdwa v38, v36, v37 dst_sel:DWORD dst_unused:UNUSED_PAD src0_sel:BYTE_0 src1_sel:DWORD
	v_or_b32_sdwa v39, v15, v14 dst_sel:WORD_1 dst_unused:UNUSED_PAD src0_sel:BYTE_0 src1_sel:DWORD
	v_or_b32_sdwa v38, v38, v39 dst_sel:DWORD dst_unused:UNUSED_PAD src0_sel:WORD_0 src1_sel:DWORD
	s_waitcnt vmcnt(5)
	v_xor_b32_e32 v35, v35, v38
	v_and_b32_e32 v38, 0xffffff00, v35
	v_sub_i16 v37, v38, v37 clamp
	v_lshlrev_b16_e32 v38, 8, v35
	v_lshlrev_b16_e32 v36, 8, v36
	v_sub_i16 v36, v38, v36 clamp
	v_perm_b32 v36, v36, v37, s24
	v_and_b32_sdwa v37, v35, s23 dst_sel:DWORD dst_unused:UNUSED_PAD src0_sel:WORD_1 src1_sel:DWORD
	v_lshlrev_b16_sdwa v35, v27, v35 dst_sel:DWORD dst_unused:UNUSED_PAD src0_sel:DWORD src1_sel:WORD_1
	v_lshlrev_b16_e32 v15, 8, v15
	v_sub_i16 v14, v37, v14 clamp
	v_sub_i16 v15, v35, v15 clamp
	v_perm_b32 v14, v15, v14, s24
	v_bfe_u32 v15, v30, 14, 8
	v_bcnt_u32_b32 v35, v15, 0
	v_and_b32_e32 v35, 1, v35
	v_lshlrev_b32_e32 v35, 7, v35
	v_xor_b32_e32 v15, v35, v15
	v_mul_lo_u32 v15, v15, s21
	v_lshl_or_b32 v14, v14, 16, v36
	v_dot4_i32_i8 v7, v8, v9, v7
	s_waitcnt vmcnt(0)
	v_dot4_i32_i8 v2, v14, v2, v7
	v_and_b32_e32 v7, 0x8040201, v15
	v_cmp_ne_u16_sdwa s[12:13], v7, v23 src0_sel:BYTE_1 src1_sel:DWORD
	v_cndmask_b32_e64 v14, 0, -1, s[12:13]
	v_cmp_ne_u16_sdwa s[12:13], v7, v23 src0_sel:BYTE_3 src1_sel:DWORD
	v_lshrrev_b32_e32 v8, 18, v15
	v_cndmask_b32_e64 v7, 0, -1, s[12:13]
	v_bfe_i32 v9, v15, 0, 1
	v_lshlrev_b16_e32 v14, 8, v14
	v_bfe_i32 v8, v8, 0, 1
	v_lshlrev_b16_e32 v7, 8, v7
	v_or_b32_sdwa v35, v9, v14 dst_sel:DWORD dst_unused:UNUSED_PAD src0_sel:BYTE_0 src1_sel:DWORD
	v_or_b32_sdwa v36, v8, v7 dst_sel:WORD_1 dst_unused:UNUSED_PAD src0_sel:BYTE_0 src1_sel:DWORD
	v_or_b32_sdwa v35, v35, v36 dst_sel:DWORD dst_unused:UNUSED_PAD src0_sel:WORD_0 src1_sel:DWORD
	v_xor_b32_e32 v34, v34, v35
	v_and_b32_e32 v35, 0xffffff00, v34
	v_sub_i16 v14, v35, v14 clamp
	v_lshlrev_b16_e32 v35, 8, v34
	v_lshlrev_b16_e32 v9, 8, v9
	v_sub_i16 v9, v35, v9 clamp
	v_perm_b32 v9, v9, v14, s24
	v_and_b32_sdwa v14, v34, s23 dst_sel:DWORD dst_unused:UNUSED_PAD src0_sel:WORD_1 src1_sel:DWORD
	v_sub_i16 v7, v14, v7 clamp
	v_lshlrev_b16_sdwa v14, v27, v34 dst_sel:DWORD dst_unused:UNUSED_PAD src0_sel:DWORD src1_sel:WORD_1
	v_lshlrev_b16_e32 v8, 8, v8
	v_sub_i16 v8, v14, v8 clamp
	v_perm_b32 v7, v8, v7, s24
	v_and_b32_e32 v8, 0x80402010, v15
	v_cmp_ne_u16_sdwa s[12:13], v8, v23 src0_sel:BYTE_1 src1_sel:DWORD
	v_lshl_or_b32 v7, v7, 16, v9
	v_lshrrev_b32_e32 v9, 22, v15
	v_cndmask_b32_e64 v15, 0, -1, s[12:13]
	v_cmp_ne_u16_sdwa s[12:13], v8, v23 src0_sel:BYTE_3 src1_sel:DWORD
	v_lshrrev_b16_e32 v14, 4, v8
	v_cndmask_b32_e64 v8, 0, -1, s[12:13]
	v_bfe_i32 v14, v14, 0, 1
	v_lshlrev_b16_e32 v15, 8, v15
	v_bfe_i32 v9, v9, 0, 1
	v_lshlrev_b16_e32 v8, 8, v8
	v_or_b32_sdwa v34, v14, v15 dst_sel:DWORD dst_unused:UNUSED_PAD src0_sel:BYTE_0 src1_sel:DWORD
	v_or_b32_sdwa v35, v9, v8 dst_sel:WORD_1 dst_unused:UNUSED_PAD src0_sel:BYTE_0 src1_sel:DWORD
	v_or_b32_sdwa v34, v34, v35 dst_sel:DWORD dst_unused:UNUSED_PAD src0_sel:WORD_0 src1_sel:DWORD
	v_xor_b32_e32 v33, v33, v34
	v_and_b32_e32 v34, 0xffffff00, v33
	v_sub_i16 v15, v34, v15 clamp
	v_lshlrev_b16_e32 v34, 8, v33
	v_lshlrev_b16_e32 v14, 8, v14
	v_sub_i16 v14, v34, v14 clamp
	v_perm_b32 v14, v14, v15, s24
	v_and_b32_sdwa v15, v33, s23 dst_sel:DWORD dst_unused:UNUSED_PAD src0_sel:WORD_1 src1_sel:DWORD
	v_sub_i16 v8, v15, v8 clamp
	v_lshlrev_b16_sdwa v15, v27, v33 dst_sel:DWORD dst_unused:UNUSED_PAD src0_sel:DWORD src1_sel:WORD_1
	v_lshlrev_b16_e32 v9, 8, v9
	v_sub_i16 v9, v15, v9 clamp
	v_perm_b32 v8, v9, v8, s24
	v_bfe_u32 v9, v30, 21, 8
	v_bcnt_u32_b32 v15, v9, 0
	v_and_b32_e32 v15, 1, v15
	v_lshlrev_b32_e32 v15, 7, v15
	v_xor_b32_e32 v9, v15, v9
	v_mul_lo_u32 v9, v9, s21
	v_dot4_i32_i8 v2, v7, v3, v2
	v_lshl_or_b32 v8, v8, 16, v14
	v_dot4_i32_i8 v2, v8, v4, v2
	v_and_b32_e32 v3, 0x8040201, v9
	v_cmp_ne_u16_sdwa s[12:13], v3, v23 src0_sel:BYTE_1 src1_sel:DWORD
	v_cndmask_b32_e64 v8, 0, -1, s[12:13]
	v_cmp_ne_u16_sdwa s[12:13], v3, v23 src0_sel:BYTE_3 src1_sel:DWORD
	v_lshrrev_b32_e32 v4, 18, v9
	v_cndmask_b32_e64 v3, 0, -1, s[12:13]
	v_bfe_i32 v7, v9, 0, 1
	v_lshlrev_b16_e32 v8, 8, v8
	v_bfe_i32 v4, v4, 0, 1
	v_lshlrev_b16_e32 v3, 8, v3
	v_or_b32_sdwa v14, v7, v8 dst_sel:DWORD dst_unused:UNUSED_PAD src0_sel:BYTE_0 src1_sel:DWORD
	v_or_b32_sdwa v15, v4, v3 dst_sel:WORD_1 dst_unused:UNUSED_PAD src0_sel:BYTE_0 src1_sel:DWORD
	v_or_b32_sdwa v14, v14, v15 dst_sel:DWORD dst_unused:UNUSED_PAD src0_sel:WORD_0 src1_sel:DWORD
	v_xor_b32_e32 v14, v32, v14
	v_and_b32_e32 v15, 0xffffff00, v14
	v_sub_i16 v8, v15, v8 clamp
	v_lshlrev_b16_e32 v15, 8, v14
	v_lshlrev_b16_e32 v7, 8, v7
	v_sub_i16 v7, v15, v7 clamp
	v_perm_b32 v7, v7, v8, s24
	v_and_b32_sdwa v8, v14, s23 dst_sel:DWORD dst_unused:UNUSED_PAD src0_sel:WORD_1 src1_sel:DWORD
	v_sub_i16 v3, v8, v3 clamp
	v_lshlrev_b16_sdwa v8, v27, v14 dst_sel:DWORD dst_unused:UNUSED_PAD src0_sel:DWORD src1_sel:WORD_1
	v_lshlrev_b16_e32 v4, 8, v4
	v_sub_i16 v4, v8, v4 clamp
	v_perm_b32 v3, v4, v3, s24
	v_and_b32_e32 v4, 0x80402010, v9
	v_cmp_ne_u16_sdwa s[12:13], v4, v23 src0_sel:BYTE_1 src1_sel:DWORD
	v_lshl_or_b32 v3, v3, 16, v7
	v_lshrrev_b32_e32 v7, 22, v9
	v_cndmask_b32_e64 v9, 0, -1, s[12:13]
	v_cmp_ne_u16_sdwa s[12:13], v4, v23 src0_sel:BYTE_3 src1_sel:DWORD
	v_lshrrev_b16_e32 v8, 4, v4
	v_cndmask_b32_e64 v4, 0, -1, s[12:13]
	v_bfe_i32 v8, v8, 0, 1
	v_lshlrev_b16_e32 v9, 8, v9
	v_bfe_i32 v7, v7, 0, 1
	v_lshlrev_b16_e32 v4, 8, v4
	v_or_b32_sdwa v14, v8, v9 dst_sel:DWORD dst_unused:UNUSED_PAD src0_sel:BYTE_0 src1_sel:DWORD
	v_or_b32_sdwa v15, v7, v4 dst_sel:WORD_1 dst_unused:UNUSED_PAD src0_sel:BYTE_0 src1_sel:DWORD
	v_or_b32_sdwa v14, v14, v15 dst_sel:DWORD dst_unused:UNUSED_PAD src0_sel:WORD_0 src1_sel:DWORD
	v_xor_b32_e32 v14, v31, v14
	v_and_b32_e32 v15, 0xffffff00, v14
	v_sub_i16 v9, v15, v9 clamp
	v_lshlrev_b16_e32 v15, 8, v14
	v_lshlrev_b16_e32 v8, 8, v8
	v_sub_i16 v8, v15, v8 clamp
	v_perm_b32 v8, v8, v9, s24
	v_and_b32_sdwa v9, v14, s23 dst_sel:DWORD dst_unused:UNUSED_PAD src0_sel:WORD_1 src1_sel:DWORD
	v_sub_i16 v4, v9, v4 clamp
	v_lshlrev_b16_sdwa v9, v27, v14 dst_sel:DWORD dst_unused:UNUSED_PAD src0_sel:DWORD src1_sel:WORD_1
	v_lshlrev_b16_e32 v7, 8, v7
	v_sub_i16 v7, v9, v7 clamp
	v_perm_b32 v4, v7, v4, s24
	v_lshl_or_b32 v4, v4, 16, v8
	v_dot4_i32_i8 v2, v3, v5, v2
	v_dot4_i32_i8 v3, v4, v28, v2
	v_lshrrev_b32_e32 v2, 31, v3
	v_add_u32_e32 v2, v3, v2
	v_lshrrev_b32_e32 v4, 28, v30
	v_ashrrev_i32_e32 v2, 1, v2
	v_mad_u64_u32 v[2:3], s[12:13], v3, v4, v[2:3]
	v_cmp_le_u32_e64 s[12:13], s7, v22
	s_or_b64 s[14:15], s[12:13], s[14:15]
	v_lshrrev_b32_e32 v3, 31, v2
	v_add_u32_e32 v2, v2, v3
	v_ashrrev_i32_e32 v2, 1, v2
	v_cvt_f32_f16_e32 v3, v29
	v_cvt_f32_i32_e32 v2, v2
	v_addc_co_u32_e32 v11, vcc, 0, v11, vcc
	v_mul_f32_e32 v3, v3, v6
	v_fmac_f32_e32 v21, v3, v2
	s_andn2_b64 exec, exec, s[14:15]
	s_cbranch_execz .LBB195_16
.LBB195_14:                             ; =>This Inner Loop Header: Depth=1
	v_add_u32_e32 v14, s9, v22
	v_mad_i64_i32 v[2:3], s[12:13], v14, s20, v[12:13]
	s_getpc_b64 s[12:13]
	s_add_u32 s12, s12, _ZL11iq3xxs_grid@rel32@lo+4
	s_addc_u32 s13, s13, _ZL11iq3xxs_grid@rel32@hi+12
	v_add_co_u32_e32 v4, vcc, v2, v24
	v_addc_co_u32_e32 v5, vcc, 0, v3, vcc
	global_load_dwordx2 v[4:5], v[4:5], off offset:2
	v_add_co_u32_e32 v31, vcc, v2, v25
	v_addc_co_u32_e32 v32, vcc, 0, v3, vcc
	global_load_dword v28, v[10:11], off
	global_load_dwordx4 v[6:9], v[10:11], off offset:-32
	global_load_dword v30, v[31:32], off offset:66
	global_load_ushort v29, v[2:3], off
	s_and_b64 vcc, exec, s[10:11]
	s_waitcnt vmcnt(4)
	v_lshlrev_b32_sdwa v15, v26, v4 dst_sel:DWORD dst_unused:UNUSED_PAD src0_sel:DWORD src1_sel:BYTE_0
	v_lshlrev_b32_sdwa v39, v26, v4 dst_sel:DWORD dst_unused:UNUSED_PAD src0_sel:DWORD src1_sel:BYTE_1
	v_lshlrev_b32_sdwa v40, v26, v4 dst_sel:DWORD dst_unused:UNUSED_PAD src0_sel:DWORD src1_sel:BYTE_2
	v_lshlrev_b32_sdwa v41, v26, v4 dst_sel:DWORD dst_unused:UNUSED_PAD src0_sel:DWORD src1_sel:BYTE_3
	v_lshlrev_b32_sdwa v42, v26, v5 dst_sel:DWORD dst_unused:UNUSED_PAD src0_sel:DWORD src1_sel:BYTE_0
	v_lshlrev_b32_sdwa v43, v26, v5 dst_sel:DWORD dst_unused:UNUSED_PAD src0_sel:DWORD src1_sel:BYTE_1
	v_lshlrev_b32_sdwa v44, v26, v5 dst_sel:DWORD dst_unused:UNUSED_PAD src0_sel:DWORD src1_sel:BYTE_2
	v_lshlrev_b32_sdwa v45, v26, v5 dst_sel:DWORD dst_unused:UNUSED_PAD src0_sel:DWORD src1_sel:BYTE_3
	global_load_dword v38, v15, s[12:13]
	global_load_dword v37, v39, s[12:13]
	;; [unrolled: 1-line block ×8, first 2 shown]
	global_load_dwordx4 v[2:5], v[10:11], off offset:-16
	s_waitcnt vmcnt(11)
	v_cvt_f32_f16_e32 v6, v6
	s_cbranch_vccnz .LBB195_13
; %bb.15:                               ;   in Loop: Header=BB195_14 Depth=1
	v_mov_b32_e32 v40, s29
	v_mov_b32_e32 v39, s28
	v_mad_i64_i32 v[14:15], s[30:31], v14, s20, v[39:40]
	v_add_co_u32_e32 v39, vcc, v14, v25
	v_addc_co_u32_e32 v40, vcc, 0, v15, vcc
	v_add_co_u32_e32 v41, vcc, v14, v24
	v_addc_co_u32_e32 v42, vcc, 0, v15, vcc
	global_load_dwordx2 v[43:44], v[41:42], off offset:2
	global_load_dword v45, v[39:40], off offset:66
	s_waitcnt vmcnt(1)
	v_lshlrev_b32_sdwa v39, v26, v43 dst_sel:DWORD dst_unused:UNUSED_PAD src0_sel:DWORD src1_sel:BYTE_0
	global_load_dword v39, v39, s[12:13]
	v_lshlrev_b32_sdwa v40, v26, v43 dst_sel:DWORD dst_unused:UNUSED_PAD src0_sel:DWORD src1_sel:BYTE_1
	global_load_dword v40, v40, s[12:13]
	s_waitcnt vmcnt(2)
	v_and_b32_e32 v41, 0xff, v45
	v_bcnt_u32_b32 v42, v41, 0
	v_and_b32_e32 v42, 1, v42
	v_lshlrev_b32_e32 v42, 7, v42
	v_xor_b32_e32 v41, v42, v41
	v_mul_lo_u32 v41, v41, s21
	global_load_ushort v14, v[14:15], off
	v_and_b32_e32 v42, 0x8040201, v41
	v_cmp_ne_u16_sdwa s[30:31], v42, v23 src0_sel:BYTE_3 src1_sel:DWORD
	v_cmp_ne_u16_sdwa s[36:37], v42, v23 src0_sel:BYTE_1 src1_sel:DWORD
	v_lshrrev_b32_e32 v46, 18, v41
	v_cndmask_b32_e64 v47, 0, -1, s[36:37]
	v_cndmask_b32_e64 v49, 0, -1, s[30:31]
	v_bfe_i32 v42, v41, 0, 1
	v_lshlrev_b16_e32 v47, 8, v47
	v_bfe_i32 v46, v46, 0, 1
	v_lshlrev_b16_e32 v49, 8, v49
	v_or_b32_sdwa v48, v42, v47 dst_sel:DWORD dst_unused:UNUSED_PAD src0_sel:BYTE_0 src1_sel:DWORD
	v_or_b32_sdwa v50, v46, v49 dst_sel:WORD_1 dst_unused:UNUSED_PAD src0_sel:BYTE_0 src1_sel:DWORD
	v_or_b32_sdwa v48, v48, v50 dst_sel:DWORD dst_unused:UNUSED_PAD src0_sel:WORD_0 src1_sel:DWORD
	v_lshlrev_b16_e32 v42, 8, v42
	v_lshlrev_b16_e32 v46, 8, v46
	s_waitcnt vmcnt(2)
	v_xor_b32_e32 v39, v39, v48
	v_and_b32_e32 v48, 0xffffff00, v39
	v_sub_i16 v47, v48, v47 clamp
	v_lshlrev_b16_e32 v48, 8, v39
	v_sub_i16 v42, v48, v42 clamp
	v_perm_b32 v42, v42, v47, s24
	v_and_b32_sdwa v47, v39, s23 dst_sel:DWORD dst_unused:UNUSED_PAD src0_sel:WORD_1 src1_sel:DWORD
	v_lshlrev_b16_sdwa v39, v27, v39 dst_sel:DWORD dst_unused:UNUSED_PAD src0_sel:DWORD src1_sel:WORD_1
	v_sub_i16 v47, v47, v49 clamp
	v_sub_i16 v39, v39, v46 clamp
	v_perm_b32 v39, v39, v47, s24
	v_lshl_or_b32 v39, v39, 16, v42
	v_and_b32_e32 v42, 0x80402010, v41
	v_cmp_ne_u16_sdwa s[30:31], v42, v23 src0_sel:BYTE_3 src1_sel:DWORD
	v_cmp_ne_u16_sdwa s[36:37], v42, v23 src0_sel:BYTE_1 src1_sel:DWORD
	v_lshrrev_b32_e32 v41, 22, v41
	v_lshrrev_b16_e32 v42, 4, v42
	v_cndmask_b32_e64 v46, 0, -1, s[36:37]
	v_cndmask_b32_e64 v48, 0, -1, s[30:31]
	v_bfe_i32 v42, v42, 0, 1
	v_lshlrev_b16_e32 v46, 8, v46
	v_bfe_i32 v41, v41, 0, 1
	v_lshlrev_b16_e32 v48, 8, v48
	v_or_b32_sdwa v47, v42, v46 dst_sel:DWORD dst_unused:UNUSED_PAD src0_sel:BYTE_0 src1_sel:DWORD
	v_or_b32_sdwa v49, v41, v48 dst_sel:WORD_1 dst_unused:UNUSED_PAD src0_sel:BYTE_0 src1_sel:DWORD
	v_or_b32_sdwa v47, v47, v49 dst_sel:DWORD dst_unused:UNUSED_PAD src0_sel:WORD_0 src1_sel:DWORD
	s_waitcnt vmcnt(1)
	v_xor_b32_e32 v40, v40, v47
	v_and_b32_e32 v47, 0xffffff00, v40
	v_sub_i16 v46, v47, v46 clamp
	v_lshlrev_b16_e32 v47, 8, v40
	v_lshlrev_b16_e32 v42, 8, v42
	v_sub_i16 v42, v47, v42 clamp
	v_perm_b32 v42, v42, v46, s24
	v_and_b32_sdwa v46, v40, s23 dst_sel:DWORD dst_unused:UNUSED_PAD src0_sel:WORD_1 src1_sel:DWORD
	v_lshlrev_b16_sdwa v40, v27, v40 dst_sel:DWORD dst_unused:UNUSED_PAD src0_sel:DWORD src1_sel:WORD_1
	v_lshlrev_b16_e32 v41, 8, v41
	v_sub_i16 v46, v46, v48 clamp
	v_sub_i16 v40, v40, v41 clamp
	v_perm_b32 v40, v40, v46, s24
	v_lshl_or_b32 v40, v40, 16, v42
	v_dot4_i32_i8 v39, v39, v7, 0
	v_dot4_i32_i8 v39, v40, v8, v39
	v_lshlrev_b32_sdwa v40, v26, v43 dst_sel:DWORD dst_unused:UNUSED_PAD src0_sel:DWORD src1_sel:BYTE_2
	global_load_dword v40, v40, s[12:13]
	v_lshlrev_b32_sdwa v41, v26, v43 dst_sel:DWORD dst_unused:UNUSED_PAD src0_sel:DWORD src1_sel:BYTE_3
	global_load_dword v41, v41, s[12:13]
	v_bfe_u32 v42, v45, 7, 8
	v_bcnt_u32_b32 v43, v42, 0
	v_and_b32_e32 v43, 1, v43
	v_lshlrev_b32_e32 v43, 7, v43
	v_xor_b32_e32 v42, v43, v42
	v_mul_lo_u32 v42, v42, s21
	s_waitcnt vmcnt(2)
	v_cvt_f32_f16_e32 v14, v14
	v_and_b32_e32 v43, 0x8040201, v42
	v_cmp_ne_u16_sdwa s[30:31], v43, v23 src0_sel:BYTE_3 src1_sel:DWORD
	v_cmp_ne_u16_sdwa s[36:37], v43, v23 src0_sel:BYTE_1 src1_sel:DWORD
	v_lshrrev_b32_e32 v46, 18, v42
	v_cndmask_b32_e64 v47, 0, -1, s[36:37]
	v_cndmask_b32_e64 v49, 0, -1, s[30:31]
	v_bfe_i32 v43, v42, 0, 1
	v_lshlrev_b16_e32 v47, 8, v47
	v_bfe_i32 v46, v46, 0, 1
	v_lshlrev_b16_e32 v49, 8, v49
	v_or_b32_sdwa v48, v43, v47 dst_sel:DWORD dst_unused:UNUSED_PAD src0_sel:BYTE_0 src1_sel:DWORD
	v_or_b32_sdwa v50, v46, v49 dst_sel:WORD_1 dst_unused:UNUSED_PAD src0_sel:BYTE_0 src1_sel:DWORD
	v_or_b32_sdwa v48, v48, v50 dst_sel:DWORD dst_unused:UNUSED_PAD src0_sel:WORD_0 src1_sel:DWORD
	v_lshlrev_b16_e32 v43, 8, v43
	v_lshlrev_b16_e32 v46, 8, v46
	v_mul_f32_e32 v14, v6, v14
	s_waitcnt vmcnt(1)
	v_xor_b32_e32 v40, v40, v48
	v_and_b32_e32 v48, 0xffffff00, v40
	v_sub_i16 v47, v48, v47 clamp
	v_lshlrev_b16_e32 v48, 8, v40
	v_sub_i16 v43, v48, v43 clamp
	v_perm_b32 v43, v43, v47, s24
	v_and_b32_sdwa v47, v40, s23 dst_sel:DWORD dst_unused:UNUSED_PAD src0_sel:WORD_1 src1_sel:DWORD
	v_lshlrev_b16_sdwa v40, v27, v40 dst_sel:DWORD dst_unused:UNUSED_PAD src0_sel:DWORD src1_sel:WORD_1
	v_sub_i16 v47, v47, v49 clamp
	v_sub_i16 v40, v40, v46 clamp
	v_perm_b32 v40, v40, v47, s24
	v_lshl_or_b32 v40, v40, 16, v43
	v_and_b32_e32 v43, 0x80402010, v42
	v_cmp_ne_u16_sdwa s[30:31], v43, v23 src0_sel:BYTE_3 src1_sel:DWORD
	v_cmp_ne_u16_sdwa s[36:37], v43, v23 src0_sel:BYTE_1 src1_sel:DWORD
	v_dot4_i32_i8 v39, v40, v9, v39
	v_lshlrev_b32_sdwa v40, v26, v44 dst_sel:DWORD dst_unused:UNUSED_PAD src0_sel:DWORD src1_sel:BYTE_0
	v_lshrrev_b32_e32 v42, 22, v42
	v_lshrrev_b16_e32 v43, 4, v43
	v_cndmask_b32_e64 v46, 0, -1, s[36:37]
	v_cndmask_b32_e64 v48, 0, -1, s[30:31]
	global_load_dword v40, v40, s[12:13]
	v_bfe_i32 v43, v43, 0, 1
	v_lshlrev_b16_e32 v46, 8, v46
	v_bfe_i32 v42, v42, 0, 1
	v_lshlrev_b16_e32 v48, 8, v48
	v_or_b32_sdwa v47, v43, v46 dst_sel:DWORD dst_unused:UNUSED_PAD src0_sel:BYTE_0 src1_sel:DWORD
	v_or_b32_sdwa v49, v42, v48 dst_sel:WORD_1 dst_unused:UNUSED_PAD src0_sel:BYTE_0 src1_sel:DWORD
	v_or_b32_sdwa v47, v47, v49 dst_sel:DWORD dst_unused:UNUSED_PAD src0_sel:WORD_0 src1_sel:DWORD
	s_waitcnt vmcnt(1)
	v_xor_b32_e32 v41, v41, v47
	v_and_b32_e32 v47, 0xffffff00, v41
	v_sub_i16 v46, v47, v46 clamp
	v_lshlrev_b16_e32 v47, 8, v41
	v_lshlrev_b16_e32 v43, 8, v43
	v_sub_i16 v43, v47, v43 clamp
	v_perm_b32 v43, v43, v46, s24
	v_and_b32_sdwa v46, v41, s23 dst_sel:DWORD dst_unused:UNUSED_PAD src0_sel:WORD_1 src1_sel:DWORD
	v_lshlrev_b16_sdwa v41, v27, v41 dst_sel:DWORD dst_unused:UNUSED_PAD src0_sel:DWORD src1_sel:WORD_1
	v_lshlrev_b16_e32 v42, 8, v42
	v_sub_i16 v46, v46, v48 clamp
	v_sub_i16 v41, v41, v42 clamp
	v_perm_b32 v41, v41, v46, s24
	v_lshl_or_b32 v41, v41, 16, v43
	v_dot4_i32_i8 v39, v41, v2, v39
	v_lshlrev_b32_sdwa v41, v26, v44 dst_sel:DWORD dst_unused:UNUSED_PAD src0_sel:DWORD src1_sel:BYTE_1
	global_load_dword v41, v41, s[12:13]
	v_bfe_u32 v42, v45, 14, 8
	v_bcnt_u32_b32 v43, v42, 0
	v_and_b32_e32 v43, 1, v43
	v_lshlrev_b32_e32 v43, 7, v43
	v_xor_b32_e32 v42, v43, v42
	v_mul_lo_u32 v42, v42, s21
	v_and_b32_e32 v43, 0x8040201, v42
	v_cmp_ne_u16_sdwa s[30:31], v43, v23 src0_sel:BYTE_3 src1_sel:DWORD
	v_cmp_ne_u16_sdwa s[36:37], v43, v23 src0_sel:BYTE_1 src1_sel:DWORD
	v_lshrrev_b32_e32 v46, 18, v42
	v_cndmask_b32_e64 v47, 0, -1, s[36:37]
	v_cndmask_b32_e64 v49, 0, -1, s[30:31]
	v_bfe_i32 v43, v42, 0, 1
	v_lshlrev_b16_e32 v47, 8, v47
	v_bfe_i32 v46, v46, 0, 1
	v_lshlrev_b16_e32 v49, 8, v49
	v_or_b32_sdwa v48, v43, v47 dst_sel:DWORD dst_unused:UNUSED_PAD src0_sel:BYTE_0 src1_sel:DWORD
	v_or_b32_sdwa v50, v46, v49 dst_sel:WORD_1 dst_unused:UNUSED_PAD src0_sel:BYTE_0 src1_sel:DWORD
	v_or_b32_sdwa v48, v48, v50 dst_sel:DWORD dst_unused:UNUSED_PAD src0_sel:WORD_0 src1_sel:DWORD
	v_lshlrev_b16_e32 v43, 8, v43
	v_lshlrev_b16_e32 v46, 8, v46
	s_waitcnt vmcnt(1)
	v_xor_b32_e32 v40, v40, v48
	v_and_b32_e32 v48, 0xffffff00, v40
	v_sub_i16 v47, v48, v47 clamp
	v_lshlrev_b16_e32 v48, 8, v40
	v_sub_i16 v43, v48, v43 clamp
	v_perm_b32 v43, v43, v47, s24
	v_and_b32_sdwa v47, v40, s23 dst_sel:DWORD dst_unused:UNUSED_PAD src0_sel:WORD_1 src1_sel:DWORD
	v_lshlrev_b16_sdwa v40, v27, v40 dst_sel:DWORD dst_unused:UNUSED_PAD src0_sel:DWORD src1_sel:WORD_1
	v_sub_i16 v47, v47, v49 clamp
	v_sub_i16 v40, v40, v46 clamp
	v_perm_b32 v40, v40, v47, s24
	v_lshl_or_b32 v40, v40, 16, v43
	v_and_b32_e32 v43, 0x80402010, v42
	v_cmp_ne_u16_sdwa s[30:31], v43, v23 src0_sel:BYTE_3 src1_sel:DWORD
	v_cmp_ne_u16_sdwa s[36:37], v43, v23 src0_sel:BYTE_1 src1_sel:DWORD
	v_dot4_i32_i8 v39, v40, v3, v39
	v_lshlrev_b32_sdwa v40, v26, v44 dst_sel:DWORD dst_unused:UNUSED_PAD src0_sel:DWORD src1_sel:BYTE_2
	v_lshrrev_b32_e32 v42, 22, v42
	v_lshrrev_b16_e32 v43, 4, v43
	v_cndmask_b32_e64 v46, 0, -1, s[36:37]
	v_cndmask_b32_e64 v48, 0, -1, s[30:31]
	global_load_dword v40, v40, s[12:13]
	v_bfe_i32 v43, v43, 0, 1
	v_lshlrev_b16_e32 v46, 8, v46
	v_bfe_i32 v42, v42, 0, 1
	v_lshlrev_b16_e32 v48, 8, v48
	v_or_b32_sdwa v47, v43, v46 dst_sel:DWORD dst_unused:UNUSED_PAD src0_sel:BYTE_0 src1_sel:DWORD
	v_or_b32_sdwa v49, v42, v48 dst_sel:WORD_1 dst_unused:UNUSED_PAD src0_sel:BYTE_0 src1_sel:DWORD
	v_or_b32_sdwa v47, v47, v49 dst_sel:DWORD dst_unused:UNUSED_PAD src0_sel:WORD_0 src1_sel:DWORD
	s_waitcnt vmcnt(1)
	v_xor_b32_e32 v41, v41, v47
	v_and_b32_e32 v47, 0xffffff00, v41
	v_sub_i16 v46, v47, v46 clamp
	v_lshlrev_b16_e32 v47, 8, v41
	v_lshlrev_b16_e32 v43, 8, v43
	v_sub_i16 v43, v47, v43 clamp
	v_perm_b32 v43, v43, v46, s24
	v_and_b32_sdwa v46, v41, s23 dst_sel:DWORD dst_unused:UNUSED_PAD src0_sel:WORD_1 src1_sel:DWORD
	v_lshlrev_b16_sdwa v41, v27, v41 dst_sel:DWORD dst_unused:UNUSED_PAD src0_sel:DWORD src1_sel:WORD_1
	v_lshlrev_b16_e32 v42, 8, v42
	v_sub_i16 v46, v46, v48 clamp
	v_sub_i16 v41, v41, v42 clamp
	v_perm_b32 v41, v41, v46, s24
	v_lshl_or_b32 v41, v41, 16, v43
	v_dot4_i32_i8 v39, v41, v4, v39
	v_lshlrev_b32_sdwa v41, v26, v44 dst_sel:DWORD dst_unused:UNUSED_PAD src0_sel:DWORD src1_sel:BYTE_3
	global_load_dword v41, v41, s[12:13]
	v_bfe_u32 v42, v45, 21, 8
	v_bcnt_u32_b32 v43, v42, 0
	v_and_b32_e32 v43, 1, v43
	v_lshlrev_b32_e32 v43, 7, v43
	v_xor_b32_e32 v42, v43, v42
	v_mul_lo_u32 v42, v42, s21
	v_and_b32_e32 v43, 0x8040201, v42
	v_cmp_ne_u16_sdwa s[12:13], v43, v23 src0_sel:BYTE_3 src1_sel:DWORD
	v_cmp_ne_u16_sdwa s[30:31], v43, v23 src0_sel:BYTE_1 src1_sel:DWORD
	v_lshrrev_b32_e32 v44, 18, v42
	v_cndmask_b32_e64 v46, 0, -1, s[30:31]
	v_cndmask_b32_e64 v48, 0, -1, s[12:13]
	v_bfe_i32 v43, v42, 0, 1
	v_lshlrev_b16_e32 v46, 8, v46
	v_bfe_i32 v44, v44, 0, 1
	v_lshlrev_b16_e32 v48, 8, v48
	v_or_b32_sdwa v47, v43, v46 dst_sel:DWORD dst_unused:UNUSED_PAD src0_sel:BYTE_0 src1_sel:DWORD
	v_or_b32_sdwa v49, v44, v48 dst_sel:WORD_1 dst_unused:UNUSED_PAD src0_sel:BYTE_0 src1_sel:DWORD
	v_or_b32_sdwa v47, v47, v49 dst_sel:DWORD dst_unused:UNUSED_PAD src0_sel:WORD_0 src1_sel:DWORD
	v_lshlrev_b16_e32 v43, 8, v43
	v_lshlrev_b16_e32 v44, 8, v44
	s_waitcnt vmcnt(1)
	v_xor_b32_e32 v40, v40, v47
	v_and_b32_e32 v47, 0xffffff00, v40
	v_sub_i16 v46, v47, v46 clamp
	v_lshlrev_b16_e32 v47, 8, v40
	v_sub_i16 v43, v47, v43 clamp
	v_perm_b32 v43, v43, v46, s24
	v_and_b32_sdwa v46, v40, s23 dst_sel:DWORD dst_unused:UNUSED_PAD src0_sel:WORD_1 src1_sel:DWORD
	v_lshlrev_b16_sdwa v40, v27, v40 dst_sel:DWORD dst_unused:UNUSED_PAD src0_sel:DWORD src1_sel:WORD_1
	v_sub_i16 v46, v46, v48 clamp
	v_sub_i16 v40, v40, v44 clamp
	v_perm_b32 v40, v40, v46, s24
	v_lshl_or_b32 v40, v40, 16, v43
	v_and_b32_e32 v43, 0x80402010, v42
	v_cmp_ne_u16_sdwa s[12:13], v43, v23 src0_sel:BYTE_3 src1_sel:DWORD
	v_cmp_ne_u16_sdwa s[30:31], v43, v23 src0_sel:BYTE_1 src1_sel:DWORD
	v_lshrrev_b32_e32 v42, 22, v42
	v_lshrrev_b16_e32 v43, 4, v43
	v_cndmask_b32_e64 v44, 0, -1, s[30:31]
	v_cndmask_b32_e64 v47, 0, -1, s[12:13]
	v_bfe_i32 v43, v43, 0, 1
	v_lshlrev_b16_e32 v44, 8, v44
	v_bfe_i32 v42, v42, 0, 1
	v_lshlrev_b16_e32 v47, 8, v47
	v_or_b32_sdwa v46, v43, v44 dst_sel:DWORD dst_unused:UNUSED_PAD src0_sel:BYTE_0 src1_sel:DWORD
	v_or_b32_sdwa v48, v42, v47 dst_sel:WORD_1 dst_unused:UNUSED_PAD src0_sel:BYTE_0 src1_sel:DWORD
	v_or_b32_sdwa v46, v46, v48 dst_sel:DWORD dst_unused:UNUSED_PAD src0_sel:WORD_0 src1_sel:DWORD
	s_waitcnt vmcnt(0)
	v_xor_b32_e32 v41, v41, v46
	v_and_b32_e32 v46, 0xffffff00, v41
	v_sub_i16 v44, v46, v44 clamp
	v_lshlrev_b16_e32 v46, 8, v41
	v_lshlrev_b16_e32 v43, 8, v43
	v_sub_i16 v43, v46, v43 clamp
	v_perm_b32 v43, v43, v44, s24
	v_and_b32_sdwa v44, v41, s23 dst_sel:DWORD dst_unused:UNUSED_PAD src0_sel:WORD_1 src1_sel:DWORD
	v_lshlrev_b16_sdwa v41, v27, v41 dst_sel:DWORD dst_unused:UNUSED_PAD src0_sel:DWORD src1_sel:WORD_1
	v_lshlrev_b16_e32 v42, 8, v42
	v_sub_i16 v44, v44, v47 clamp
	v_sub_i16 v41, v41, v42 clamp
	v_perm_b32 v41, v41, v44, s24
	v_lshl_or_b32 v41, v41, 16, v43
	v_dot4_i32_i8 v39, v40, v5, v39
	v_dot4_i32_i8 v40, v41, v28, v39
	v_lshrrev_b32_e32 v39, 31, v40
	v_add_u32_e32 v39, v40, v39
	v_lshrrev_b32_e32 v41, 28, v45
	v_ashrrev_i32_e32 v39, 1, v39
	v_mad_u64_u32 v[39:40], s[12:13], v40, v41, v[39:40]
	v_lshrrev_b32_e32 v40, 31, v39
	v_add_u32_e32 v39, v39, v40
	v_ashrrev_i32_e32 v39, 1, v39
	v_cvt_f32_i32_e32 v15, v39
	v_fmac_f32_e32 v19, v14, v15
	s_branch .LBB195_13
.LBB195_16:
	s_or_b64 exec, exec, s[14:15]
.LBB195_17:
	s_or_b64 exec, exec, s[18:19]
	s_load_dword s7, s[4:5], 0x30
	v_cmp_eq_u32_e64 s[10:11], 0, v1
	v_cmp_ne_u32_e32 vcc, 0, v1
	s_and_saveexec_b64 s[12:13], vcc
	s_cbranch_execz .LBB195_21
; %bb.18:
	s_and_b64 vcc, exec, s[16:17]
	s_cbranch_vccz .LBB195_20
; %bb.19:
	v_lshl_add_u32 v2, v1, 8, v16
	ds_write_b32 v2, v19
.LBB195_20:
	v_lshlrev_b32_e32 v1, 8, v1
	s_waitcnt lgkmcnt(0)
	s_movk_i32 s9, 0xff00
	v_add3_u32 v1, v1, v16, s9
	ds_write_b32 v1, v21
.LBB195_21:
	s_or_b64 exec, exec, s[12:13]
	s_waitcnt vmcnt(0) lgkmcnt(0)
	s_barrier
	s_and_saveexec_b64 s[12:13], s[10:11]
	s_cbranch_execz .LBB195_50
; %bb.22:
	ds_read_b32 v2, v16
	v_cmp_ne_u32_e64 s[10:11], 1, v20
	s_and_b64 vcc, exec, s[10:11]
	s_cbranch_vccnz .LBB195_24
; %bb.23:
	ds_read_b32 v1, v16 offset:256
	s_waitcnt lgkmcnt(0)
	v_add_f32_e32 v19, v19, v1
.LBB195_24:
	v_mbcnt_lo_u32_b32 v1, -1, 0
	v_mbcnt_hi_u32_b32 v3, -1, v1
	v_and_b32_e32 v1, 64, v3
	v_add_u32_e32 v4, 64, v1
	v_xor_b32_e32 v1, 32, v3
	v_cmp_lt_i32_e32 vcc, v1, v4
	v_cndmask_b32_e32 v1, v3, v1, vcc
	v_lshlrev_b32_e32 v1, 2, v1
	s_waitcnt lgkmcnt(0)
	v_add_f32_e32 v5, v21, v2
	ds_bpermute_b32 v6, v1, v5
	v_xor_b32_e32 v2, 16, v3
	v_cmp_lt_i32_e32 vcc, v2, v4
	v_cndmask_b32_e32 v2, v3, v2, vcc
	v_lshlrev_b32_e32 v2, 2, v2
	s_waitcnt lgkmcnt(0)
	v_add_f32_e32 v6, v5, v6
	ds_bpermute_b32 v7, v2, v6
	;; [unrolled: 7-line block ×6, first 2 shown]
	s_and_b64 vcc, exec, s[10:11]
	s_cbranch_vccnz .LBB195_26
; %bb.25:
	ds_bpermute_b32 v1, v1, v19
	s_waitcnt lgkmcnt(0)
	v_add_f32_e32 v1, v19, v1
	ds_bpermute_b32 v2, v2, v1
	s_waitcnt lgkmcnt(0)
	v_add_f32_e32 v1, v1, v2
	;; [unrolled: 3-line block ×6, first 2 shown]
.LBB195_26:
	v_cmp_eq_u32_e32 vcc, 0, v0
	s_and_b64 exec, exec, vcc
	s_cbranch_execz .LBB195_50
; %bb.27:
	s_waitcnt lgkmcnt(0)
	v_add_f32_e32 v0, v3, v4
	v_add_f32_e32 v1, v18, v0
	s_and_b64 vcc, exec, s[10:11]
	v_cndmask_b32_e64 v0, v0, v1, s[0:1]
	s_cbranch_vccnz .LBB195_49
; %bb.28:
	v_add_f32_e32 v1, v17, v19
	v_cndmask_b32_e64 v1, v19, v1, s[2:3]
	s_cmp_lt_i32 s7, 2
	s_mov_b64 s[0:1], 0
	s_cbranch_scc1 .LBB195_32
; %bb.29:
	s_cmp_gt_i32 s7, 2
	s_cbranch_scc0 .LBB195_33
; %bb.30:
	s_cmp_eq_u32 s7, 3
	s_cbranch_scc0 .LBB195_34
; %bb.31:
	v_max_f32_e32 v2, v1, v1
	v_min_f32_e32 v2, 0x40e00000, v2
	v_mul_f32_e32 v3, 0xbfd9db23, v2
	s_mov_b32 s2, 0x3fb8aa3b
	v_mul_f32_e32 v4, 0x3fb8aa3b, v3
	v_fma_f32 v5, v3, s2, -v4
	v_rndne_f32_e32 v6, v4
	v_fmac_f32_e32 v5, 0x32a5705f, v3
	v_sub_f32_e32 v4, v4, v6
	v_add_f32_e32 v4, v4, v5
	v_exp_f32_e32 v4, v4
	v_cvt_i32_f32_e32 v5, v6
	s_mov_b32 s2, 0xc2ce8ed0
	v_cmp_ngt_f32_e32 vcc, s2, v3
	s_mov_b32 s2, 0x42b17218
	v_ldexp_f32 v4, v4, v5
	v_cndmask_b32_e32 v4, 0, v4, vcc
	v_mov_b32_e32 v5, 0x7f800000
	v_cmp_nlt_f32_e32 vcc, s2, v3
	v_cndmask_b32_e32 v3, v5, v4, vcc
	v_add_f32_e32 v3, 1.0, v3
	v_div_scale_f32 v4, s[2:3], v3, v3, v2
	v_div_scale_f32 v5, vcc, v2, v3, v2
	s_mov_b64 s[2:3], 0
	v_rcp_f32_e32 v6, v4
	v_fma_f32 v7, -v4, v6, 1.0
	v_fmac_f32_e32 v6, v7, v6
	v_mul_f32_e32 v7, v5, v6
	v_fma_f32 v8, -v4, v7, v5
	v_fmac_f32_e32 v7, v8, v6
	v_fma_f32 v4, -v4, v7, v5
	v_div_fmas_f32 v4, v4, v6, v7
	v_max_f32_e32 v5, v0, v0
	v_min_f32_e32 v5, 0x40e00000, v5
	v_max_f32_e32 v5, 0xc0e00000, v5
	v_add_f32_e32 v5, 1.0, v5
	v_div_fixup_f32 v2, v4, v3, v2
	v_mul_f32_e32 v2, v5, v2
	s_branch .LBB195_35
.LBB195_32:
                                        ; implicit-def: $vgpr2
	s_mov_b64 s[2:3], 0
	s_cbranch_execnz .LBB195_39
	s_branch .LBB195_40
.LBB195_33:
	s_mov_b64 s[10:11], -1
	s_mov_b64 s[2:3], 0
                                        ; implicit-def: $vgpr2
	s_branch .LBB195_36
.LBB195_34:
	s_mov_b64 s[2:3], -1
                                        ; implicit-def: $vgpr2
.LBB195_35:
	s_mov_b64 s[10:11], 0
.LBB195_36:
	s_and_b64 vcc, exec, s[10:11]
	s_cbranch_vccz .LBB195_38
; %bb.37:
	v_mul_f32_e32 v2, 0xbfb8aa3b, v1
	s_mov_b32 s9, 0xbfb8aa3b
	v_rndne_f32_e32 v3, v2
	v_sub_f32_e32 v4, v2, v3
	v_fma_f32 v2, v1, s9, -v2
	v_fmac_f32_e32 v2, 0xb2a5705f, v1
	v_add_f32_e32 v2, v4, v2
	v_exp_f32_e32 v2, v2
	v_cvt_i32_f32_e32 v3, v3
	s_mov_b32 s9, 0x42ce8ed0
	v_cmp_nlt_f32_e32 vcc, s9, v1
	s_mov_b32 s9, 0xc2b17218
	v_ldexp_f32 v2, v2, v3
	v_cndmask_b32_e32 v2, 0, v2, vcc
	v_mov_b32_e32 v3, 0x7f800000
	v_cmp_ngt_f32_e32 vcc, s9, v1
	v_cndmask_b32_e32 v2, v3, v2, vcc
	v_add_f32_e32 v2, 1.0, v2
	v_div_scale_f32 v3, s[10:11], v2, v2, v1
	v_div_scale_f32 v4, vcc, v1, v2, v1
	v_rcp_f32_e32 v5, v3
	v_fma_f32 v6, -v3, v5, 1.0
	v_fmac_f32_e32 v5, v6, v5
	v_mul_f32_e32 v6, v4, v5
	v_fma_f32 v7, -v3, v6, v4
	v_fmac_f32_e32 v6, v7, v5
	v_fma_f32 v3, -v3, v6, v4
	v_div_fmas_f32 v3, v3, v5, v6
	v_div_fixup_f32 v2, v3, v2, v1
	v_mul_f32_e32 v2, v0, v2
.LBB195_38:
	s_branch .LBB195_40
.LBB195_39:
	s_cmp_lg_u32 s7, 1
	s_mov_b64 s[0:1], -1
	s_cselect_b64 s[2:3], -1, 0
.LBB195_40:
	s_andn2_b64 vcc, exec, s[2:3]
	s_cbranch_vccz .LBB195_42
; %bb.41:
	s_andn2_b64 vcc, exec, s[0:1]
	s_cbranch_vccz .LBB195_43
	s_branch .LBB195_48
.LBB195_42:
	v_mul_f32_e32 v2, v1, v0
	s_cbranch_execnz .LBB195_48
.LBB195_43:
	v_mul_f32_e32 v3, 0x3d372713, v1
	v_mul_f32_e32 v2, 0x3f4c422a, v1
	v_fma_f32 v3, v1, v3, 1.0
	v_mul_f32_e32 v2, v2, v3
	s_mov_b32 s0, 0x3f200000
	v_cmp_nlt_f32_e64 s[0:1], |v2|, s0
                                        ; implicit-def: $vgpr3
	s_and_saveexec_b64 s[2:3], s[0:1]
	s_xor_b64 s[0:1], exec, s[2:3]
	s_cbranch_execz .LBB195_45
; %bb.44:
	v_add_f32_e64 v3, |v2|, |v2|
	v_mul_f32_e32 v4, 0x3fb8aa3b, v3
	s_mov_b32 s2, 0x3fb8aa3b
	v_rndne_f32_e32 v5, v4
	v_sub_f32_e32 v6, v4, v5
	v_fma_f32 v4, v3, s2, -v4
	v_fmac_f32_e32 v4, 0x32a5705f, v3
	v_add_f32_e32 v4, v6, v4
	v_exp_f32_e32 v4, v4
	v_cvt_i32_f32_e32 v5, v5
	s_mov_b32 s2, 0xc2ce8ed0
	v_cmp_ngt_f32_e32 vcc, s2, v3
	s_mov_b32 s2, 0x42b17218
	v_ldexp_f32 v4, v4, v5
	v_cndmask_b32_e32 v4, 0, v4, vcc
	v_mov_b32_e32 v5, 0x7f800000
	v_cmp_nlt_f32_e32 vcc, s2, v3
	v_cndmask_b32_e32 v3, v5, v4, vcc
	v_add_f32_e32 v3, 1.0, v3
	v_rcp_f32_e32 v3, v3
	v_fma_f32 v3, v3, -2.0, 1.0
.LBB195_45:
	s_andn2_saveexec_b64 s[0:1], s[0:1]
	s_cbranch_execz .LBB195_47
; %bb.46:
	v_mul_f32_e32 v3, v2, v2
	v_mov_b32_e32 v4, 0x3ca908c9
	v_fmac_f32_e32 v4, 0xbbbac73d, v3
	v_mov_b32_e32 v5, 0xbd5c1c4e
	v_fmac_f32_e32 v5, v3, v4
	;; [unrolled: 2-line block ×4, first 2 shown]
	v_mul_f32_e64 v4, |v2|, v5
	v_fma_f32 v3, v3, v4, |v2|
.LBB195_47:
	s_or_b64 exec, exec, s[0:1]
	s_brev_b32 s0, -2
	v_bfi_b32 v2, s0, v3, v2
	v_mul_f32_e32 v1, 0.5, v1
	v_add_f32_e32 v2, 1.0, v2
	v_mul_f32_e32 v1, v1, v2
	v_mul_f32_e32 v2, v0, v1
.LBB195_48:
	v_mov_b32_e32 v0, v2
.LBB195_49:
	s_load_dwordx2 s[0:1], s[4:5], 0x38
	s_mul_i32 s3, s22, s34
	s_mul_i32 s2, s26, s8
	s_add_i32 s3, s3, s6
	s_add_i32 s2, s3, s2
	s_mov_b32 s3, 0
	s_lshl_b64 s[2:3], s[2:3], 2
	s_waitcnt lgkmcnt(0)
	s_add_u32 s0, s0, s2
	s_addc_u32 s1, s1, s3
	global_store_dword v16, v0, s[0:1]
.LBB195_50:
	s_endpgm
	.section	.rodata,"a",@progbits
	.p2align	6, 0x0
	.amdhsa_kernel _ZL13mul_mat_vec_qIL9ggml_type18ELi1ELb1ELb0EEvPKvS2_PKi31ggml_cuda_mm_fusion_args_devicePfj15HIP_vector_typeIjLj3EEjjjS8_jjjS8_jjjj
		.amdhsa_group_segment_fixed_size 512
		.amdhsa_private_segment_fixed_size 0
		.amdhsa_kernarg_size 144
		.amdhsa_user_sgpr_count 6
		.amdhsa_user_sgpr_private_segment_buffer 1
		.amdhsa_user_sgpr_dispatch_ptr 0
		.amdhsa_user_sgpr_queue_ptr 0
		.amdhsa_user_sgpr_kernarg_segment_ptr 1
		.amdhsa_user_sgpr_dispatch_id 0
		.amdhsa_user_sgpr_flat_scratch_init 0
		.amdhsa_user_sgpr_private_segment_size 0
		.amdhsa_uses_dynamic_stack 0
		.amdhsa_system_sgpr_private_segment_wavefront_offset 0
		.amdhsa_system_sgpr_workgroup_id_x 1
		.amdhsa_system_sgpr_workgroup_id_y 1
		.amdhsa_system_sgpr_workgroup_id_z 1
		.amdhsa_system_sgpr_workgroup_info 0
		.amdhsa_system_vgpr_workitem_id 1
		.amdhsa_next_free_vgpr 51
		.amdhsa_next_free_sgpr 42
		.amdhsa_reserve_vcc 1
		.amdhsa_reserve_flat_scratch 0
		.amdhsa_float_round_mode_32 0
		.amdhsa_float_round_mode_16_64 0
		.amdhsa_float_denorm_mode_32 3
		.amdhsa_float_denorm_mode_16_64 3
		.amdhsa_dx10_clamp 1
		.amdhsa_ieee_mode 1
		.amdhsa_fp16_overflow 0
		.amdhsa_exception_fp_ieee_invalid_op 0
		.amdhsa_exception_fp_denorm_src 0
		.amdhsa_exception_fp_ieee_div_zero 0
		.amdhsa_exception_fp_ieee_overflow 0
		.amdhsa_exception_fp_ieee_underflow 0
		.amdhsa_exception_fp_ieee_inexact 0
		.amdhsa_exception_int_div_zero 0
	.end_amdhsa_kernel
	.section	.text._ZL13mul_mat_vec_qIL9ggml_type18ELi1ELb1ELb0EEvPKvS2_PKi31ggml_cuda_mm_fusion_args_devicePfj15HIP_vector_typeIjLj3EEjjjS8_jjjS8_jjjj,"axG",@progbits,_ZL13mul_mat_vec_qIL9ggml_type18ELi1ELb1ELb0EEvPKvS2_PKi31ggml_cuda_mm_fusion_args_devicePfj15HIP_vector_typeIjLj3EEjjjS8_jjjS8_jjjj,comdat
.Lfunc_end195:
	.size	_ZL13mul_mat_vec_qIL9ggml_type18ELi1ELb1ELb0EEvPKvS2_PKi31ggml_cuda_mm_fusion_args_devicePfj15HIP_vector_typeIjLj3EEjjjS8_jjjS8_jjjj, .Lfunc_end195-_ZL13mul_mat_vec_qIL9ggml_type18ELi1ELb1ELb0EEvPKvS2_PKi31ggml_cuda_mm_fusion_args_devicePfj15HIP_vector_typeIjLj3EEjjjS8_jjjS8_jjjj
                                        ; -- End function
	.set _ZL13mul_mat_vec_qIL9ggml_type18ELi1ELb1ELb0EEvPKvS2_PKi31ggml_cuda_mm_fusion_args_devicePfj15HIP_vector_typeIjLj3EEjjjS8_jjjS8_jjjj.num_vgpr, 51
	.set _ZL13mul_mat_vec_qIL9ggml_type18ELi1ELb1ELb0EEvPKvS2_PKi31ggml_cuda_mm_fusion_args_devicePfj15HIP_vector_typeIjLj3EEjjjS8_jjjS8_jjjj.num_agpr, 0
	.set _ZL13mul_mat_vec_qIL9ggml_type18ELi1ELb1ELb0EEvPKvS2_PKi31ggml_cuda_mm_fusion_args_devicePfj15HIP_vector_typeIjLj3EEjjjS8_jjjS8_jjjj.numbered_sgpr, 42
	.set _ZL13mul_mat_vec_qIL9ggml_type18ELi1ELb1ELb0EEvPKvS2_PKi31ggml_cuda_mm_fusion_args_devicePfj15HIP_vector_typeIjLj3EEjjjS8_jjjS8_jjjj.num_named_barrier, 0
	.set _ZL13mul_mat_vec_qIL9ggml_type18ELi1ELb1ELb0EEvPKvS2_PKi31ggml_cuda_mm_fusion_args_devicePfj15HIP_vector_typeIjLj3EEjjjS8_jjjS8_jjjj.private_seg_size, 0
	.set _ZL13mul_mat_vec_qIL9ggml_type18ELi1ELb1ELb0EEvPKvS2_PKi31ggml_cuda_mm_fusion_args_devicePfj15HIP_vector_typeIjLj3EEjjjS8_jjjS8_jjjj.uses_vcc, 1
	.set _ZL13mul_mat_vec_qIL9ggml_type18ELi1ELb1ELb0EEvPKvS2_PKi31ggml_cuda_mm_fusion_args_devicePfj15HIP_vector_typeIjLj3EEjjjS8_jjjS8_jjjj.uses_flat_scratch, 0
	.set _ZL13mul_mat_vec_qIL9ggml_type18ELi1ELb1ELb0EEvPKvS2_PKi31ggml_cuda_mm_fusion_args_devicePfj15HIP_vector_typeIjLj3EEjjjS8_jjjS8_jjjj.has_dyn_sized_stack, 0
	.set _ZL13mul_mat_vec_qIL9ggml_type18ELi1ELb1ELb0EEvPKvS2_PKi31ggml_cuda_mm_fusion_args_devicePfj15HIP_vector_typeIjLj3EEjjjS8_jjjS8_jjjj.has_recursion, 0
	.set _ZL13mul_mat_vec_qIL9ggml_type18ELi1ELb1ELb0EEvPKvS2_PKi31ggml_cuda_mm_fusion_args_devicePfj15HIP_vector_typeIjLj3EEjjjS8_jjjS8_jjjj.has_indirect_call, 0
	.section	.AMDGPU.csdata,"",@progbits
; Kernel info:
; codeLenInByte = 6160
; TotalNumSgprs: 46
; NumVgprs: 51
; ScratchSize: 0
; MemoryBound: 0
; FloatMode: 240
; IeeeMode: 1
; LDSByteSize: 512 bytes/workgroup (compile time only)
; SGPRBlocks: 5
; VGPRBlocks: 12
; NumSGPRsForWavesPerEU: 46
; NumVGPRsForWavesPerEU: 51
; Occupancy: 4
; WaveLimiterHint : 0
; COMPUTE_PGM_RSRC2:SCRATCH_EN: 0
; COMPUTE_PGM_RSRC2:USER_SGPR: 6
; COMPUTE_PGM_RSRC2:TRAP_HANDLER: 0
; COMPUTE_PGM_RSRC2:TGID_X_EN: 1
; COMPUTE_PGM_RSRC2:TGID_Y_EN: 1
; COMPUTE_PGM_RSRC2:TGID_Z_EN: 1
; COMPUTE_PGM_RSRC2:TIDIG_COMP_CNT: 1
	.section	.text._ZL13mul_mat_vec_qIL9ggml_type18ELi1ELb0ELb0EEvPKvS2_PKi31ggml_cuda_mm_fusion_args_devicePfj15HIP_vector_typeIjLj3EEjjjS8_jjjS8_jjjj,"axG",@progbits,_ZL13mul_mat_vec_qIL9ggml_type18ELi1ELb0ELb0EEvPKvS2_PKi31ggml_cuda_mm_fusion_args_devicePfj15HIP_vector_typeIjLj3EEjjjS8_jjjS8_jjjj,comdat
	.globl	_ZL13mul_mat_vec_qIL9ggml_type18ELi1ELb0ELb0EEvPKvS2_PKi31ggml_cuda_mm_fusion_args_devicePfj15HIP_vector_typeIjLj3EEjjjS8_jjjS8_jjjj ; -- Begin function _ZL13mul_mat_vec_qIL9ggml_type18ELi1ELb0ELb0EEvPKvS2_PKi31ggml_cuda_mm_fusion_args_devicePfj15HIP_vector_typeIjLj3EEjjjS8_jjjS8_jjjj
	.p2align	8
	.type	_ZL13mul_mat_vec_qIL9ggml_type18ELi1ELb0ELb0EEvPKvS2_PKi31ggml_cuda_mm_fusion_args_devicePfj15HIP_vector_typeIjLj3EEjjjS8_jjjS8_jjjj,@function
_ZL13mul_mat_vec_qIL9ggml_type18ELi1ELb0ELb0EEvPKvS2_PKi31ggml_cuda_mm_fusion_args_devicePfj15HIP_vector_typeIjLj3EEjjjS8_jjjS8_jjjj: ; @_ZL13mul_mat_vec_qIL9ggml_type18ELi1ELb0ELb0EEvPKvS2_PKi31ggml_cuda_mm_fusion_args_devicePfj15HIP_vector_typeIjLj3EEjjjS8_jjjS8_jjjj
; %bb.0:
	s_load_dwordx2 s[0:1], s[4:5], 0x10
	s_load_dwordx4 s[16:19], s[4:5], 0x40
	s_mov_b32 s10, s7
	s_mov_b64 s[14:15], 0
	s_waitcnt lgkmcnt(0)
	s_cmp_lg_u64 s[0:1], 0
	s_cselect_b64 s[12:13], -1, 0
	s_cmp_eq_u64 s[0:1], 0
	s_cbranch_scc1 .LBB196_5
; %bb.1:
	s_mov_b32 s11, 0
	s_lshl_b64 s[2:3], s[10:11], 2
	s_add_u32 s0, s0, s2
	s_addc_u32 s1, s1, s3
	s_load_dword s9, s[0:1], 0x0
	s_nop 0
	s_load_dwordx4 s[0:3], s[4:5], 0x68
	s_load_dword s11, s[4:5], 0x50
	s_andn2_b64 vcc, exec, s[14:15]
	s_cbranch_vccnz .LBB196_3
.LBB196_2:
	s_load_dwordx2 s[14:15], s[4:5], 0x5c
	s_waitcnt lgkmcnt(0)
	s_mul_hi_u32 s7, s14, s10
	s_add_i32 s7, s10, s7
	s_lshr_b32 s9, s7, s15
.LBB196_3:
	s_load_dword s20, s[4:5], 0x78
	s_andn2_b64 vcc, exec, s[12:13]
	s_cbranch_vccnz .LBB196_6
; %bb.4:
	s_mul_hi_u32 s7, s17, s10
	s_add_i32 s7, s10, s7
	s_lshr_b32 s7, s7, s18
	s_mul_i32 s7, s7, s19
	s_sub_i32 s18, s10, s7
	s_branch .LBB196_7
.LBB196_5:
                                        ; implicit-def: $sgpr9
	s_load_dwordx4 s[0:3], s[4:5], 0x68
	s_load_dword s11, s[4:5], 0x50
	s_branch .LBB196_2
.LBB196_6:
	s_mov_b32 s18, s10
.LBB196_7:
	s_load_dwordx4 s[12:15], s[4:5], 0x80
	v_lshl_add_u32 v2, v1, 6, v0
	s_lshr_b32 s7, s16, 8
	v_lshrrev_b32_e32 v13, 3, v2
	v_cmp_gt_u32_e32 vcc, s7, v13
	v_mov_b32_e32 v12, 0
	s_and_saveexec_b64 s[16:17], vcc
	s_cbranch_execz .LBB196_11
; %bb.8:
	s_waitcnt lgkmcnt(0)
	s_mul_i32 s9, s9, s0
	s_mul_hi_u32 s0, s3, s8
	s_add_i32 s0, s8, s0
	s_lshr_b32 s0, s0, s20
	s_mul_i32 s3, s0, s12
	s_mul_i32 s0, s18, s1
	v_lshlrev_b32_e32 v3, 1, v0
	s_mul_hi_u32 s1, s0, 36
	s_mul_i32 s0, s0, 36
	v_and_b32_e32 v4, 14, v3
	v_lshrrev_b32_e32 v5, 3, v2
	v_mov_b32_e32 v2, s0
	v_mov_b32_e32 v3, s1
	s_movk_i32 s0, 0x120
	v_mad_u64_u32 v[2:3], s[0:1], v5, s0, v[2:3]
	s_mul_i32 s12, s13, s8
	s_load_dwordx4 s[24:27], s[4:5], 0x0
	v_mad_u64_u32 v[2:3], s[0:1], s12, 36, v[2:3]
	v_and_b32_e32 v6, 7, v0
	s_mul_i32 s11, s11, s6
	v_mad_u64_u32 v[2:3], s[0:1], v6, 36, v[2:3]
	s_waitcnt lgkmcnt(0)
	v_mov_b32_e32 v6, s27
	s_add_i32 s3, s3, s11
	v_add_co_u32_e32 v2, vcc, s26, v2
	v_addc_co_u32_e32 v3, vcc, v6, v3, vcc
	v_lshlrev_b32_e32 v5, 1, v4
	v_add_co_u32_e32 v6, vcc, 32, v2
	v_mov_b32_e32 v8, s24
	s_add_i32 s3, s9, s3
	v_mov_b32_e32 v14, 0
	v_addc_co_u32_e32 v7, vcc, 0, v3, vcc
	s_mov_b64 s[0:1], 0
	s_movk_i32 s9, 0x62
	v_mov_b32_e32 v9, s25
	v_lshlrev_b32_e32 v15, 1, v5
	v_lshlrev_b32_e32 v16, 1, v4
	s_mov_b32 s11, 0x1010101
	s_movk_i32 s15, 0xff00
	s_mov_b32 s18, 0xc0c0105
	v_mov_b32_e32 v17, 2
	v_mov_b32_e32 v18, 8
	;; [unrolled: 1-line block ×3, first 2 shown]
.LBB196_9:                              ; =>This Inner Loop Header: Depth=1
	v_add_u32_e32 v2, s3, v13
	v_mad_i64_i32 v[10:11], s[12:13], v2, s9, v[8:9]
	s_getpc_b64 s[12:13]
	s_add_u32 s12, s12, _ZL11iq3xxs_grid@rel32@lo+4
	s_addc_u32 s13, s13, _ZL11iq3xxs_grid@rel32@hi+12
	v_add_u32_e32 v13, 16, v13
	v_add_co_u32_e32 v2, vcc, v10, v15
	v_addc_co_u32_e32 v3, vcc, 0, v11, vcc
	global_load_dwordx2 v[23:24], v[2:3], off offset:2
	v_add_co_u32_e32 v2, vcc, v10, v16
	v_addc_co_u32_e32 v3, vcc, 0, v11, vcc
	global_load_dword v25, v[2:3], off offset:66
	s_waitcnt vmcnt(1)
	v_lshlrev_b32_sdwa v2, v17, v23 dst_sel:DWORD dst_unused:UNUSED_PAD src0_sel:DWORD src1_sel:BYTE_0
	global_load_dword v2, v2, s[12:13]
	v_lshlrev_b32_sdwa v3, v17, v23 dst_sel:DWORD dst_unused:UNUSED_PAD src0_sel:DWORD src1_sel:BYTE_1
	global_load_dword v26, v3, s[12:13]
	s_waitcnt vmcnt(2)
	v_and_b32_e32 v3, 0xff, v25
	v_bcnt_u32_b32 v4, v3, 0
	v_and_b32_e32 v4, 1, v4
	v_lshlrev_b32_e32 v4, 7, v4
	v_xor_b32_e32 v3, v4, v3
	v_mul_lo_u32 v27, v3, s11
	v_and_b32_e32 v3, 0x8040201, v27
	v_cmp_ne_u16_sdwa s[20:21], v3, v14 src0_sel:BYTE_3 src1_sel:DWORD
	v_cmp_ne_u16_sdwa s[22:23], v3, v14 src0_sel:BYTE_1 src1_sel:DWORD
	v_lshrrev_b32_e32 v4, 18, v27
	v_cndmask_b32_e64 v5, 0, -1, s[22:23]
	v_cndmask_b32_e64 v20, 0, -1, s[20:21]
	v_bfe_i32 v3, v27, 0, 1
	v_lshlrev_b16_e32 v5, 8, v5
	v_bfe_i32 v4, v4, 0, 1
	v_lshlrev_b16_e32 v20, 8, v20
	v_or_b32_sdwa v19, v3, v5 dst_sel:DWORD dst_unused:UNUSED_PAD src0_sel:BYTE_0 src1_sel:DWORD
	v_or_b32_sdwa v21, v4, v20 dst_sel:WORD_1 dst_unused:UNUSED_PAD src0_sel:BYTE_0 src1_sel:DWORD
	v_or_b32_sdwa v19, v19, v21 dst_sel:DWORD dst_unused:UNUSED_PAD src0_sel:WORD_0 src1_sel:DWORD
	v_lshlrev_b16_e32 v3, 8, v3
	v_lshlrev_b16_e32 v4, 8, v4
	v_and_b32_e32 v30, 0x80402010, v27
	v_cmp_ne_u16_sdwa s[20:21], v30, v14 src0_sel:BYTE_3 src1_sel:DWORD
	v_cmp_ne_u16_sdwa s[22:23], v30, v14 src0_sel:BYTE_1 src1_sel:DWORD
	v_lshrrev_b32_e32 v27, 22, v27
	v_lshrrev_b16_e32 v30, 4, v30
	v_cndmask_b32_e64 v31, 0, -1, s[22:23]
	v_cndmask_b32_e64 v33, 0, -1, s[20:21]
	v_bfe_i32 v30, v30, 0, 1
	v_lshlrev_b16_e32 v31, 8, v31
	v_bfe_i32 v27, v27, 0, 1
	v_lshlrev_b16_e32 v33, 8, v33
	v_or_b32_sdwa v32, v30, v31 dst_sel:DWORD dst_unused:UNUSED_PAD src0_sel:BYTE_0 src1_sel:DWORD
	v_or_b32_sdwa v34, v27, v33 dst_sel:WORD_1 dst_unused:UNUSED_PAD src0_sel:BYTE_0 src1_sel:DWORD
	v_or_b32_sdwa v32, v32, v34 dst_sel:DWORD dst_unused:UNUSED_PAD src0_sel:WORD_0 src1_sel:DWORD
	v_lshlrev_b16_e32 v30, 8, v30
	v_lshlrev_b16_e32 v27, 8, v27
	s_waitcnt vmcnt(1)
	v_xor_b32_e32 v2, v2, v19
	v_and_b32_e32 v19, 0xffffff00, v2
	v_sub_i16 v5, v19, v5 clamp
	v_lshlrev_b16_e32 v19, 8, v2
	v_sub_i16 v3, v19, v3 clamp
	v_perm_b32 v3, v3, v5, s18
	v_and_b32_sdwa v5, v2, s15 dst_sel:DWORD dst_unused:UNUSED_PAD src0_sel:WORD_1 src1_sel:DWORD
	v_lshlrev_b16_sdwa v2, v18, v2 dst_sel:DWORD dst_unused:UNUSED_PAD src0_sel:DWORD src1_sel:WORD_1
	v_sub_i16 v5, v5, v20 clamp
	v_sub_i16 v2, v2, v4 clamp
	v_perm_b32 v2, v2, v5, s18
	v_lshl_or_b32 v28, v2, 16, v3
	global_load_dwordx4 v[2:5], v[6:7], off offset:-32
	global_load_dword v29, v[6:7], off
	global_load_dwordx4 v[19:22], v[6:7], off offset:-16
	s_waitcnt vmcnt(3)
	v_xor_b32_e32 v26, v26, v32
	v_and_b32_e32 v32, 0xffffff00, v26
	v_sub_i16 v31, v32, v31 clamp
	v_lshlrev_b16_e32 v32, 8, v26
	v_sub_i16 v30, v32, v30 clamp
	v_perm_b32 v30, v30, v31, s18
	v_and_b32_sdwa v31, v26, s15 dst_sel:DWORD dst_unused:UNUSED_PAD src0_sel:WORD_1 src1_sel:DWORD
	v_lshlrev_b16_sdwa v26, v18, v26 dst_sel:DWORD dst_unused:UNUSED_PAD src0_sel:DWORD src1_sel:WORD_1
	v_sub_i16 v31, v31, v33 clamp
	v_sub_i16 v26, v26, v27 clamp
	v_perm_b32 v26, v26, v31, s18
	v_lshl_or_b32 v26, v26, 16, v30
	v_add_co_u32_e32 v6, vcc, 0x1200, v6
	v_addc_co_u32_e32 v7, vcc, 0, v7, vcc
	v_cmp_le_u32_e32 vcc, s7, v13
	s_or_b64 s[0:1], vcc, s[0:1]
	s_waitcnt vmcnt(2)
	v_dot4_i32_i8 v3, v28, v3, 0
	v_dot4_i32_i8 v3, v26, v4, v3
	v_lshlrev_b32_sdwa v4, v17, v23 dst_sel:DWORD dst_unused:UNUSED_PAD src0_sel:DWORD src1_sel:BYTE_2
	global_load_dword v4, v4, s[12:13]
	v_lshlrev_b32_sdwa v23, v17, v23 dst_sel:DWORD dst_unused:UNUSED_PAD src0_sel:DWORD src1_sel:BYTE_3
	v_bfe_u32 v26, v25, 7, 8
	global_load_dword v23, v23, s[12:13]
	v_bcnt_u32_b32 v27, v26, 0
	v_and_b32_e32 v27, 1, v27
	v_lshlrev_b32_e32 v27, 7, v27
	v_xor_b32_e32 v26, v27, v26
	v_mul_lo_u32 v26, v26, s11
	v_cvt_f32_f16_e32 v2, v2
	v_and_b32_e32 v27, 0x8040201, v26
	v_cmp_ne_u16_sdwa s[20:21], v27, v14 src0_sel:BYTE_3 src1_sel:DWORD
	v_cmp_ne_u16_sdwa s[22:23], v27, v14 src0_sel:BYTE_1 src1_sel:DWORD
	v_lshrrev_b32_e32 v28, 18, v26
	v_cndmask_b32_e64 v30, 0, -1, s[22:23]
	v_cndmask_b32_e64 v32, 0, -1, s[20:21]
	v_bfe_i32 v27, v26, 0, 1
	v_lshlrev_b16_e32 v30, 8, v30
	v_bfe_i32 v28, v28, 0, 1
	v_lshlrev_b16_e32 v32, 8, v32
	v_or_b32_sdwa v31, v27, v30 dst_sel:DWORD dst_unused:UNUSED_PAD src0_sel:BYTE_0 src1_sel:DWORD
	v_or_b32_sdwa v33, v28, v32 dst_sel:WORD_1 dst_unused:UNUSED_PAD src0_sel:BYTE_0 src1_sel:DWORD
	v_or_b32_sdwa v31, v31, v33 dst_sel:DWORD dst_unused:UNUSED_PAD src0_sel:WORD_0 src1_sel:DWORD
	v_lshlrev_b16_e32 v27, 8, v27
	v_lshlrev_b16_e32 v28, 8, v28
	s_waitcnt vmcnt(1)
	v_xor_b32_e32 v4, v4, v31
	v_and_b32_e32 v31, 0xffffff00, v4
	v_sub_i16 v30, v31, v30 clamp
	v_lshlrev_b16_e32 v31, 8, v4
	v_sub_i16 v27, v31, v27 clamp
	v_perm_b32 v27, v27, v30, s18
	v_and_b32_sdwa v30, v4, s15 dst_sel:DWORD dst_unused:UNUSED_PAD src0_sel:WORD_1 src1_sel:DWORD
	v_lshlrev_b16_sdwa v4, v18, v4 dst_sel:DWORD dst_unused:UNUSED_PAD src0_sel:DWORD src1_sel:WORD_1
	v_sub_i16 v30, v30, v32 clamp
	v_sub_i16 v4, v4, v28 clamp
	v_perm_b32 v4, v4, v30, s18
	v_lshl_or_b32 v4, v4, 16, v27
	v_dot4_i32_i8 v3, v4, v5, v3
	v_lshlrev_b32_sdwa v4, v17, v24 dst_sel:DWORD dst_unused:UNUSED_PAD src0_sel:DWORD src1_sel:BYTE_0
	global_load_dword v4, v4, s[12:13]
	v_lshlrev_b32_sdwa v5, v17, v24 dst_sel:DWORD dst_unused:UNUSED_PAD src0_sel:DWORD src1_sel:BYTE_1
	global_load_dword v5, v5, s[12:13]
	v_and_b32_e32 v27, 0x80402010, v26
	v_cmp_ne_u16_sdwa s[20:21], v27, v14 src0_sel:BYTE_3 src1_sel:DWORD
	v_cmp_ne_u16_sdwa s[22:23], v27, v14 src0_sel:BYTE_1 src1_sel:DWORD
	v_lshrrev_b32_e32 v26, 22, v26
	v_lshrrev_b16_e32 v27, 4, v27
	v_cndmask_b32_e64 v28, 0, -1, s[22:23]
	v_cndmask_b32_e64 v31, 0, -1, s[20:21]
	v_bfe_i32 v27, v27, 0, 1
	v_lshlrev_b16_e32 v28, 8, v28
	v_bfe_i32 v26, v26, 0, 1
	v_lshlrev_b16_e32 v31, 8, v31
	v_or_b32_sdwa v30, v27, v28 dst_sel:DWORD dst_unused:UNUSED_PAD src0_sel:BYTE_0 src1_sel:DWORD
	v_or_b32_sdwa v32, v26, v31 dst_sel:WORD_1 dst_unused:UNUSED_PAD src0_sel:BYTE_0 src1_sel:DWORD
	v_or_b32_sdwa v30, v30, v32 dst_sel:DWORD dst_unused:UNUSED_PAD src0_sel:WORD_0 src1_sel:DWORD
	s_waitcnt vmcnt(2)
	v_xor_b32_e32 v23, v23, v30
	v_and_b32_e32 v30, 0xffffff00, v23
	v_sub_i16 v28, v30, v28 clamp
	v_lshlrev_b16_e32 v30, 8, v23
	v_lshlrev_b16_e32 v27, 8, v27
	v_sub_i16 v27, v30, v27 clamp
	v_perm_b32 v27, v27, v28, s18
	v_and_b32_sdwa v28, v23, s15 dst_sel:DWORD dst_unused:UNUSED_PAD src0_sel:WORD_1 src1_sel:DWORD
	v_lshlrev_b16_sdwa v23, v18, v23 dst_sel:DWORD dst_unused:UNUSED_PAD src0_sel:DWORD src1_sel:WORD_1
	v_lshlrev_b16_e32 v26, 8, v26
	v_sub_i16 v28, v28, v31 clamp
	v_sub_i16 v23, v23, v26 clamp
	v_perm_b32 v23, v23, v28, s18
	v_lshl_or_b32 v23, v23, 16, v27
	v_dot4_i32_i8 v3, v23, v19, v3
	v_bfe_u32 v19, v25, 14, 8
	v_bcnt_u32_b32 v23, v19, 0
	v_and_b32_e32 v23, 1, v23
	v_lshlrev_b32_e32 v23, 7, v23
	v_xor_b32_e32 v19, v23, v19
	v_mul_lo_u32 v19, v19, s11
	v_and_b32_e32 v23, 0x8040201, v19
	v_cmp_ne_u16_sdwa s[20:21], v23, v14 src0_sel:BYTE_3 src1_sel:DWORD
	v_cmp_ne_u16_sdwa s[22:23], v23, v14 src0_sel:BYTE_1 src1_sel:DWORD
	v_lshrrev_b32_e32 v26, 18, v19
	v_cndmask_b32_e64 v27, 0, -1, s[22:23]
	v_cndmask_b32_e64 v30, 0, -1, s[20:21]
	v_bfe_i32 v23, v19, 0, 1
	v_lshlrev_b16_e32 v27, 8, v27
	v_bfe_i32 v26, v26, 0, 1
	v_lshlrev_b16_e32 v30, 8, v30
	v_or_b32_sdwa v28, v23, v27 dst_sel:DWORD dst_unused:UNUSED_PAD src0_sel:BYTE_0 src1_sel:DWORD
	v_or_b32_sdwa v31, v26, v30 dst_sel:WORD_1 dst_unused:UNUSED_PAD src0_sel:BYTE_0 src1_sel:DWORD
	v_or_b32_sdwa v28, v28, v31 dst_sel:DWORD dst_unused:UNUSED_PAD src0_sel:WORD_0 src1_sel:DWORD
	v_lshlrev_b16_e32 v23, 8, v23
	v_lshlrev_b16_e32 v26, 8, v26
	s_waitcnt vmcnt(1)
	v_xor_b32_e32 v4, v4, v28
	v_and_b32_e32 v28, 0xffffff00, v4
	v_sub_i16 v27, v28, v27 clamp
	v_lshlrev_b16_e32 v28, 8, v4
	v_sub_i16 v23, v28, v23 clamp
	v_perm_b32 v23, v23, v27, s18
	v_and_b32_sdwa v27, v4, s15 dst_sel:DWORD dst_unused:UNUSED_PAD src0_sel:WORD_1 src1_sel:DWORD
	v_lshlrev_b16_sdwa v4, v18, v4 dst_sel:DWORD dst_unused:UNUSED_PAD src0_sel:DWORD src1_sel:WORD_1
	v_sub_i16 v27, v27, v30 clamp
	v_sub_i16 v4, v4, v26 clamp
	v_perm_b32 v4, v4, v27, s18
	v_lshl_or_b32 v4, v4, 16, v23
	v_and_b32_e32 v23, 0x80402010, v19
	v_cmp_ne_u16_sdwa s[20:21], v23, v14 src0_sel:BYTE_3 src1_sel:DWORD
	v_cmp_ne_u16_sdwa s[22:23], v23, v14 src0_sel:BYTE_1 src1_sel:DWORD
	v_dot4_i32_i8 v3, v4, v20, v3
	v_lshlrev_b32_sdwa v4, v17, v24 dst_sel:DWORD dst_unused:UNUSED_PAD src0_sel:DWORD src1_sel:BYTE_2
	v_lshrrev_b32_e32 v19, 22, v19
	v_lshrrev_b16_e32 v23, 4, v23
	v_cndmask_b32_e64 v26, 0, -1, s[22:23]
	v_cndmask_b32_e64 v28, 0, -1, s[20:21]
	global_load_dword v4, v4, s[12:13]
	v_bfe_i32 v23, v23, 0, 1
	v_lshlrev_b16_e32 v26, 8, v26
	v_bfe_i32 v19, v19, 0, 1
	v_lshlrev_b16_e32 v28, 8, v28
	v_or_b32_sdwa v27, v23, v26 dst_sel:DWORD dst_unused:UNUSED_PAD src0_sel:BYTE_0 src1_sel:DWORD
	v_or_b32_sdwa v30, v19, v28 dst_sel:WORD_1 dst_unused:UNUSED_PAD src0_sel:BYTE_0 src1_sel:DWORD
	v_or_b32_sdwa v27, v27, v30 dst_sel:DWORD dst_unused:UNUSED_PAD src0_sel:WORD_0 src1_sel:DWORD
	s_waitcnt vmcnt(1)
	v_xor_b32_e32 v5, v5, v27
	v_and_b32_e32 v27, 0xffffff00, v5
	v_sub_i16 v26, v27, v26 clamp
	v_lshlrev_b16_e32 v27, 8, v5
	v_lshlrev_b16_e32 v23, 8, v23
	v_sub_i16 v23, v27, v23 clamp
	v_perm_b32 v23, v23, v26, s18
	v_and_b32_sdwa v26, v5, s15 dst_sel:DWORD dst_unused:UNUSED_PAD src0_sel:WORD_1 src1_sel:DWORD
	v_lshlrev_b16_sdwa v5, v18, v5 dst_sel:DWORD dst_unused:UNUSED_PAD src0_sel:DWORD src1_sel:WORD_1
	v_lshlrev_b16_e32 v19, 8, v19
	v_sub_i16 v26, v26, v28 clamp
	v_sub_i16 v5, v5, v19 clamp
	v_perm_b32 v5, v5, v26, s18
	v_lshl_or_b32 v5, v5, 16, v23
	v_dot4_i32_i8 v3, v5, v21, v3
	v_lshlrev_b32_sdwa v5, v17, v24 dst_sel:DWORD dst_unused:UNUSED_PAD src0_sel:DWORD src1_sel:BYTE_3
	global_load_dword v5, v5, s[12:13]
	v_bfe_u32 v19, v25, 21, 8
	v_bcnt_u32_b32 v20, v19, 0
	v_and_b32_e32 v20, 1, v20
	v_lshlrev_b32_e32 v20, 7, v20
	v_xor_b32_e32 v19, v20, v19
	v_mul_lo_u32 v19, v19, s11
	v_and_b32_e32 v20, 0x8040201, v19
	v_cmp_ne_u16_sdwa s[12:13], v20, v14 src0_sel:BYTE_3 src1_sel:DWORD
	v_cmp_ne_u16_sdwa s[20:21], v20, v14 src0_sel:BYTE_1 src1_sel:DWORD
	v_lshrrev_b32_e32 v21, 18, v19
	v_cndmask_b32_e64 v23, 0, -1, s[20:21]
	v_cndmask_b32_e64 v26, 0, -1, s[12:13]
	v_bfe_i32 v20, v19, 0, 1
	v_lshlrev_b16_e32 v23, 8, v23
	v_bfe_i32 v21, v21, 0, 1
	v_lshlrev_b16_e32 v26, 8, v26
	v_or_b32_sdwa v24, v20, v23 dst_sel:DWORD dst_unused:UNUSED_PAD src0_sel:BYTE_0 src1_sel:DWORD
	v_or_b32_sdwa v27, v21, v26 dst_sel:WORD_1 dst_unused:UNUSED_PAD src0_sel:BYTE_0 src1_sel:DWORD
	v_or_b32_sdwa v24, v24, v27 dst_sel:DWORD dst_unused:UNUSED_PAD src0_sel:WORD_0 src1_sel:DWORD
	v_lshlrev_b16_e32 v20, 8, v20
	v_lshlrev_b16_e32 v21, 8, v21
	s_waitcnt vmcnt(1)
	v_xor_b32_e32 v4, v4, v24
	v_and_b32_e32 v24, 0xffffff00, v4
	v_sub_i16 v23, v24, v23 clamp
	v_lshlrev_b16_e32 v24, 8, v4
	v_sub_i16 v20, v24, v20 clamp
	v_perm_b32 v20, v20, v23, s18
	v_and_b32_sdwa v23, v4, s15 dst_sel:DWORD dst_unused:UNUSED_PAD src0_sel:WORD_1 src1_sel:DWORD
	v_lshlrev_b16_sdwa v4, v18, v4 dst_sel:DWORD dst_unused:UNUSED_PAD src0_sel:DWORD src1_sel:WORD_1
	v_sub_i16 v23, v23, v26 clamp
	v_sub_i16 v4, v4, v21 clamp
	v_perm_b32 v4, v4, v23, s18
	v_lshl_or_b32 v4, v4, 16, v20
	v_and_b32_e32 v20, 0x80402010, v19
	v_cmp_ne_u16_sdwa s[12:13], v20, v14 src0_sel:BYTE_3 src1_sel:DWORD
	v_cmp_ne_u16_sdwa s[20:21], v20, v14 src0_sel:BYTE_1 src1_sel:DWORD
	v_lshrrev_b32_e32 v19, 22, v19
	v_lshrrev_b16_e32 v20, 4, v20
	v_cndmask_b32_e64 v21, 0, -1, s[20:21]
	v_cndmask_b32_e64 v24, 0, -1, s[12:13]
	v_bfe_i32 v20, v20, 0, 1
	v_lshlrev_b16_e32 v21, 8, v21
	v_bfe_i32 v19, v19, 0, 1
	v_lshlrev_b16_e32 v24, 8, v24
	v_or_b32_sdwa v23, v20, v21 dst_sel:DWORD dst_unused:UNUSED_PAD src0_sel:BYTE_0 src1_sel:DWORD
	v_or_b32_sdwa v26, v19, v24 dst_sel:WORD_1 dst_unused:UNUSED_PAD src0_sel:BYTE_0 src1_sel:DWORD
	v_or_b32_sdwa v23, v23, v26 dst_sel:DWORD dst_unused:UNUSED_PAD src0_sel:WORD_0 src1_sel:DWORD
	s_waitcnt vmcnt(0)
	v_xor_b32_e32 v5, v5, v23
	v_and_b32_e32 v23, 0xffffff00, v5
	v_sub_i16 v21, v23, v21 clamp
	v_lshlrev_b16_e32 v23, 8, v5
	v_lshlrev_b16_e32 v20, 8, v20
	v_sub_i16 v20, v23, v20 clamp
	v_perm_b32 v20, v20, v21, s18
	v_and_b32_sdwa v21, v5, s15 dst_sel:DWORD dst_unused:UNUSED_PAD src0_sel:WORD_1 src1_sel:DWORD
	v_lshlrev_b16_sdwa v5, v18, v5 dst_sel:DWORD dst_unused:UNUSED_PAD src0_sel:DWORD src1_sel:WORD_1
	v_lshlrev_b16_e32 v19, 8, v19
	v_sub_i16 v21, v21, v24 clamp
	v_sub_i16 v5, v5, v19 clamp
	v_perm_b32 v5, v5, v21, s18
	v_lshl_or_b32 v5, v5, 16, v20
	v_dot4_i32_i8 v3, v4, v22, v3
	v_dot4_i32_i8 v4, v5, v29, v3
	v_lshrrev_b32_e32 v3, 31, v4
	v_add_u32_e32 v3, v4, v3
	v_lshrrev_b32_e32 v5, 28, v25
	v_ashrrev_i32_e32 v3, 1, v3
	v_mad_u64_u32 v[3:4], s[12:13], v4, v5, v[3:4]
	v_lshrrev_b32_e32 v4, 31, v3
	v_add_u32_e32 v3, v3, v4
	global_load_ushort v4, v[10:11], off
	v_ashrrev_i32_e32 v3, 1, v3
	v_cvt_f32_i32_e32 v3, v3
	s_waitcnt vmcnt(0)
	v_cvt_f32_f16_e32 v4, v4
	v_mul_f32_e32 v2, v4, v2
	v_fmac_f32_e32 v12, v2, v3
	s_andn2_b64 exec, exec, s[0:1]
	s_cbranch_execnz .LBB196_9
; %bb.10:
	s_or_b64 exec, exec, s[0:1]
.LBB196_11:
	s_or_b64 exec, exec, s[16:17]
	v_cmp_eq_u32_e32 vcc, 0, v1
	s_waitcnt lgkmcnt(0)
	v_cmp_ne_u32_e64 s[0:1], 0, v1
	v_lshlrev_b32_e32 v2, 2, v0
	s_and_saveexec_b64 s[12:13], s[0:1]
; %bb.12:
	v_lshlrev_b32_e32 v1, 8, v1
	s_movk_i32 s0, 0xff00
	v_add3_u32 v1, v1, v2, s0
	ds_write_b32 v1, v12
; %bb.13:
	s_or_b64 exec, exec, s[12:13]
	s_waitcnt lgkmcnt(0)
	s_barrier
	s_and_saveexec_b64 s[0:1], vcc
	s_cbranch_execz .LBB196_16
; %bb.14:
	ds_read_b32 v1, v2
	v_mbcnt_lo_u32_b32 v2, -1, 0
	v_mbcnt_hi_u32_b32 v2, -1, v2
	v_and_b32_e32 v3, 64, v2
	v_add_u32_e32 v3, 64, v3
	v_xor_b32_e32 v4, 32, v2
	v_cmp_lt_i32_e32 vcc, v4, v3
	v_cndmask_b32_e32 v4, v2, v4, vcc
	v_lshlrev_b32_e32 v4, 2, v4
	s_waitcnt lgkmcnt(0)
	v_add_f32_e32 v1, v12, v1
	ds_bpermute_b32 v4, v4, v1
	v_xor_b32_e32 v5, 16, v2
	v_cmp_lt_i32_e32 vcc, v5, v3
	v_cndmask_b32_e32 v5, v2, v5, vcc
	v_lshlrev_b32_e32 v5, 2, v5
	s_waitcnt lgkmcnt(0)
	v_add_f32_e32 v1, v1, v4
	ds_bpermute_b32 v4, v5, v1
	;; [unrolled: 7-line block ×6, first 2 shown]
	s_mov_b32 s1, 0
	v_cmp_eq_u32_e32 vcc, 0, v0
	s_and_b64 exec, exec, vcc
	s_cbranch_execz .LBB196_16
; %bb.15:
	s_load_dwordx2 s[4:5], s[4:5], 0x38
	s_mul_i32 s0, s2, s10
	s_add_i32 s0, s0, s6
	s_mul_i32 s2, s14, s8
	s_add_i32 s0, s0, s2
	s_lshl_b64 s[0:1], s[0:1], 2
	s_waitcnt lgkmcnt(0)
	s_add_u32 s0, s4, s0
	v_add_f32_e32 v0, v1, v2
	s_addc_u32 s1, s5, s1
	v_mov_b32_e32 v1, 0
	global_store_dword v1, v0, s[0:1]
.LBB196_16:
	s_endpgm
	.section	.rodata,"a",@progbits
	.p2align	6, 0x0
	.amdhsa_kernel _ZL13mul_mat_vec_qIL9ggml_type18ELi1ELb0ELb0EEvPKvS2_PKi31ggml_cuda_mm_fusion_args_devicePfj15HIP_vector_typeIjLj3EEjjjS8_jjjS8_jjjj
		.amdhsa_group_segment_fixed_size 256
		.amdhsa_private_segment_fixed_size 0
		.amdhsa_kernarg_size 144
		.amdhsa_user_sgpr_count 6
		.amdhsa_user_sgpr_private_segment_buffer 1
		.amdhsa_user_sgpr_dispatch_ptr 0
		.amdhsa_user_sgpr_queue_ptr 0
		.amdhsa_user_sgpr_kernarg_segment_ptr 1
		.amdhsa_user_sgpr_dispatch_id 0
		.amdhsa_user_sgpr_flat_scratch_init 0
		.amdhsa_user_sgpr_private_segment_size 0
		.amdhsa_uses_dynamic_stack 0
		.amdhsa_system_sgpr_private_segment_wavefront_offset 0
		.amdhsa_system_sgpr_workgroup_id_x 1
		.amdhsa_system_sgpr_workgroup_id_y 1
		.amdhsa_system_sgpr_workgroup_id_z 1
		.amdhsa_system_sgpr_workgroup_info 0
		.amdhsa_system_vgpr_workitem_id 1
		.amdhsa_next_free_vgpr 35
		.amdhsa_next_free_sgpr 28
		.amdhsa_reserve_vcc 1
		.amdhsa_reserve_flat_scratch 0
		.amdhsa_float_round_mode_32 0
		.amdhsa_float_round_mode_16_64 0
		.amdhsa_float_denorm_mode_32 3
		.amdhsa_float_denorm_mode_16_64 3
		.amdhsa_dx10_clamp 1
		.amdhsa_ieee_mode 1
		.amdhsa_fp16_overflow 0
		.amdhsa_exception_fp_ieee_invalid_op 0
		.amdhsa_exception_fp_denorm_src 0
		.amdhsa_exception_fp_ieee_div_zero 0
		.amdhsa_exception_fp_ieee_overflow 0
		.amdhsa_exception_fp_ieee_underflow 0
		.amdhsa_exception_fp_ieee_inexact 0
		.amdhsa_exception_int_div_zero 0
	.end_amdhsa_kernel
	.section	.text._ZL13mul_mat_vec_qIL9ggml_type18ELi1ELb0ELb0EEvPKvS2_PKi31ggml_cuda_mm_fusion_args_devicePfj15HIP_vector_typeIjLj3EEjjjS8_jjjS8_jjjj,"axG",@progbits,_ZL13mul_mat_vec_qIL9ggml_type18ELi1ELb0ELb0EEvPKvS2_PKi31ggml_cuda_mm_fusion_args_devicePfj15HIP_vector_typeIjLj3EEjjjS8_jjjS8_jjjj,comdat
.Lfunc_end196:
	.size	_ZL13mul_mat_vec_qIL9ggml_type18ELi1ELb0ELb0EEvPKvS2_PKi31ggml_cuda_mm_fusion_args_devicePfj15HIP_vector_typeIjLj3EEjjjS8_jjjS8_jjjj, .Lfunc_end196-_ZL13mul_mat_vec_qIL9ggml_type18ELi1ELb0ELb0EEvPKvS2_PKi31ggml_cuda_mm_fusion_args_devicePfj15HIP_vector_typeIjLj3EEjjjS8_jjjS8_jjjj
                                        ; -- End function
	.set _ZL13mul_mat_vec_qIL9ggml_type18ELi1ELb0ELb0EEvPKvS2_PKi31ggml_cuda_mm_fusion_args_devicePfj15HIP_vector_typeIjLj3EEjjjS8_jjjS8_jjjj.num_vgpr, 35
	.set _ZL13mul_mat_vec_qIL9ggml_type18ELi1ELb0ELb0EEvPKvS2_PKi31ggml_cuda_mm_fusion_args_devicePfj15HIP_vector_typeIjLj3EEjjjS8_jjjS8_jjjj.num_agpr, 0
	.set _ZL13mul_mat_vec_qIL9ggml_type18ELi1ELb0ELb0EEvPKvS2_PKi31ggml_cuda_mm_fusion_args_devicePfj15HIP_vector_typeIjLj3EEjjjS8_jjjS8_jjjj.numbered_sgpr, 28
	.set _ZL13mul_mat_vec_qIL9ggml_type18ELi1ELb0ELb0EEvPKvS2_PKi31ggml_cuda_mm_fusion_args_devicePfj15HIP_vector_typeIjLj3EEjjjS8_jjjS8_jjjj.num_named_barrier, 0
	.set _ZL13mul_mat_vec_qIL9ggml_type18ELi1ELb0ELb0EEvPKvS2_PKi31ggml_cuda_mm_fusion_args_devicePfj15HIP_vector_typeIjLj3EEjjjS8_jjjS8_jjjj.private_seg_size, 0
	.set _ZL13mul_mat_vec_qIL9ggml_type18ELi1ELb0ELb0EEvPKvS2_PKi31ggml_cuda_mm_fusion_args_devicePfj15HIP_vector_typeIjLj3EEjjjS8_jjjS8_jjjj.uses_vcc, 1
	.set _ZL13mul_mat_vec_qIL9ggml_type18ELi1ELb0ELb0EEvPKvS2_PKi31ggml_cuda_mm_fusion_args_devicePfj15HIP_vector_typeIjLj3EEjjjS8_jjjS8_jjjj.uses_flat_scratch, 0
	.set _ZL13mul_mat_vec_qIL9ggml_type18ELi1ELb0ELb0EEvPKvS2_PKi31ggml_cuda_mm_fusion_args_devicePfj15HIP_vector_typeIjLj3EEjjjS8_jjjS8_jjjj.has_dyn_sized_stack, 0
	.set _ZL13mul_mat_vec_qIL9ggml_type18ELi1ELb0ELb0EEvPKvS2_PKi31ggml_cuda_mm_fusion_args_devicePfj15HIP_vector_typeIjLj3EEjjjS8_jjjS8_jjjj.has_recursion, 0
	.set _ZL13mul_mat_vec_qIL9ggml_type18ELi1ELb0ELb0EEvPKvS2_PKi31ggml_cuda_mm_fusion_args_devicePfj15HIP_vector_typeIjLj3EEjjjS8_jjjS8_jjjj.has_indirect_call, 0
	.section	.AMDGPU.csdata,"",@progbits
; Kernel info:
; codeLenInByte = 2888
; TotalNumSgprs: 32
; NumVgprs: 35
; ScratchSize: 0
; MemoryBound: 0
; FloatMode: 240
; IeeeMode: 1
; LDSByteSize: 256 bytes/workgroup (compile time only)
; SGPRBlocks: 3
; VGPRBlocks: 8
; NumSGPRsForWavesPerEU: 32
; NumVGPRsForWavesPerEU: 35
; Occupancy: 7
; WaveLimiterHint : 0
; COMPUTE_PGM_RSRC2:SCRATCH_EN: 0
; COMPUTE_PGM_RSRC2:USER_SGPR: 6
; COMPUTE_PGM_RSRC2:TRAP_HANDLER: 0
; COMPUTE_PGM_RSRC2:TGID_X_EN: 1
; COMPUTE_PGM_RSRC2:TGID_Y_EN: 1
; COMPUTE_PGM_RSRC2:TGID_Z_EN: 1
; COMPUTE_PGM_RSRC2:TIDIG_COMP_CNT: 1
	.section	.text._ZL13mul_mat_vec_qIL9ggml_type18ELi2ELb0ELb0EEvPKvS2_PKi31ggml_cuda_mm_fusion_args_devicePfj15HIP_vector_typeIjLj3EEjjjS8_jjjS8_jjjj,"axG",@progbits,_ZL13mul_mat_vec_qIL9ggml_type18ELi2ELb0ELb0EEvPKvS2_PKi31ggml_cuda_mm_fusion_args_devicePfj15HIP_vector_typeIjLj3EEjjjS8_jjjS8_jjjj,comdat
	.globl	_ZL13mul_mat_vec_qIL9ggml_type18ELi2ELb0ELb0EEvPKvS2_PKi31ggml_cuda_mm_fusion_args_devicePfj15HIP_vector_typeIjLj3EEjjjS8_jjjS8_jjjj ; -- Begin function _ZL13mul_mat_vec_qIL9ggml_type18ELi2ELb0ELb0EEvPKvS2_PKi31ggml_cuda_mm_fusion_args_devicePfj15HIP_vector_typeIjLj3EEjjjS8_jjjS8_jjjj
	.p2align	8
	.type	_ZL13mul_mat_vec_qIL9ggml_type18ELi2ELb0ELb0EEvPKvS2_PKi31ggml_cuda_mm_fusion_args_devicePfj15HIP_vector_typeIjLj3EEjjjS8_jjjS8_jjjj,@function
_ZL13mul_mat_vec_qIL9ggml_type18ELi2ELb0ELb0EEvPKvS2_PKi31ggml_cuda_mm_fusion_args_devicePfj15HIP_vector_typeIjLj3EEjjjS8_jjjS8_jjjj: ; @_ZL13mul_mat_vec_qIL9ggml_type18ELi2ELb0ELb0EEvPKvS2_PKi31ggml_cuda_mm_fusion_args_devicePfj15HIP_vector_typeIjLj3EEjjjS8_jjjS8_jjjj
; %bb.0:
	s_load_dword s9, s[4:5], 0x40
	s_load_dwordx4 s[0:3], s[4:5], 0x50
	s_load_dword s25, s[4:5], 0x60
	s_load_dwordx4 s[12:15], s[4:5], 0x68
	s_load_dword s24, s[4:5], 0x78
	s_load_dwordx4 s[16:19], s[4:5], 0x80
	v_lshl_add_u32 v2, v1, 6, v0
	s_waitcnt lgkmcnt(0)
	s_lshr_b32 s9, s9, 8
	v_lshrrev_b32_e32 v20, 3, v2
	s_lshl_b32 s6, s6, 1
	v_cmp_gt_u32_e32 vcc, s9, v20
	v_mov_b32_e32 v17, 0
	v_mov_b32_e32 v18, 0
	;; [unrolled: 1-line block ×4, first 2 shown]
	s_and_saveexec_b64 s[10:11], vcc
	s_cbranch_execz .LBB197_4
; %bb.1:
	s_mul_hi_u32 s3, s3, s7
	s_add_i32 s3, s7, s3
	s_load_dwordx4 s[20:23], s[4:5], 0x0
	s_lshr_b32 s3, s3, s25
	s_mul_i32 s3, s3, s12
	s_mul_hi_u32 s12, s15, s8
	s_add_i32 s12, s8, s12
	s_lshr_b32 s12, s12, s24
	s_mul_i32 s19, s17, s8
	s_mul_i32 s15, s12, s16
	;; [unrolled: 1-line block ×3, first 2 shown]
	s_mul_hi_u32 s12, s19, 36
	s_waitcnt lgkmcnt(0)
	s_add_u32 s16, s22, s16
	s_addc_u32 s17, s23, s12
	s_mul_i32 s12, s13, s7
	s_mul_hi_u32 s13, s12, 36
	s_mul_i32 s12, s12, 36
	s_add_u32 s16, s16, s12
	s_addc_u32 s17, s17, s13
	v_lshlrev_b32_e32 v2, 1, v0
	v_and_b32_e32 v6, 7, v0
	v_and_b32_e32 v4, 14, v2
	v_mad_u64_u32 v[10:11], s[16:17], v6, 36, s[16:17]
	v_mov_b32_e32 v2, s12
	s_movk_i32 s16, 0x120
	v_mov_b32_e32 v3, s13
	v_mad_u64_u32 v[2:3], s[12:13], v20, s16, v[2:3]
	s_add_i32 s16, s6, 1
	s_add_i32 s15, s15, s3
	v_mad_u64_u32 v[2:3], s[12:13], s19, 36, v[2:3]
	v_lshlrev_b32_e32 v5, 1, v4
	s_mul_i32 s3, s6, s0
	v_mad_u64_u32 v[2:3], s[12:13], v6, 36, v[2:3]
	v_mov_b32_e32 v6, s23
	s_mul_i32 s0, s0, s16
	v_add_co_u32_e32 v2, vcc, s22, v2
	v_addc_co_u32_e32 v3, vcc, v6, v3, vcc
	v_add_co_u32_e32 v12, vcc, 32, v2
	v_mov_b32_e32 v14, s20
	v_mov_b32_e32 v21, 0
	s_add_i32 s3, s15, s3
	s_add_i32 s15, s15, s0
	v_lshl_add_u32 v22, v20, 3, s1
	v_addc_co_u32_e32 v13, vcc, 0, v3, vcc
	s_mov_b64 s[0:1], 0
	s_movk_i32 s16, 0x62
	v_mov_b32_e32 v15, s21
	v_lshlrev_b32_e32 v23, 1, v5
	v_lshlrev_b32_e32 v24, 1, v4
	s_mov_b32 s17, 0x1010101
	s_movk_i32 s19, 0xff00
	s_mov_b32 s20, 0xc0c0105
	v_mov_b32_e32 v25, 2
	v_mov_b32_e32 v26, 8
	;; [unrolled: 1-line block ×6, first 2 shown]
.LBB197_2:                              ; =>This Inner Loop Header: Depth=1
	v_add_u32_e32 v27, s3, v20
	v_mad_i64_i32 v[36:37], s[12:13], v27, s16, v[14:15]
	global_load_dword v41, v[12:13], off
	global_load_dwordx4 v[2:5], v[12:13], off offset:-16
	global_load_dwordx4 v[6:9], v[12:13], off offset:-32
	s_getpc_b64 s[12:13]
	s_add_u32 s12, s12, _ZL11iq3xxs_grid@rel32@lo+4
	s_addc_u32 s13, s13, _ZL11iq3xxs_grid@rel32@hi+12
	v_add_co_u32_e32 v27, vcc, v36, v23
	v_addc_co_u32_e32 v28, vcc, 0, v37, vcc
	global_load_dwordx2 v[30:31], v[27:28], off offset:2
	v_add_co_u32_e32 v27, vcc, v36, v24
	v_addc_co_u32_e32 v28, vcc, 0, v37, vcc
	global_load_dword v34, v[27:28], off offset:66
	s_waitcnt vmcnt(2)
	v_cvt_f32_f16_e32 v40, v6
	s_waitcnt vmcnt(1)
	v_lshlrev_b32_sdwa v6, v25, v30 dst_sel:DWORD dst_unused:UNUSED_PAD src0_sel:DWORD src1_sel:BYTE_0
	global_load_dword v6, v6, s[12:13]
	v_lshlrev_b32_sdwa v27, v25, v30 dst_sel:DWORD dst_unused:UNUSED_PAD src0_sel:DWORD src1_sel:BYTE_1
	global_load_dword v27, v27, s[12:13]
	s_waitcnt vmcnt(2)
	v_and_b32_e32 v28, 0xff, v34
	v_bcnt_u32_b32 v29, v28, 0
	v_and_b32_e32 v29, 1, v29
	v_lshlrev_b32_e32 v29, 7, v29
	v_xor_b32_e32 v28, v29, v28
	v_mul_lo_u32 v28, v28, s17
	v_and_b32_e32 v29, 0x8040201, v28
	v_cmp_ne_u16_sdwa s[22:23], v29, v21 src0_sel:BYTE_3 src1_sel:DWORD
	v_cmp_ne_u16_sdwa s[24:25], v29, v21 src0_sel:BYTE_1 src1_sel:DWORD
	v_lshrrev_b32_e32 v32, 18, v28
	v_cndmask_b32_e64 v33, 0, -1, s[24:25]
	v_cndmask_b32_e64 v38, 0, -1, s[22:23]
	v_bfe_i32 v29, v28, 0, 1
	v_lshlrev_b16_e32 v33, 8, v33
	v_bfe_i32 v32, v32, 0, 1
	v_lshlrev_b16_e32 v38, 8, v38
	v_or_b32_sdwa v35, v29, v33 dst_sel:DWORD dst_unused:UNUSED_PAD src0_sel:BYTE_0 src1_sel:DWORD
	v_or_b32_sdwa v39, v32, v38 dst_sel:WORD_1 dst_unused:UNUSED_PAD src0_sel:BYTE_0 src1_sel:DWORD
	v_or_b32_sdwa v35, v35, v39 dst_sel:DWORD dst_unused:UNUSED_PAD src0_sel:WORD_0 src1_sel:DWORD
	v_lshlrev_b16_e32 v29, 8, v29
	v_lshlrev_b16_e32 v32, 8, v32
	s_waitcnt vmcnt(1)
	v_xor_b32_e32 v6, v6, v35
	v_and_b32_e32 v35, 0xffffff00, v6
	v_sub_i16 v33, v35, v33 clamp
	v_lshlrev_b16_e32 v35, 8, v6
	v_sub_i16 v29, v35, v29 clamp
	v_perm_b32 v29, v29, v33, s20
	v_and_b32_sdwa v33, v6, s19 dst_sel:DWORD dst_unused:UNUSED_PAD src0_sel:WORD_1 src1_sel:DWORD
	v_lshlrev_b16_sdwa v6, v26, v6 dst_sel:DWORD dst_unused:UNUSED_PAD src0_sel:DWORD src1_sel:WORD_1
	v_sub_i16 v33, v33, v38 clamp
	v_sub_i16 v6, v6, v32 clamp
	v_perm_b32 v6, v6, v33, s20
	v_lshl_or_b32 v6, v6, 16, v29
	v_and_b32_e32 v29, 0x80402010, v28
	v_cmp_ne_u16_sdwa s[22:23], v29, v21 src0_sel:BYTE_3 src1_sel:DWORD
	v_cmp_ne_u16_sdwa s[24:25], v29, v21 src0_sel:BYTE_1 src1_sel:DWORD
	v_lshrrev_b32_e32 v28, 22, v28
	v_lshrrev_b16_e32 v29, 4, v29
	v_cndmask_b32_e64 v32, 0, -1, s[24:25]
	v_cndmask_b32_e64 v35, 0, -1, s[22:23]
	v_bfe_i32 v29, v29, 0, 1
	v_lshlrev_b16_e32 v32, 8, v32
	v_bfe_i32 v28, v28, 0, 1
	v_lshlrev_b16_e32 v35, 8, v35
	v_or_b32_sdwa v33, v29, v32 dst_sel:DWORD dst_unused:UNUSED_PAD src0_sel:BYTE_0 src1_sel:DWORD
	v_or_b32_sdwa v38, v28, v35 dst_sel:WORD_1 dst_unused:UNUSED_PAD src0_sel:BYTE_0 src1_sel:DWORD
	v_or_b32_sdwa v33, v33, v38 dst_sel:DWORD dst_unused:UNUSED_PAD src0_sel:WORD_0 src1_sel:DWORD
	s_waitcnt vmcnt(0)
	v_xor_b32_e32 v27, v27, v33
	v_and_b32_e32 v33, 0xffffff00, v27
	v_sub_i16 v32, v33, v32 clamp
	v_lshlrev_b16_e32 v33, 8, v27
	v_lshlrev_b16_e32 v29, 8, v29
	v_sub_i16 v29, v33, v29 clamp
	v_perm_b32 v29, v29, v32, s20
	v_and_b32_sdwa v32, v27, s19 dst_sel:DWORD dst_unused:UNUSED_PAD src0_sel:WORD_1 src1_sel:DWORD
	v_lshlrev_b16_sdwa v27, v26, v27 dst_sel:DWORD dst_unused:UNUSED_PAD src0_sel:DWORD src1_sel:WORD_1
	v_lshlrev_b16_e32 v28, 8, v28
	v_sub_i16 v32, v32, v35 clamp
	v_sub_i16 v27, v27, v28 clamp
	v_perm_b32 v27, v27, v32, s20
	v_lshl_or_b32 v27, v27, 16, v29
	v_dot4_i32_i8 v28, v6, v7, 0
	v_dot4_i32_i8 v32, v27, v8, v28
	v_lshlrev_b32_sdwa v28, v25, v30 dst_sel:DWORD dst_unused:UNUSED_PAD src0_sel:DWORD src1_sel:BYTE_2
	global_load_dword v28, v28, s[12:13]
	v_lshlrev_b32_sdwa v29, v25, v30 dst_sel:DWORD dst_unused:UNUSED_PAD src0_sel:DWORD src1_sel:BYTE_3
	global_load_dword v29, v29, s[12:13]
	v_bfe_u32 v30, v34, 7, 8
	v_bcnt_u32_b32 v33, v30, 0
	v_and_b32_e32 v33, 1, v33
	v_lshlrev_b32_e32 v33, 7, v33
	v_xor_b32_e32 v30, v33, v30
	v_mul_lo_u32 v30, v30, s17
	v_and_b32_e32 v33, 0x8040201, v30
	v_cmp_ne_u16_sdwa s[22:23], v33, v21 src0_sel:BYTE_3 src1_sel:DWORD
	v_cmp_ne_u16_sdwa s[24:25], v33, v21 src0_sel:BYTE_1 src1_sel:DWORD
	v_lshrrev_b32_e32 v35, 18, v30
	v_cndmask_b32_e64 v38, 0, -1, s[24:25]
	v_cndmask_b32_e64 v42, 0, -1, s[22:23]
	v_bfe_i32 v33, v30, 0, 1
	v_lshlrev_b16_e32 v38, 8, v38
	v_bfe_i32 v35, v35, 0, 1
	v_lshlrev_b16_e32 v42, 8, v42
	v_or_b32_sdwa v39, v33, v38 dst_sel:DWORD dst_unused:UNUSED_PAD src0_sel:BYTE_0 src1_sel:DWORD
	v_or_b32_sdwa v43, v35, v42 dst_sel:WORD_1 dst_unused:UNUSED_PAD src0_sel:BYTE_0 src1_sel:DWORD
	v_or_b32_sdwa v39, v39, v43 dst_sel:DWORD dst_unused:UNUSED_PAD src0_sel:WORD_0 src1_sel:DWORD
	v_lshlrev_b16_e32 v33, 8, v33
	v_lshlrev_b16_e32 v35, 8, v35
	s_waitcnt vmcnt(1)
	v_xor_b32_e32 v28, v28, v39
	v_and_b32_e32 v39, 0xffffff00, v28
	v_sub_i16 v38, v39, v38 clamp
	v_lshlrev_b16_e32 v39, 8, v28
	v_sub_i16 v33, v39, v33 clamp
	v_perm_b32 v33, v33, v38, s20
	v_and_b32_sdwa v38, v28, s19 dst_sel:DWORD dst_unused:UNUSED_PAD src0_sel:WORD_1 src1_sel:DWORD
	v_lshlrev_b16_sdwa v28, v26, v28 dst_sel:DWORD dst_unused:UNUSED_PAD src0_sel:DWORD src1_sel:WORD_1
	v_sub_i16 v38, v38, v42 clamp
	v_sub_i16 v28, v28, v35 clamp
	v_perm_b32 v28, v28, v38, s20
	v_lshl_or_b32 v28, v28, 16, v33
	v_and_b32_e32 v33, 0x80402010, v30
	v_cmp_ne_u16_sdwa s[22:23], v33, v21 src0_sel:BYTE_3 src1_sel:DWORD
	v_cmp_ne_u16_sdwa s[24:25], v33, v21 src0_sel:BYTE_1 src1_sel:DWORD
	v_lshrrev_b32_e32 v30, 22, v30
	v_lshrrev_b16_e32 v33, 4, v33
	v_cndmask_b32_e64 v35, 0, -1, s[24:25]
	v_cndmask_b32_e64 v39, 0, -1, s[22:23]
	v_bfe_i32 v33, v33, 0, 1
	v_lshlrev_b16_e32 v35, 8, v35
	v_bfe_i32 v30, v30, 0, 1
	v_lshlrev_b16_e32 v39, 8, v39
	v_or_b32_sdwa v38, v33, v35 dst_sel:DWORD dst_unused:UNUSED_PAD src0_sel:BYTE_0 src1_sel:DWORD
	v_or_b32_sdwa v42, v30, v39 dst_sel:WORD_1 dst_unused:UNUSED_PAD src0_sel:BYTE_0 src1_sel:DWORD
	v_or_b32_sdwa v38, v38, v42 dst_sel:DWORD dst_unused:UNUSED_PAD src0_sel:WORD_0 src1_sel:DWORD
	s_waitcnt vmcnt(0)
	v_xor_b32_e32 v29, v29, v38
	v_and_b32_e32 v38, 0xffffff00, v29
	v_sub_i16 v35, v38, v35 clamp
	v_lshlrev_b16_e32 v38, 8, v29
	v_lshlrev_b16_e32 v33, 8, v33
	v_sub_i16 v33, v38, v33 clamp
	v_perm_b32 v33, v33, v35, s20
	v_and_b32_sdwa v35, v29, s19 dst_sel:DWORD dst_unused:UNUSED_PAD src0_sel:WORD_1 src1_sel:DWORD
	v_lshlrev_b16_sdwa v29, v26, v29 dst_sel:DWORD dst_unused:UNUSED_PAD src0_sel:DWORD src1_sel:WORD_1
	v_lshlrev_b16_e32 v30, 8, v30
	v_sub_i16 v35, v35, v39 clamp
	v_sub_i16 v29, v29, v30 clamp
	v_perm_b32 v29, v29, v35, s20
	v_lshl_or_b32 v29, v29, 16, v33
	v_dot4_i32_i8 v30, v28, v9, v32
	v_dot4_i32_i8 v33, v29, v2, v30
	v_lshlrev_b32_sdwa v30, v25, v31 dst_sel:DWORD dst_unused:UNUSED_PAD src0_sel:DWORD src1_sel:BYTE_0
	global_load_dword v30, v30, s[12:13]
	v_lshlrev_b32_sdwa v32, v25, v31 dst_sel:DWORD dst_unused:UNUSED_PAD src0_sel:DWORD src1_sel:BYTE_1
	global_load_dword v32, v32, s[12:13]
	v_bfe_u32 v35, v34, 14, 8
	v_bcnt_u32_b32 v38, v35, 0
	v_and_b32_e32 v38, 1, v38
	v_lshlrev_b32_e32 v38, 7, v38
	v_xor_b32_e32 v35, v38, v35
	v_mul_lo_u32 v35, v35, s17
	v_and_b32_e32 v38, 0x8040201, v35
	v_cmp_ne_u16_sdwa s[22:23], v38, v21 src0_sel:BYTE_3 src1_sel:DWORD
	v_cmp_ne_u16_sdwa s[24:25], v38, v21 src0_sel:BYTE_1 src1_sel:DWORD
	v_lshrrev_b32_e32 v39, 18, v35
	v_cndmask_b32_e64 v42, 0, -1, s[24:25]
	v_cndmask_b32_e64 v44, 0, -1, s[22:23]
	v_bfe_i32 v38, v35, 0, 1
	v_lshlrev_b16_e32 v42, 8, v42
	v_bfe_i32 v39, v39, 0, 1
	v_lshlrev_b16_e32 v44, 8, v44
	v_or_b32_sdwa v43, v38, v42 dst_sel:DWORD dst_unused:UNUSED_PAD src0_sel:BYTE_0 src1_sel:DWORD
	v_or_b32_sdwa v45, v39, v44 dst_sel:WORD_1 dst_unused:UNUSED_PAD src0_sel:BYTE_0 src1_sel:DWORD
	v_or_b32_sdwa v43, v43, v45 dst_sel:DWORD dst_unused:UNUSED_PAD src0_sel:WORD_0 src1_sel:DWORD
	v_lshlrev_b16_e32 v38, 8, v38
	v_lshlrev_b16_e32 v39, 8, v39
	s_waitcnt vmcnt(1)
	v_xor_b32_e32 v30, v30, v43
	v_and_b32_e32 v43, 0xffffff00, v30
	v_sub_i16 v42, v43, v42 clamp
	v_lshlrev_b16_e32 v43, 8, v30
	v_sub_i16 v38, v43, v38 clamp
	v_perm_b32 v38, v38, v42, s20
	v_and_b32_sdwa v42, v30, s19 dst_sel:DWORD dst_unused:UNUSED_PAD src0_sel:WORD_1 src1_sel:DWORD
	v_lshlrev_b16_sdwa v30, v26, v30 dst_sel:DWORD dst_unused:UNUSED_PAD src0_sel:DWORD src1_sel:WORD_1
	v_sub_i16 v42, v42, v44 clamp
	v_sub_i16 v30, v30, v39 clamp
	v_perm_b32 v30, v30, v42, s20
	v_lshl_or_b32 v30, v30, 16, v38
	v_and_b32_e32 v38, 0x80402010, v35
	v_cmp_ne_u16_sdwa s[22:23], v38, v21 src0_sel:BYTE_3 src1_sel:DWORD
	v_cmp_ne_u16_sdwa s[24:25], v38, v21 src0_sel:BYTE_1 src1_sel:DWORD
	v_lshrrev_b32_e32 v35, 22, v35
	v_lshrrev_b16_e32 v38, 4, v38
	v_cndmask_b32_e64 v39, 0, -1, s[24:25]
	v_cndmask_b32_e64 v43, 0, -1, s[22:23]
	v_bfe_i32 v38, v38, 0, 1
	v_lshlrev_b16_e32 v39, 8, v39
	v_bfe_i32 v35, v35, 0, 1
	v_lshlrev_b16_e32 v43, 8, v43
	v_or_b32_sdwa v42, v38, v39 dst_sel:DWORD dst_unused:UNUSED_PAD src0_sel:BYTE_0 src1_sel:DWORD
	v_or_b32_sdwa v44, v35, v43 dst_sel:WORD_1 dst_unused:UNUSED_PAD src0_sel:BYTE_0 src1_sel:DWORD
	v_or_b32_sdwa v42, v42, v44 dst_sel:DWORD dst_unused:UNUSED_PAD src0_sel:WORD_0 src1_sel:DWORD
	s_waitcnt vmcnt(0)
	v_xor_b32_e32 v32, v32, v42
	v_and_b32_e32 v42, 0xffffff00, v32
	v_sub_i16 v39, v42, v39 clamp
	v_lshlrev_b16_e32 v42, 8, v32
	v_lshlrev_b16_e32 v38, 8, v38
	v_sub_i16 v38, v42, v38 clamp
	v_perm_b32 v38, v38, v39, s20
	v_and_b32_sdwa v39, v32, s19 dst_sel:DWORD dst_unused:UNUSED_PAD src0_sel:WORD_1 src1_sel:DWORD
	v_lshlrev_b16_sdwa v32, v26, v32 dst_sel:DWORD dst_unused:UNUSED_PAD src0_sel:DWORD src1_sel:WORD_1
	v_lshlrev_b16_e32 v35, 8, v35
	v_sub_i16 v39, v39, v43 clamp
	v_sub_i16 v32, v32, v35 clamp
	v_perm_b32 v32, v32, v39, s20
	v_lshl_or_b32 v32, v32, 16, v38
	v_dot4_i32_i8 v33, v30, v3, v33
	v_dot4_i32_i8 v38, v32, v4, v33
	v_lshlrev_b32_sdwa v33, v25, v31 dst_sel:DWORD dst_unused:UNUSED_PAD src0_sel:DWORD src1_sel:BYTE_2
	global_load_dword v33, v33, s[12:13]
	v_lshlrev_b32_sdwa v31, v25, v31 dst_sel:DWORD dst_unused:UNUSED_PAD src0_sel:DWORD src1_sel:BYTE_3
	global_load_dword v31, v31, s[12:13]
	v_bfe_u32 v35, v34, 21, 8
	v_bcnt_u32_b32 v39, v35, 0
	v_and_b32_e32 v39, 1, v39
	v_lshlrev_b32_e32 v39, 7, v39
	v_xor_b32_e32 v35, v39, v35
	v_mul_lo_u32 v35, v35, s17
	v_lshrrev_b32_e32 v34, 28, v34
	v_and_b32_e32 v39, 0x8040201, v35
	v_cmp_ne_u16_sdwa s[22:23], v39, v21 src0_sel:BYTE_3 src1_sel:DWORD
	v_cmp_ne_u16_sdwa s[24:25], v39, v21 src0_sel:BYTE_1 src1_sel:DWORD
	v_lshrrev_b32_e32 v42, 18, v35
	v_cndmask_b32_e64 v43, 0, -1, s[24:25]
	v_cndmask_b32_e64 v45, 0, -1, s[22:23]
	v_bfe_i32 v39, v35, 0, 1
	v_lshlrev_b16_e32 v43, 8, v43
	v_bfe_i32 v42, v42, 0, 1
	v_lshlrev_b16_e32 v45, 8, v45
	v_or_b32_sdwa v44, v39, v43 dst_sel:DWORD dst_unused:UNUSED_PAD src0_sel:BYTE_0 src1_sel:DWORD
	v_or_b32_sdwa v46, v42, v45 dst_sel:WORD_1 dst_unused:UNUSED_PAD src0_sel:BYTE_0 src1_sel:DWORD
	v_or_b32_sdwa v44, v44, v46 dst_sel:DWORD dst_unused:UNUSED_PAD src0_sel:WORD_0 src1_sel:DWORD
	v_lshlrev_b16_e32 v39, 8, v39
	v_lshlrev_b16_e32 v42, 8, v42
	s_waitcnt vmcnt(1)
	v_xor_b32_e32 v33, v33, v44
	v_and_b32_e32 v44, 0xffffff00, v33
	v_sub_i16 v43, v44, v43 clamp
	v_lshlrev_b16_e32 v44, 8, v33
	v_sub_i16 v39, v44, v39 clamp
	v_perm_b32 v39, v39, v43, s20
	v_and_b32_sdwa v43, v33, s19 dst_sel:DWORD dst_unused:UNUSED_PAD src0_sel:WORD_1 src1_sel:DWORD
	v_lshlrev_b16_sdwa v33, v26, v33 dst_sel:DWORD dst_unused:UNUSED_PAD src0_sel:DWORD src1_sel:WORD_1
	v_sub_i16 v43, v43, v45 clamp
	v_sub_i16 v33, v33, v42 clamp
	v_perm_b32 v33, v33, v43, s20
	v_lshl_or_b32 v33, v33, 16, v39
	v_and_b32_e32 v39, 0x80402010, v35
	v_cmp_ne_u16_sdwa s[22:23], v39, v21 src0_sel:BYTE_3 src1_sel:DWORD
	v_cmp_ne_u16_sdwa s[24:25], v39, v21 src0_sel:BYTE_1 src1_sel:DWORD
	v_lshrrev_b32_e32 v35, 22, v35
	v_lshrrev_b16_e32 v39, 4, v39
	v_cndmask_b32_e64 v42, 0, -1, s[24:25]
	v_cndmask_b32_e64 v44, 0, -1, s[22:23]
	v_bfe_i32 v39, v39, 0, 1
	v_lshlrev_b16_e32 v42, 8, v42
	v_bfe_i32 v35, v35, 0, 1
	v_lshlrev_b16_e32 v44, 8, v44
	v_or_b32_sdwa v43, v39, v42 dst_sel:DWORD dst_unused:UNUSED_PAD src0_sel:BYTE_0 src1_sel:DWORD
	v_or_b32_sdwa v45, v35, v44 dst_sel:WORD_1 dst_unused:UNUSED_PAD src0_sel:BYTE_0 src1_sel:DWORD
	v_or_b32_sdwa v43, v43, v45 dst_sel:DWORD dst_unused:UNUSED_PAD src0_sel:WORD_0 src1_sel:DWORD
	s_waitcnt vmcnt(0)
	v_xor_b32_e32 v31, v31, v43
	v_and_b32_e32 v43, 0xffffff00, v31
	v_sub_i16 v42, v43, v42 clamp
	v_lshlrev_b16_e32 v43, 8, v31
	v_lshlrev_b16_e32 v39, 8, v39
	v_sub_i16 v39, v43, v39 clamp
	v_perm_b32 v39, v39, v42, s20
	v_and_b32_sdwa v42, v31, s19 dst_sel:DWORD dst_unused:UNUSED_PAD src0_sel:WORD_1 src1_sel:DWORD
	v_lshlrev_b16_sdwa v31, v26, v31 dst_sel:DWORD dst_unused:UNUSED_PAD src0_sel:DWORD src1_sel:WORD_1
	v_lshlrev_b16_e32 v35, 8, v35
	v_sub_i16 v42, v42, v44 clamp
	v_sub_i16 v31, v31, v35 clamp
	v_perm_b32 v31, v31, v42, s20
	v_lshl_or_b32 v35, v31, 16, v39
	v_dot4_i32_i8 v31, v33, v5, v38
	v_dot4_i32_i8 v38, v35, v41, v31
	v_lshrrev_b32_e32 v31, 31, v38
	v_add_u32_e32 v31, v38, v31
	v_ashrrev_i32_e32 v31, 1, v31
	v_mad_u64_u32 v[38:39], s[22:23], v38, v34, v[31:32]
	v_lshrrev_b32_e32 v31, 31, v38
	v_add_u32_e32 v31, v38, v31
	v_ashrrev_i32_e32 v38, 1, v31
	global_load_ushort v31, v[36:37], off
	v_cvt_f32_i32_e32 v37, v38
	s_waitcnt vmcnt(0)
	v_cvt_f32_f16_e32 v31, v31
	v_mul_f32_e32 v36, v31, v40
	v_fmac_f32_e32 v19, v36, v37
	v_add_u32_e32 v36, s15, v20
	v_mad_i64_i32 v[42:43], s[22:23], v36, s16, v[14:15]
	v_add_u32_e32 v20, 16, v20
	v_add_co_u32_e32 v36, vcc, v42, v23
	v_addc_co_u32_e32 v37, vcc, 0, v43, vcc
	global_load_dwordx2 v[38:39], v[36:37], off offset:2
	v_add_co_u32_e32 v36, vcc, v42, v24
	v_addc_co_u32_e32 v37, vcc, 0, v43, vcc
	global_load_dword v44, v[36:37], off offset:66
	v_add_co_u32_e32 v12, vcc, 0x1200, v12
	v_addc_co_u32_e32 v13, vcc, 0, v13, vcc
	v_cmp_le_u32_e32 vcc, s9, v20
	s_or_b64 s[0:1], vcc, s[0:1]
	s_waitcnt vmcnt(1)
	v_lshlrev_b32_sdwa v36, v25, v38 dst_sel:DWORD dst_unused:UNUSED_PAD src0_sel:DWORD src1_sel:BYTE_0
	global_load_dword v36, v36, s[12:13]
	v_lshlrev_b32_sdwa v37, v25, v38 dst_sel:DWORD dst_unused:UNUSED_PAD src0_sel:DWORD src1_sel:BYTE_1
	global_load_dword v37, v37, s[12:13]
	s_waitcnt vmcnt(2)
	v_and_b32_e32 v45, 0xff, v44
	v_bcnt_u32_b32 v46, v45, 0
	v_and_b32_e32 v46, 1, v46
	v_lshlrev_b32_e32 v46, 7, v46
	v_xor_b32_e32 v45, v46, v45
	v_mul_lo_u32 v45, v45, s17
	v_and_b32_e32 v46, 0x8040201, v45
	v_cmp_ne_u16_sdwa s[22:23], v46, v21 src0_sel:BYTE_3 src1_sel:DWORD
	v_cmp_ne_u16_sdwa s[24:25], v46, v21 src0_sel:BYTE_1 src1_sel:DWORD
	v_lshrrev_b32_e32 v47, 18, v45
	v_cndmask_b32_e64 v48, 0, -1, s[24:25]
	v_cndmask_b32_e64 v50, 0, -1, s[22:23]
	v_bfe_i32 v46, v45, 0, 1
	v_lshlrev_b16_e32 v48, 8, v48
	v_bfe_i32 v47, v47, 0, 1
	v_lshlrev_b16_e32 v50, 8, v50
	v_or_b32_sdwa v49, v46, v48 dst_sel:DWORD dst_unused:UNUSED_PAD src0_sel:BYTE_0 src1_sel:DWORD
	v_or_b32_sdwa v51, v47, v50 dst_sel:WORD_1 dst_unused:UNUSED_PAD src0_sel:BYTE_0 src1_sel:DWORD
	v_or_b32_sdwa v49, v49, v51 dst_sel:DWORD dst_unused:UNUSED_PAD src0_sel:WORD_0 src1_sel:DWORD
	v_lshlrev_b16_e32 v46, 8, v46
	v_lshlrev_b16_e32 v47, 8, v47
	s_waitcnt vmcnt(1)
	v_xor_b32_e32 v36, v36, v49
	v_and_b32_e32 v49, 0xffffff00, v36
	v_sub_i16 v48, v49, v48 clamp
	v_lshlrev_b16_e32 v49, 8, v36
	v_sub_i16 v46, v49, v46 clamp
	v_perm_b32 v46, v46, v48, s20
	v_and_b32_sdwa v48, v36, s19 dst_sel:DWORD dst_unused:UNUSED_PAD src0_sel:WORD_1 src1_sel:DWORD
	v_lshlrev_b16_sdwa v36, v26, v36 dst_sel:DWORD dst_unused:UNUSED_PAD src0_sel:DWORD src1_sel:WORD_1
	v_sub_i16 v48, v48, v50 clamp
	v_sub_i16 v36, v36, v47 clamp
	v_perm_b32 v36, v36, v48, s20
	v_lshl_or_b32 v36, v36, 16, v46
	v_and_b32_e32 v46, 0x80402010, v45
	v_cmp_ne_u16_sdwa s[22:23], v46, v21 src0_sel:BYTE_3 src1_sel:DWORD
	v_cmp_ne_u16_sdwa s[24:25], v46, v21 src0_sel:BYTE_1 src1_sel:DWORD
	v_lshrrev_b32_e32 v45, 22, v45
	v_lshrrev_b16_e32 v46, 4, v46
	v_cndmask_b32_e64 v47, 0, -1, s[24:25]
	v_cndmask_b32_e64 v49, 0, -1, s[22:23]
	v_bfe_i32 v46, v46, 0, 1
	v_lshlrev_b16_e32 v47, 8, v47
	v_bfe_i32 v45, v45, 0, 1
	v_lshlrev_b16_e32 v49, 8, v49
	v_or_b32_sdwa v48, v46, v47 dst_sel:DWORD dst_unused:UNUSED_PAD src0_sel:BYTE_0 src1_sel:DWORD
	v_or_b32_sdwa v50, v45, v49 dst_sel:WORD_1 dst_unused:UNUSED_PAD src0_sel:BYTE_0 src1_sel:DWORD
	v_or_b32_sdwa v48, v48, v50 dst_sel:DWORD dst_unused:UNUSED_PAD src0_sel:WORD_0 src1_sel:DWORD
	s_waitcnt vmcnt(0)
	v_xor_b32_e32 v37, v37, v48
	v_and_b32_e32 v48, 0xffffff00, v37
	v_sub_i16 v47, v48, v47 clamp
	v_lshlrev_b16_e32 v48, 8, v37
	v_lshlrev_b16_e32 v46, 8, v46
	v_sub_i16 v46, v48, v46 clamp
	v_perm_b32 v46, v46, v47, s20
	v_and_b32_sdwa v47, v37, s19 dst_sel:DWORD dst_unused:UNUSED_PAD src0_sel:WORD_1 src1_sel:DWORD
	v_lshlrev_b16_sdwa v37, v26, v37 dst_sel:DWORD dst_unused:UNUSED_PAD src0_sel:DWORD src1_sel:WORD_1
	v_lshlrev_b16_e32 v45, 8, v45
	v_sub_i16 v47, v47, v49 clamp
	v_sub_i16 v37, v37, v45 clamp
	v_perm_b32 v37, v37, v47, s20
	v_lshl_or_b32 v37, v37, 16, v46
	v_dot4_i32_i8 v7, v36, v7, 0
	v_dot4_i32_i8 v45, v37, v8, v7
	v_lshlrev_b32_sdwa v7, v25, v38 dst_sel:DWORD dst_unused:UNUSED_PAD src0_sel:DWORD src1_sel:BYTE_2
	global_load_dword v7, v7, s[12:13]
	v_lshlrev_b32_sdwa v8, v25, v38 dst_sel:DWORD dst_unused:UNUSED_PAD src0_sel:DWORD src1_sel:BYTE_3
	global_load_dword v8, v8, s[12:13]
	v_bfe_u32 v38, v44, 7, 8
	v_bcnt_u32_b32 v46, v38, 0
	v_and_b32_e32 v46, 1, v46
	v_lshlrev_b32_e32 v46, 7, v46
	v_xor_b32_e32 v38, v46, v38
	v_mul_lo_u32 v38, v38, s17
	v_and_b32_e32 v46, 0x8040201, v38
	v_cmp_ne_u16_sdwa s[22:23], v46, v21 src0_sel:BYTE_3 src1_sel:DWORD
	v_cmp_ne_u16_sdwa s[24:25], v46, v21 src0_sel:BYTE_1 src1_sel:DWORD
	v_lshrrev_b32_e32 v47, 18, v38
	v_cndmask_b32_e64 v48, 0, -1, s[24:25]
	v_cndmask_b32_e64 v50, 0, -1, s[22:23]
	v_bfe_i32 v46, v38, 0, 1
	v_lshlrev_b16_e32 v48, 8, v48
	v_bfe_i32 v47, v47, 0, 1
	v_lshlrev_b16_e32 v50, 8, v50
	v_or_b32_sdwa v49, v46, v48 dst_sel:DWORD dst_unused:UNUSED_PAD src0_sel:BYTE_0 src1_sel:DWORD
	v_or_b32_sdwa v51, v47, v50 dst_sel:WORD_1 dst_unused:UNUSED_PAD src0_sel:BYTE_0 src1_sel:DWORD
	v_or_b32_sdwa v49, v49, v51 dst_sel:DWORD dst_unused:UNUSED_PAD src0_sel:WORD_0 src1_sel:DWORD
	v_lshlrev_b16_e32 v46, 8, v46
	v_lshlrev_b16_e32 v47, 8, v47
	s_waitcnt vmcnt(1)
	v_xor_b32_e32 v7, v7, v49
	v_and_b32_e32 v49, 0xffffff00, v7
	v_sub_i16 v48, v49, v48 clamp
	v_lshlrev_b16_e32 v49, 8, v7
	v_sub_i16 v46, v49, v46 clamp
	v_perm_b32 v46, v46, v48, s20
	v_and_b32_sdwa v48, v7, s19 dst_sel:DWORD dst_unused:UNUSED_PAD src0_sel:WORD_1 src1_sel:DWORD
	v_lshlrev_b16_sdwa v7, v26, v7 dst_sel:DWORD dst_unused:UNUSED_PAD src0_sel:DWORD src1_sel:WORD_1
	v_sub_i16 v48, v48, v50 clamp
	v_sub_i16 v7, v7, v47 clamp
	v_perm_b32 v7, v7, v48, s20
	v_lshl_or_b32 v7, v7, 16, v46
	v_and_b32_e32 v46, 0x80402010, v38
	v_cmp_ne_u16_sdwa s[22:23], v46, v21 src0_sel:BYTE_3 src1_sel:DWORD
	v_cmp_ne_u16_sdwa s[24:25], v46, v21 src0_sel:BYTE_1 src1_sel:DWORD
	v_lshrrev_b32_e32 v38, 22, v38
	v_lshrrev_b16_e32 v46, 4, v46
	v_cndmask_b32_e64 v47, 0, -1, s[24:25]
	v_cndmask_b32_e64 v49, 0, -1, s[22:23]
	v_bfe_i32 v46, v46, 0, 1
	v_lshlrev_b16_e32 v47, 8, v47
	v_bfe_i32 v38, v38, 0, 1
	v_lshlrev_b16_e32 v49, 8, v49
	v_or_b32_sdwa v48, v46, v47 dst_sel:DWORD dst_unused:UNUSED_PAD src0_sel:BYTE_0 src1_sel:DWORD
	v_or_b32_sdwa v50, v38, v49 dst_sel:WORD_1 dst_unused:UNUSED_PAD src0_sel:BYTE_0 src1_sel:DWORD
	v_or_b32_sdwa v48, v48, v50 dst_sel:DWORD dst_unused:UNUSED_PAD src0_sel:WORD_0 src1_sel:DWORD
	s_waitcnt vmcnt(0)
	v_xor_b32_e32 v8, v8, v48
	v_and_b32_e32 v48, 0xffffff00, v8
	v_sub_i16 v47, v48, v47 clamp
	v_lshlrev_b16_e32 v48, 8, v8
	v_lshlrev_b16_e32 v46, 8, v46
	v_sub_i16 v46, v48, v46 clamp
	v_perm_b32 v46, v46, v47, s20
	v_and_b32_sdwa v47, v8, s19 dst_sel:DWORD dst_unused:UNUSED_PAD src0_sel:WORD_1 src1_sel:DWORD
	v_lshlrev_b16_sdwa v8, v26, v8 dst_sel:DWORD dst_unused:UNUSED_PAD src0_sel:DWORD src1_sel:WORD_1
	v_lshlrev_b16_e32 v38, 8, v38
	v_sub_i16 v47, v47, v49 clamp
	v_sub_i16 v8, v8, v38 clamp
	v_perm_b32 v8, v8, v47, s20
	v_lshl_or_b32 v8, v8, 16, v46
	v_dot4_i32_i8 v9, v7, v9, v45
	v_dot4_i32_i8 v2, v8, v2, v9
	v_lshlrev_b32_sdwa v9, v25, v39 dst_sel:DWORD dst_unused:UNUSED_PAD src0_sel:DWORD src1_sel:BYTE_0
	global_load_dword v9, v9, s[12:13]
	v_lshlrev_b32_sdwa v38, v25, v39 dst_sel:DWORD dst_unused:UNUSED_PAD src0_sel:DWORD src1_sel:BYTE_1
	global_load_dword v38, v38, s[12:13]
	v_bfe_u32 v45, v44, 14, 8
	v_bcnt_u32_b32 v46, v45, 0
	v_and_b32_e32 v46, 1, v46
	v_lshlrev_b32_e32 v46, 7, v46
	v_xor_b32_e32 v45, v46, v45
	v_mul_lo_u32 v45, v45, s17
	v_and_b32_e32 v46, 0x8040201, v45
	v_cmp_ne_u16_sdwa s[22:23], v46, v21 src0_sel:BYTE_3 src1_sel:DWORD
	v_cmp_ne_u16_sdwa s[24:25], v46, v21 src0_sel:BYTE_1 src1_sel:DWORD
	v_lshrrev_b32_e32 v47, 18, v45
	v_cndmask_b32_e64 v48, 0, -1, s[24:25]
	v_cndmask_b32_e64 v50, 0, -1, s[22:23]
	v_bfe_i32 v46, v45, 0, 1
	v_lshlrev_b16_e32 v48, 8, v48
	v_bfe_i32 v47, v47, 0, 1
	v_lshlrev_b16_e32 v50, 8, v50
	v_or_b32_sdwa v49, v46, v48 dst_sel:DWORD dst_unused:UNUSED_PAD src0_sel:BYTE_0 src1_sel:DWORD
	v_or_b32_sdwa v51, v47, v50 dst_sel:WORD_1 dst_unused:UNUSED_PAD src0_sel:BYTE_0 src1_sel:DWORD
	v_or_b32_sdwa v49, v49, v51 dst_sel:DWORD dst_unused:UNUSED_PAD src0_sel:WORD_0 src1_sel:DWORD
	v_lshlrev_b16_e32 v46, 8, v46
	v_lshlrev_b16_e32 v47, 8, v47
	s_waitcnt vmcnt(1)
	v_xor_b32_e32 v9, v9, v49
	v_and_b32_e32 v49, 0xffffff00, v9
	v_sub_i16 v48, v49, v48 clamp
	v_lshlrev_b16_e32 v49, 8, v9
	v_sub_i16 v46, v49, v46 clamp
	v_perm_b32 v46, v46, v48, s20
	v_and_b32_sdwa v48, v9, s19 dst_sel:DWORD dst_unused:UNUSED_PAD src0_sel:WORD_1 src1_sel:DWORD
	v_lshlrev_b16_sdwa v9, v26, v9 dst_sel:DWORD dst_unused:UNUSED_PAD src0_sel:DWORD src1_sel:WORD_1
	v_sub_i16 v48, v48, v50 clamp
	v_sub_i16 v9, v9, v47 clamp
	v_perm_b32 v9, v9, v48, s20
	v_lshl_or_b32 v9, v9, 16, v46
	v_and_b32_e32 v46, 0x80402010, v45
	v_cmp_ne_u16_sdwa s[22:23], v46, v21 src0_sel:BYTE_3 src1_sel:DWORD
	v_cmp_ne_u16_sdwa s[24:25], v46, v21 src0_sel:BYTE_1 src1_sel:DWORD
	v_dot4_i32_i8 v2, v9, v3, v2
	v_lshlrev_b32_sdwa v3, v25, v39 dst_sel:DWORD dst_unused:UNUSED_PAD src0_sel:DWORD src1_sel:BYTE_2
	v_lshrrev_b32_e32 v45, 22, v45
	v_lshrrev_b16_e32 v46, 4, v46
	v_cndmask_b32_e64 v47, 0, -1, s[24:25]
	v_cndmask_b32_e64 v49, 0, -1, s[22:23]
	global_load_dword v3, v3, s[12:13]
	v_bfe_i32 v46, v46, 0, 1
	v_lshlrev_b16_e32 v47, 8, v47
	v_bfe_i32 v45, v45, 0, 1
	v_lshlrev_b16_e32 v49, 8, v49
	v_or_b32_sdwa v48, v46, v47 dst_sel:DWORD dst_unused:UNUSED_PAD src0_sel:BYTE_0 src1_sel:DWORD
	v_or_b32_sdwa v50, v45, v49 dst_sel:WORD_1 dst_unused:UNUSED_PAD src0_sel:BYTE_0 src1_sel:DWORD
	v_or_b32_sdwa v48, v48, v50 dst_sel:DWORD dst_unused:UNUSED_PAD src0_sel:WORD_0 src1_sel:DWORD
	s_waitcnt vmcnt(1)
	v_xor_b32_e32 v38, v38, v48
	v_and_b32_e32 v48, 0xffffff00, v38
	v_sub_i16 v47, v48, v47 clamp
	v_lshlrev_b16_e32 v48, 8, v38
	v_lshlrev_b16_e32 v46, 8, v46
	v_sub_i16 v46, v48, v46 clamp
	v_perm_b32 v46, v46, v47, s20
	v_and_b32_sdwa v47, v38, s19 dst_sel:DWORD dst_unused:UNUSED_PAD src0_sel:WORD_1 src1_sel:DWORD
	v_lshlrev_b16_sdwa v38, v26, v38 dst_sel:DWORD dst_unused:UNUSED_PAD src0_sel:DWORD src1_sel:WORD_1
	v_lshlrev_b16_e32 v45, 8, v45
	v_sub_i16 v47, v47, v49 clamp
	v_sub_i16 v38, v38, v45 clamp
	v_perm_b32 v38, v38, v47, s20
	v_lshl_or_b32 v38, v38, 16, v46
	v_dot4_i32_i8 v2, v38, v4, v2
	v_lshlrev_b32_sdwa v4, v25, v39 dst_sel:DWORD dst_unused:UNUSED_PAD src0_sel:DWORD src1_sel:BYTE_3
	global_load_dword v4, v4, s[12:13]
	v_bfe_u32 v39, v44, 21, 8
	v_bcnt_u32_b32 v45, v39, 0
	v_and_b32_e32 v45, 1, v45
	v_lshlrev_b32_e32 v45, 7, v45
	v_xor_b32_e32 v39, v45, v39
	v_mul_lo_u32 v39, v39, s17
	v_and_b32_e32 v45, 0x8040201, v39
	v_cmp_ne_u16_sdwa s[12:13], v45, v21 src0_sel:BYTE_3 src1_sel:DWORD
	v_cmp_ne_u16_sdwa s[22:23], v45, v21 src0_sel:BYTE_1 src1_sel:DWORD
	v_lshrrev_b32_e32 v46, 18, v39
	v_cndmask_b32_e64 v47, 0, -1, s[22:23]
	v_cndmask_b32_e64 v49, 0, -1, s[12:13]
	v_bfe_i32 v45, v39, 0, 1
	v_lshlrev_b16_e32 v47, 8, v47
	v_bfe_i32 v46, v46, 0, 1
	v_lshlrev_b16_e32 v49, 8, v49
	v_or_b32_sdwa v48, v45, v47 dst_sel:DWORD dst_unused:UNUSED_PAD src0_sel:BYTE_0 src1_sel:DWORD
	v_or_b32_sdwa v50, v46, v49 dst_sel:WORD_1 dst_unused:UNUSED_PAD src0_sel:BYTE_0 src1_sel:DWORD
	v_or_b32_sdwa v48, v48, v50 dst_sel:DWORD dst_unused:UNUSED_PAD src0_sel:WORD_0 src1_sel:DWORD
	v_lshlrev_b16_e32 v45, 8, v45
	v_lshlrev_b16_e32 v46, 8, v46
	s_waitcnt vmcnt(1)
	v_xor_b32_e32 v3, v3, v48
	v_and_b32_e32 v48, 0xffffff00, v3
	v_sub_i16 v47, v48, v47 clamp
	v_lshlrev_b16_e32 v48, 8, v3
	v_sub_i16 v45, v48, v45 clamp
	v_perm_b32 v45, v45, v47, s20
	v_and_b32_sdwa v47, v3, s19 dst_sel:DWORD dst_unused:UNUSED_PAD src0_sel:WORD_1 src1_sel:DWORD
	v_lshlrev_b16_sdwa v3, v26, v3 dst_sel:DWORD dst_unused:UNUSED_PAD src0_sel:DWORD src1_sel:WORD_1
	v_sub_i16 v47, v47, v49 clamp
	v_sub_i16 v3, v3, v46 clamp
	v_perm_b32 v3, v3, v47, s20
	v_lshl_or_b32 v3, v3, 16, v45
	v_and_b32_e32 v45, 0x80402010, v39
	v_cmp_ne_u16_sdwa s[12:13], v45, v21 src0_sel:BYTE_3 src1_sel:DWORD
	v_cmp_ne_u16_sdwa s[22:23], v45, v21 src0_sel:BYTE_1 src1_sel:DWORD
	v_lshrrev_b32_e32 v39, 22, v39
	v_lshrrev_b16_e32 v45, 4, v45
	v_cndmask_b32_e64 v46, 0, -1, s[22:23]
	v_cndmask_b32_e64 v48, 0, -1, s[12:13]
	v_bfe_i32 v45, v45, 0, 1
	v_lshlrev_b16_e32 v46, 8, v46
	v_bfe_i32 v39, v39, 0, 1
	v_lshlrev_b16_e32 v48, 8, v48
	v_or_b32_sdwa v47, v45, v46 dst_sel:DWORD dst_unused:UNUSED_PAD src0_sel:BYTE_0 src1_sel:DWORD
	v_or_b32_sdwa v49, v39, v48 dst_sel:WORD_1 dst_unused:UNUSED_PAD src0_sel:BYTE_0 src1_sel:DWORD
	v_or_b32_sdwa v47, v47, v49 dst_sel:DWORD dst_unused:UNUSED_PAD src0_sel:WORD_0 src1_sel:DWORD
	s_waitcnt vmcnt(0)
	v_xor_b32_e32 v4, v4, v47
	v_and_b32_e32 v47, 0xffffff00, v4
	v_sub_i16 v46, v47, v46 clamp
	v_lshlrev_b16_e32 v47, 8, v4
	v_lshlrev_b16_e32 v45, 8, v45
	v_sub_i16 v45, v47, v45 clamp
	v_perm_b32 v45, v45, v46, s20
	v_and_b32_sdwa v46, v4, s19 dst_sel:DWORD dst_unused:UNUSED_PAD src0_sel:WORD_1 src1_sel:DWORD
	v_lshlrev_b16_sdwa v4, v26, v4 dst_sel:DWORD dst_unused:UNUSED_PAD src0_sel:DWORD src1_sel:WORD_1
	v_lshlrev_b16_e32 v39, 8, v39
	v_sub_i16 v46, v46, v48 clamp
	v_sub_i16 v4, v4, v39 clamp
	v_perm_b32 v4, v4, v46, s20
	v_lshl_or_b32 v39, v4, 16, v45
	v_dot4_i32_i8 v2, v3, v5, v2
	v_dot4_i32_i8 v5, v39, v41, v2
	v_lshrrev_b32_e32 v2, 31, v5
	v_add_u32_e32 v2, v5, v2
	v_lshrrev_b32_e32 v4, 28, v44
	v_ashrrev_i32_e32 v2, 1, v2
	v_mad_u64_u32 v[44:45], s[12:13], v5, v4, v[2:3]
	v_mad_u64_u32 v[48:49], s[12:13], v22, 36, v[10:11]
	v_lshrrev_b32_e32 v2, 31, v44
	v_add_u32_e32 v2, v44, v2
	v_ashrrev_i32_e32 v5, 1, v2
	global_load_ushort v2, v[42:43], off
	v_cvt_f32_i32_e32 v5, v5
	v_add_u32_e32 v22, 0x80, v22
	s_waitcnt vmcnt(0)
	v_cvt_f32_f16_e32 v2, v2
	v_mul_f32_e32 v40, v2, v40
	v_fmac_f32_e32 v18, v40, v5
	global_load_dword v50, v[48:49], off offset:32
	global_load_dwordx4 v[40:43], v[48:49], off offset:16
	global_load_dwordx4 v[44:47], v[48:49], off
	s_waitcnt vmcnt(0)
	v_dot4_i32_i8 v5, v6, v45, 0
	v_dot4_i32_i8 v5, v27, v46, v5
	;; [unrolled: 1-line block ×8, first 2 shown]
	v_lshrrev_b32_e32 v5, 31, v6
	v_add_u32_e32 v5, v6, v5
	v_ashrrev_i32_e32 v5, 1, v5
	v_mad_u64_u32 v[5:6], s[12:13], v6, v34, v[5:6]
	v_cvt_f32_f16_e32 v44, v44
	v_lshrrev_b32_e32 v6, 31, v5
	v_add_u32_e32 v5, v5, v6
	v_ashrrev_i32_e32 v5, 1, v5
	v_cvt_f32_i32_e32 v5, v5
	v_mul_f32_e32 v6, v31, v44
	v_mul_f32_e32 v2, v2, v44
	v_fmac_f32_e32 v17, v6, v5
	v_dot4_i32_i8 v5, v36, v45, 0
	v_dot4_i32_i8 v5, v37, v46, v5
	;; [unrolled: 1-line block ×8, first 2 shown]
	v_lshrrev_b32_e32 v3, 31, v5
	v_add_u32_e32 v3, v5, v3
	v_ashrrev_i32_e32 v3, 1, v3
	v_mad_u64_u32 v[3:4], s[12:13], v5, v4, v[3:4]
	v_lshrrev_b32_e32 v4, 31, v3
	v_add_u32_e32 v3, v3, v4
	v_ashrrev_i32_e32 v3, 1, v3
	v_cvt_f32_i32_e32 v3, v3
	v_fmac_f32_e32 v16, v2, v3
	s_andn2_b64 exec, exec, s[0:1]
	s_cbranch_execnz .LBB197_2
; %bb.3:
	s_or_b64 exec, exec, s[0:1]
.LBB197_4:
	s_or_b64 exec, exec, s[10:11]
	v_cmp_eq_u32_e32 vcc, 0, v1
	v_cmp_ne_u32_e64 s[0:1], 0, v1
	v_lshlrev_b32_e32 v2, 2, v0
	s_and_saveexec_b64 s[10:11], s[0:1]
	s_cbranch_execz .LBB197_6
; %bb.5:
	v_lshl_or_b32 v1, v1, 10, v2
	v_add_u32_e32 v1, 0xfffffc00, v1
	ds_write2st64_b32 v1, v19, v18 offset1:1
	ds_write2st64_b32 v1, v17, v16 offset0:2 offset1:3
.LBB197_6:
	s_or_b64 exec, exec, s[10:11]
	s_waitcnt lgkmcnt(0)
	s_barrier
	s_and_saveexec_b64 s[0:1], vcc
	s_cbranch_execz .LBB197_11
; %bb.7:
	v_mbcnt_lo_u32_b32 v1, -1, 0
	v_mbcnt_hi_u32_b32 v7, -1, v1
	ds_read2st64_b32 v[5:6], v2 offset1:1
	v_and_b32_e32 v1, 64, v7
	v_add_u32_e32 v8, 64, v1
	v_xor_b32_e32 v1, 32, v7
	v_cmp_lt_i32_e32 vcc, v1, v8
	v_cndmask_b32_e32 v1, v7, v1, vcc
	v_lshlrev_b32_e32 v1, 2, v1
	s_waitcnt lgkmcnt(0)
	v_add_f32_e32 v10, v5, v19
	v_add_f32_e32 v6, v6, v18
	ds_bpermute_b32 v11, v1, v10
	ds_bpermute_b32 v12, v1, v6
	v_xor_b32_e32 v3, 16, v7
	v_cmp_lt_i32_e32 vcc, v3, v8
	v_cndmask_b32_e32 v3, v7, v3, vcc
	v_lshlrev_b32_e32 v3, 2, v3
	s_waitcnt lgkmcnt(1)
	v_add_f32_e32 v10, v10, v11
	s_waitcnt lgkmcnt(0)
	v_add_f32_e32 v6, v6, v12
	ds_bpermute_b32 v11, v3, v10
	ds_bpermute_b32 v12, v3, v6
	v_xor_b32_e32 v4, 8, v7
	v_cmp_lt_i32_e32 vcc, v4, v8
	v_cndmask_b32_e32 v4, v7, v4, vcc
	v_lshlrev_b32_e32 v4, 2, v4
	s_waitcnt lgkmcnt(1)
	v_add_f32_e32 v10, v10, v11
	s_waitcnt lgkmcnt(0)
	;; [unrolled: 10-line block ×3, first 2 shown]
	v_add_f32_e32 v12, v12, v13
	ds_bpermute_b32 v11, v5, v10
	ds_bpermute_b32 v13, v5, v12
	v_xor_b32_e32 v9, 2, v7
	v_cmp_lt_i32_e32 vcc, v9, v8
	v_cndmask_b32_e32 v9, v7, v9, vcc
	v_lshlrev_b32_e32 v6, 2, v9
	v_xor_b32_e32 v9, 1, v7
	v_cmp_lt_i32_e32 vcc, v9, v8
	s_waitcnt lgkmcnt(1)
	v_add_f32_e32 v8, v10, v11
	s_waitcnt lgkmcnt(0)
	v_add_f32_e32 v11, v12, v13
	ds_bpermute_b32 v10, v6, v8
	ds_bpermute_b32 v12, v6, v11
	s_load_dwordx2 s[0:1], s[4:5], 0x38
	v_cndmask_b32_e32 v7, v7, v9, vcc
	s_mul_i32 s4, s14, s7
	v_lshlrev_b32_e32 v9, 2, v7
	s_waitcnt lgkmcnt(0)
	v_add_f32_e32 v7, v8, v10
	v_add_f32_e32 v10, v11, v12
	s_mul_i32 s3, s18, s8
	s_add_i32 s4, s4, s6
	ds_bpermute_b32 v8, v9, v7
	ds_bpermute_b32 v11, v9, v10
	s_add_i32 s4, s4, s3
	s_mov_b32 s5, 0
	s_lshl_b64 s[4:5], s[4:5], 2
	s_add_u32 s4, s0, s4
	v_add_u32_e32 v12, s6, v0
	s_addc_u32 s5, s1, s5
	v_cmp_gt_u32_e32 vcc, 2, v0
	v_cmp_gt_u32_e64 s[0:1], s2, v12
	s_and_b64 s[0:1], vcc, s[0:1]
	s_waitcnt lgkmcnt(1)
	v_add_f32_e32 v7, v7, v8
	s_waitcnt lgkmcnt(0)
	v_add_f32_e32 v8, v10, v11
	s_and_saveexec_b64 s[6:7], s[0:1]
	s_cbranch_execz .LBB197_9
; %bb.8:
	v_cmp_eq_u32_e32 vcc, 1, v0
	v_cndmask_b32_e32 v10, v7, v8, vcc
	v_cmp_eq_u32_e32 vcc, 2, v0
	v_cndmask_b32_e32 v10, v10, v17, vcc
	;; [unrolled: 2-line block ×3, first 2 shown]
	global_store_dword v2, v10, s[4:5]
.LBB197_9:
	s_or_b64 exec, exec, s[6:7]
	ds_read2st64_b32 v[10:11], v2 offset0:2 offset1:3
	s_waitcnt lgkmcnt(0)
	v_add_f32_e32 v2, v10, v17
	v_add_f32_e32 v10, v11, v16
	ds_bpermute_b32 v11, v1, v2
	ds_bpermute_b32 v1, v1, v10
	s_waitcnt lgkmcnt(1)
	v_add_f32_e32 v2, v2, v11
	s_waitcnt lgkmcnt(0)
	v_add_f32_e32 v1, v10, v1
	ds_bpermute_b32 v10, v3, v2
	ds_bpermute_b32 v3, v3, v1
	s_waitcnt lgkmcnt(1)
	v_add_f32_e32 v2, v2, v10
	s_waitcnt lgkmcnt(0)
	;; [unrolled: 6-line block ×5, first 2 shown]
	v_add_f32_e32 v2, v3, v4
	ds_bpermute_b32 v3, v9, v1
	ds_bpermute_b32 v4, v9, v2
	s_and_b64 exec, exec, s[0:1]
	s_cbranch_execz .LBB197_11
; %bb.10:
	s_waitcnt lgkmcnt(1)
	v_add_f32_e32 v1, v1, v3
	v_add_u32_e32 v3, 2, v0
	v_cmp_eq_u32_e32 vcc, 1, v3
	s_waitcnt lgkmcnt(0)
	v_add_f32_e32 v2, v2, v4
	v_cndmask_b32_e32 v4, v7, v8, vcc
	v_cmp_eq_u32_e32 vcc, 2, v3
	v_cndmask_b32_e32 v1, v4, v1, vcc
	v_cmp_eq_u32_e32 vcc, 3, v3
	v_cndmask_b32_e32 v2, v1, v2, vcc
	v_add_u32_e32 v0, s2, v0
	v_mov_b32_e32 v1, 0
	v_lshlrev_b64 v[0:1], 2, v[0:1]
	v_mov_b32_e32 v3, s5
	v_add_co_u32_e32 v0, vcc, s4, v0
	v_addc_co_u32_e32 v1, vcc, v3, v1, vcc
	global_store_dword v[0:1], v2, off
.LBB197_11:
	s_endpgm
	.section	.rodata,"a",@progbits
	.p2align	6, 0x0
	.amdhsa_kernel _ZL13mul_mat_vec_qIL9ggml_type18ELi2ELb0ELb0EEvPKvS2_PKi31ggml_cuda_mm_fusion_args_devicePfj15HIP_vector_typeIjLj3EEjjjS8_jjjS8_jjjj
		.amdhsa_group_segment_fixed_size 1024
		.amdhsa_private_segment_fixed_size 0
		.amdhsa_kernarg_size 144
		.amdhsa_user_sgpr_count 6
		.amdhsa_user_sgpr_private_segment_buffer 1
		.amdhsa_user_sgpr_dispatch_ptr 0
		.amdhsa_user_sgpr_queue_ptr 0
		.amdhsa_user_sgpr_kernarg_segment_ptr 1
		.amdhsa_user_sgpr_dispatch_id 0
		.amdhsa_user_sgpr_flat_scratch_init 0
		.amdhsa_user_sgpr_private_segment_size 0
		.amdhsa_uses_dynamic_stack 0
		.amdhsa_system_sgpr_private_segment_wavefront_offset 0
		.amdhsa_system_sgpr_workgroup_id_x 1
		.amdhsa_system_sgpr_workgroup_id_y 1
		.amdhsa_system_sgpr_workgroup_id_z 1
		.amdhsa_system_sgpr_workgroup_info 0
		.amdhsa_system_vgpr_workitem_id 1
		.amdhsa_next_free_vgpr 52
		.amdhsa_next_free_sgpr 26
		.amdhsa_reserve_vcc 1
		.amdhsa_reserve_flat_scratch 0
		.amdhsa_float_round_mode_32 0
		.amdhsa_float_round_mode_16_64 0
		.amdhsa_float_denorm_mode_32 3
		.amdhsa_float_denorm_mode_16_64 3
		.amdhsa_dx10_clamp 1
		.amdhsa_ieee_mode 1
		.amdhsa_fp16_overflow 0
		.amdhsa_exception_fp_ieee_invalid_op 0
		.amdhsa_exception_fp_denorm_src 0
		.amdhsa_exception_fp_ieee_div_zero 0
		.amdhsa_exception_fp_ieee_overflow 0
		.amdhsa_exception_fp_ieee_underflow 0
		.amdhsa_exception_fp_ieee_inexact 0
		.amdhsa_exception_int_div_zero 0
	.end_amdhsa_kernel
	.section	.text._ZL13mul_mat_vec_qIL9ggml_type18ELi2ELb0ELb0EEvPKvS2_PKi31ggml_cuda_mm_fusion_args_devicePfj15HIP_vector_typeIjLj3EEjjjS8_jjjS8_jjjj,"axG",@progbits,_ZL13mul_mat_vec_qIL9ggml_type18ELi2ELb0ELb0EEvPKvS2_PKi31ggml_cuda_mm_fusion_args_devicePfj15HIP_vector_typeIjLj3EEjjjS8_jjjS8_jjjj,comdat
.Lfunc_end197:
	.size	_ZL13mul_mat_vec_qIL9ggml_type18ELi2ELb0ELb0EEvPKvS2_PKi31ggml_cuda_mm_fusion_args_devicePfj15HIP_vector_typeIjLj3EEjjjS8_jjjS8_jjjj, .Lfunc_end197-_ZL13mul_mat_vec_qIL9ggml_type18ELi2ELb0ELb0EEvPKvS2_PKi31ggml_cuda_mm_fusion_args_devicePfj15HIP_vector_typeIjLj3EEjjjS8_jjjS8_jjjj
                                        ; -- End function
	.set _ZL13mul_mat_vec_qIL9ggml_type18ELi2ELb0ELb0EEvPKvS2_PKi31ggml_cuda_mm_fusion_args_devicePfj15HIP_vector_typeIjLj3EEjjjS8_jjjS8_jjjj.num_vgpr, 52
	.set _ZL13mul_mat_vec_qIL9ggml_type18ELi2ELb0ELb0EEvPKvS2_PKi31ggml_cuda_mm_fusion_args_devicePfj15HIP_vector_typeIjLj3EEjjjS8_jjjS8_jjjj.num_agpr, 0
	.set _ZL13mul_mat_vec_qIL9ggml_type18ELi2ELb0ELb0EEvPKvS2_PKi31ggml_cuda_mm_fusion_args_devicePfj15HIP_vector_typeIjLj3EEjjjS8_jjjS8_jjjj.numbered_sgpr, 26
	.set _ZL13mul_mat_vec_qIL9ggml_type18ELi2ELb0ELb0EEvPKvS2_PKi31ggml_cuda_mm_fusion_args_devicePfj15HIP_vector_typeIjLj3EEjjjS8_jjjS8_jjjj.num_named_barrier, 0
	.set _ZL13mul_mat_vec_qIL9ggml_type18ELi2ELb0ELb0EEvPKvS2_PKi31ggml_cuda_mm_fusion_args_devicePfj15HIP_vector_typeIjLj3EEjjjS8_jjjS8_jjjj.private_seg_size, 0
	.set _ZL13mul_mat_vec_qIL9ggml_type18ELi2ELb0ELb0EEvPKvS2_PKi31ggml_cuda_mm_fusion_args_devicePfj15HIP_vector_typeIjLj3EEjjjS8_jjjS8_jjjj.uses_vcc, 1
	.set _ZL13mul_mat_vec_qIL9ggml_type18ELi2ELb0ELb0EEvPKvS2_PKi31ggml_cuda_mm_fusion_args_devicePfj15HIP_vector_typeIjLj3EEjjjS8_jjjS8_jjjj.uses_flat_scratch, 0
	.set _ZL13mul_mat_vec_qIL9ggml_type18ELi2ELb0ELb0EEvPKvS2_PKi31ggml_cuda_mm_fusion_args_devicePfj15HIP_vector_typeIjLj3EEjjjS8_jjjS8_jjjj.has_dyn_sized_stack, 0
	.set _ZL13mul_mat_vec_qIL9ggml_type18ELi2ELb0ELb0EEvPKvS2_PKi31ggml_cuda_mm_fusion_args_devicePfj15HIP_vector_typeIjLj3EEjjjS8_jjjS8_jjjj.has_recursion, 0
	.set _ZL13mul_mat_vec_qIL9ggml_type18ELi2ELb0ELb0EEvPKvS2_PKi31ggml_cuda_mm_fusion_args_devicePfj15HIP_vector_typeIjLj3EEjjjS8_jjjS8_jjjj.has_indirect_call, 0
	.section	.AMDGPU.csdata,"",@progbits
; Kernel info:
; codeLenInByte = 5528
; TotalNumSgprs: 30
; NumVgprs: 52
; ScratchSize: 0
; MemoryBound: 0
; FloatMode: 240
; IeeeMode: 1
; LDSByteSize: 1024 bytes/workgroup (compile time only)
; SGPRBlocks: 3
; VGPRBlocks: 12
; NumSGPRsForWavesPerEU: 30
; NumVGPRsForWavesPerEU: 52
; Occupancy: 4
; WaveLimiterHint : 0
; COMPUTE_PGM_RSRC2:SCRATCH_EN: 0
; COMPUTE_PGM_RSRC2:USER_SGPR: 6
; COMPUTE_PGM_RSRC2:TRAP_HANDLER: 0
; COMPUTE_PGM_RSRC2:TGID_X_EN: 1
; COMPUTE_PGM_RSRC2:TGID_Y_EN: 1
; COMPUTE_PGM_RSRC2:TGID_Z_EN: 1
; COMPUTE_PGM_RSRC2:TIDIG_COMP_CNT: 1
	.section	.text._ZL13mul_mat_vec_qIL9ggml_type18ELi3ELb0ELb0EEvPKvS2_PKi31ggml_cuda_mm_fusion_args_devicePfj15HIP_vector_typeIjLj3EEjjjS8_jjjS8_jjjj,"axG",@progbits,_ZL13mul_mat_vec_qIL9ggml_type18ELi3ELb0ELb0EEvPKvS2_PKi31ggml_cuda_mm_fusion_args_devicePfj15HIP_vector_typeIjLj3EEjjjS8_jjjS8_jjjj,comdat
	.globl	_ZL13mul_mat_vec_qIL9ggml_type18ELi3ELb0ELb0EEvPKvS2_PKi31ggml_cuda_mm_fusion_args_devicePfj15HIP_vector_typeIjLj3EEjjjS8_jjjS8_jjjj ; -- Begin function _ZL13mul_mat_vec_qIL9ggml_type18ELi3ELb0ELb0EEvPKvS2_PKi31ggml_cuda_mm_fusion_args_devicePfj15HIP_vector_typeIjLj3EEjjjS8_jjjS8_jjjj
	.p2align	8
	.type	_ZL13mul_mat_vec_qIL9ggml_type18ELi3ELb0ELb0EEvPKvS2_PKi31ggml_cuda_mm_fusion_args_devicePfj15HIP_vector_typeIjLj3EEjjjS8_jjjS8_jjjj,@function
_ZL13mul_mat_vec_qIL9ggml_type18ELi3ELb0ELb0EEvPKvS2_PKi31ggml_cuda_mm_fusion_args_devicePfj15HIP_vector_typeIjLj3EEjjjS8_jjjS8_jjjj: ; @_ZL13mul_mat_vec_qIL9ggml_type18ELi3ELb0ELb0EEvPKvS2_PKi31ggml_cuda_mm_fusion_args_devicePfj15HIP_vector_typeIjLj3EEjjjS8_jjjS8_jjjj
; %bb.0:
	s_load_dword s9, s[4:5], 0x40
	s_load_dwordx4 s[0:3], s[4:5], 0x50
	s_load_dword s25, s[4:5], 0x60
	s_load_dwordx4 s[12:15], s[4:5], 0x68
	;; [unrolled: 2-line block ×3, first 2 shown]
	v_lshl_add_u32 v2, v1, 6, v0
	s_waitcnt lgkmcnt(0)
	s_lshr_b32 s9, s9, 8
	v_lshrrev_b32_e32 v24, 3, v2
	v_mov_b32_e32 v19, 0
	s_lshl_b32 s6, s6, 1
	v_cmp_gt_u32_e32 vcc, s9, v24
	v_mov_b32_e32 v20, v19
	v_mov_b32_e32 v21, v19
	;; [unrolled: 1-line block ×5, first 2 shown]
	s_and_saveexec_b64 s[10:11], vcc
	s_cbranch_execz .LBB198_4
; %bb.1:
	s_mul_hi_u32 s3, s3, s7
	s_add_i32 s3, s7, s3
	s_load_dwordx4 s[20:23], s[4:5], 0x0
	s_lshr_b32 s3, s3, s25
	s_mul_i32 s3, s3, s12
	s_mul_hi_u32 s12, s15, s8
	s_add_i32 s12, s8, s12
	s_lshr_b32 s12, s12, s24
	s_mul_i32 s19, s17, s8
	s_mul_i32 s15, s12, s16
	;; [unrolled: 1-line block ×3, first 2 shown]
	s_mul_hi_u32 s12, s19, 36
	s_waitcnt lgkmcnt(0)
	s_add_u32 s16, s22, s16
	s_addc_u32 s17, s23, s12
	s_mul_i32 s12, s13, s7
	s_mul_hi_u32 s13, s12, 36
	s_mul_i32 s12, s12, 36
	s_add_u32 s16, s16, s12
	s_addc_u32 s17, s17, s13
	v_lshlrev_b32_e32 v2, 1, v0
	v_and_b32_e32 v6, 7, v0
	v_and_b32_e32 v4, 14, v2
	v_mad_u64_u32 v[10:11], s[16:17], v6, 36, s[16:17]
	v_mov_b32_e32 v2, s12
	s_movk_i32 s17, 0x120
	v_mov_b32_e32 v3, s13
	v_mad_u64_u32 v[2:3], s[12:13], v24, s17, v[2:3]
	s_add_i32 s16, s6, 1
	s_add_i32 s15, s15, s3
	v_mad_u64_u32 v[2:3], s[12:13], s19, 36, v[2:3]
	v_lshlrev_b32_e32 v5, 1, v4
	s_mul_i32 s3, s6, s0
	v_mad_u64_u32 v[2:3], s[12:13], v6, 36, v[2:3]
	v_mov_b32_e32 v6, s23
	s_mul_i32 s0, s0, s16
	v_add_co_u32_e32 v2, vcc, s22, v2
	v_addc_co_u32_e32 v3, vcc, v6, v3, vcc
	v_lshlrev_b32_e32 v7, 3, v24
	v_add_co_u32_e32 v12, vcc, 32, v2
	v_mov_b32_e32 v14, s20
	v_mov_b32_e32 v25, 0
	s_add_i32 s3, s15, s3
	s_add_i32 s15, s15, s0
	v_add_u32_e32 v26, s1, v7
	v_lshl_add_u32 v27, s1, 1, v7
	v_addc_co_u32_e32 v13, vcc, 0, v3, vcc
	s_mov_b64 s[0:1], 0
	s_movk_i32 s16, 0x62
	v_mov_b32_e32 v15, s21
	v_lshlrev_b32_e32 v28, 1, v5
	v_lshlrev_b32_e32 v29, 1, v4
	s_mov_b32 s17, 0x1010101
	s_movk_i32 s19, 0xff00
	s_mov_b32 s20, 0xc0c0105
	v_mov_b32_e32 v30, 2
	v_mov_b32_e32 v31, 8
	v_mov_b32_e32 v18, 0
	v_mov_b32_e32 v19, 0
	v_mov_b32_e32 v20, 0
	v_mov_b32_e32 v21, 0
	v_mov_b32_e32 v22, 0
	v_mov_b32_e32 v23, 0
.LBB198_2:                              ; =>This Inner Loop Header: Depth=1
	v_add_u32_e32 v16, s3, v24
	v_mad_i64_i32 v[16:17], s[12:13], v16, s16, v[14:15]
	global_load_dword v45, v[12:13], off
	global_load_dwordx4 v[2:5], v[12:13], off offset:-16
	global_load_dwordx4 v[6:9], v[12:13], off offset:-32
	s_getpc_b64 s[12:13]
	s_add_u32 s12, s12, _ZL11iq3xxs_grid@rel32@lo+4
	s_addc_u32 s13, s13, _ZL11iq3xxs_grid@rel32@hi+12
	v_add_co_u32_e32 v32, vcc, v16, v28
	v_addc_co_u32_e32 v33, vcc, 0, v17, vcc
	global_load_dwordx2 v[36:37], v[32:33], off offset:2
	v_add_co_u32_e32 v32, vcc, v16, v29
	v_addc_co_u32_e32 v33, vcc, 0, v17, vcc
	global_load_dword v38, v[32:33], off offset:66
	s_waitcnt vmcnt(2)
	v_cvt_f32_f16_e32 v42, v6
	global_load_ushort v16, v[16:17], off
	s_waitcnt vmcnt(2)
	v_lshlrev_b32_sdwa v6, v30, v36 dst_sel:DWORD dst_unused:UNUSED_PAD src0_sel:DWORD src1_sel:BYTE_0
	global_load_dword v6, v6, s[12:13]
	v_lshlrev_b32_sdwa v32, v30, v36 dst_sel:DWORD dst_unused:UNUSED_PAD src0_sel:DWORD src1_sel:BYTE_1
	global_load_dword v32, v32, s[12:13]
	s_waitcnt vmcnt(3)
	v_and_b32_e32 v33, 0xff, v38
	v_bcnt_u32_b32 v34, v33, 0
	v_and_b32_e32 v34, 1, v34
	v_lshlrev_b32_e32 v34, 7, v34
	v_xor_b32_e32 v33, v34, v33
	v_mul_lo_u32 v33, v33, s17
	v_and_b32_e32 v34, 0x8040201, v33
	v_cmp_ne_u16_sdwa s[22:23], v34, v25 src0_sel:BYTE_3 src1_sel:DWORD
	v_cmp_ne_u16_sdwa s[24:25], v34, v25 src0_sel:BYTE_1 src1_sel:DWORD
	v_lshrrev_b32_e32 v35, 18, v33
	v_cndmask_b32_e64 v39, 0, -1, s[24:25]
	v_cndmask_b32_e64 v41, 0, -1, s[22:23]
	v_bfe_i32 v34, v33, 0, 1
	v_lshlrev_b16_e32 v39, 8, v39
	v_bfe_i32 v35, v35, 0, 1
	v_lshlrev_b16_e32 v41, 8, v41
	v_or_b32_sdwa v40, v34, v39 dst_sel:DWORD dst_unused:UNUSED_PAD src0_sel:BYTE_0 src1_sel:DWORD
	v_or_b32_sdwa v43, v35, v41 dst_sel:WORD_1 dst_unused:UNUSED_PAD src0_sel:BYTE_0 src1_sel:DWORD
	v_or_b32_sdwa v40, v40, v43 dst_sel:DWORD dst_unused:UNUSED_PAD src0_sel:WORD_0 src1_sel:DWORD
	v_lshlrev_b16_e32 v34, 8, v34
	v_lshlrev_b16_e32 v35, 8, v35
	s_waitcnt vmcnt(1)
	v_xor_b32_e32 v6, v6, v40
	v_and_b32_e32 v40, 0xffffff00, v6
	v_sub_i16 v39, v40, v39 clamp
	v_lshlrev_b16_e32 v40, 8, v6
	v_sub_i16 v34, v40, v34 clamp
	v_perm_b32 v34, v34, v39, s20
	v_and_b32_sdwa v39, v6, s19 dst_sel:DWORD dst_unused:UNUSED_PAD src0_sel:WORD_1 src1_sel:DWORD
	v_lshlrev_b16_sdwa v6, v31, v6 dst_sel:DWORD dst_unused:UNUSED_PAD src0_sel:DWORD src1_sel:WORD_1
	v_sub_i16 v39, v39, v41 clamp
	v_sub_i16 v6, v6, v35 clamp
	v_perm_b32 v6, v6, v39, s20
	v_lshl_or_b32 v6, v6, 16, v34
	v_and_b32_e32 v34, 0x80402010, v33
	v_cmp_ne_u16_sdwa s[22:23], v34, v25 src0_sel:BYTE_3 src1_sel:DWORD
	v_cmp_ne_u16_sdwa s[24:25], v34, v25 src0_sel:BYTE_1 src1_sel:DWORD
	v_lshrrev_b32_e32 v33, 22, v33
	v_lshrrev_b16_e32 v34, 4, v34
	v_cndmask_b32_e64 v35, 0, -1, s[24:25]
	v_cndmask_b32_e64 v40, 0, -1, s[22:23]
	v_bfe_i32 v34, v34, 0, 1
	v_lshlrev_b16_e32 v35, 8, v35
	v_bfe_i32 v33, v33, 0, 1
	v_lshlrev_b16_e32 v40, 8, v40
	v_or_b32_sdwa v39, v34, v35 dst_sel:DWORD dst_unused:UNUSED_PAD src0_sel:BYTE_0 src1_sel:DWORD
	v_or_b32_sdwa v41, v33, v40 dst_sel:WORD_1 dst_unused:UNUSED_PAD src0_sel:BYTE_0 src1_sel:DWORD
	v_or_b32_sdwa v39, v39, v41 dst_sel:DWORD dst_unused:UNUSED_PAD src0_sel:WORD_0 src1_sel:DWORD
	s_waitcnt vmcnt(0)
	v_xor_b32_e32 v32, v32, v39
	v_and_b32_e32 v39, 0xffffff00, v32
	v_sub_i16 v35, v39, v35 clamp
	v_lshlrev_b16_e32 v39, 8, v32
	v_lshlrev_b16_e32 v34, 8, v34
	v_sub_i16 v34, v39, v34 clamp
	v_perm_b32 v34, v34, v35, s20
	v_and_b32_sdwa v35, v32, s19 dst_sel:DWORD dst_unused:UNUSED_PAD src0_sel:WORD_1 src1_sel:DWORD
	v_lshlrev_b16_sdwa v32, v31, v32 dst_sel:DWORD dst_unused:UNUSED_PAD src0_sel:DWORD src1_sel:WORD_1
	v_lshlrev_b16_e32 v33, 8, v33
	v_sub_i16 v35, v35, v40 clamp
	v_sub_i16 v32, v32, v33 clamp
	v_perm_b32 v32, v32, v35, s20
	v_lshl_or_b32 v32, v32, 16, v34
	v_dot4_i32_i8 v33, v6, v7, 0
	v_dot4_i32_i8 v35, v32, v8, v33
	v_lshlrev_b32_sdwa v33, v30, v36 dst_sel:DWORD dst_unused:UNUSED_PAD src0_sel:DWORD src1_sel:BYTE_2
	global_load_dword v33, v33, s[12:13]
	v_lshlrev_b32_sdwa v34, v30, v36 dst_sel:DWORD dst_unused:UNUSED_PAD src0_sel:DWORD src1_sel:BYTE_3
	global_load_dword v34, v34, s[12:13]
	v_bfe_u32 v36, v38, 7, 8
	v_bcnt_u32_b32 v39, v36, 0
	v_and_b32_e32 v39, 1, v39
	v_lshlrev_b32_e32 v39, 7, v39
	v_xor_b32_e32 v36, v39, v36
	v_mul_lo_u32 v36, v36, s17
	v_and_b32_e32 v39, 0x8040201, v36
	v_cmp_ne_u16_sdwa s[22:23], v39, v25 src0_sel:BYTE_3 src1_sel:DWORD
	v_cmp_ne_u16_sdwa s[24:25], v39, v25 src0_sel:BYTE_1 src1_sel:DWORD
	v_lshrrev_b32_e32 v40, 18, v36
	v_cndmask_b32_e64 v41, 0, -1, s[24:25]
	v_cndmask_b32_e64 v44, 0, -1, s[22:23]
	v_bfe_i32 v39, v36, 0, 1
	v_lshlrev_b16_e32 v41, 8, v41
	v_bfe_i32 v40, v40, 0, 1
	v_lshlrev_b16_e32 v44, 8, v44
	v_or_b32_sdwa v43, v39, v41 dst_sel:DWORD dst_unused:UNUSED_PAD src0_sel:BYTE_0 src1_sel:DWORD
	v_or_b32_sdwa v46, v40, v44 dst_sel:WORD_1 dst_unused:UNUSED_PAD src0_sel:BYTE_0 src1_sel:DWORD
	v_or_b32_sdwa v43, v43, v46 dst_sel:DWORD dst_unused:UNUSED_PAD src0_sel:WORD_0 src1_sel:DWORD
	v_lshlrev_b16_e32 v39, 8, v39
	v_lshlrev_b16_e32 v40, 8, v40
	s_waitcnt vmcnt(1)
	v_xor_b32_e32 v33, v33, v43
	v_and_b32_e32 v43, 0xffffff00, v33
	v_sub_i16 v41, v43, v41 clamp
	v_lshlrev_b16_e32 v43, 8, v33
	v_sub_i16 v39, v43, v39 clamp
	v_perm_b32 v39, v39, v41, s20
	v_and_b32_sdwa v41, v33, s19 dst_sel:DWORD dst_unused:UNUSED_PAD src0_sel:WORD_1 src1_sel:DWORD
	v_lshlrev_b16_sdwa v33, v31, v33 dst_sel:DWORD dst_unused:UNUSED_PAD src0_sel:DWORD src1_sel:WORD_1
	v_sub_i16 v41, v41, v44 clamp
	v_sub_i16 v33, v33, v40 clamp
	v_perm_b32 v33, v33, v41, s20
	v_lshl_or_b32 v33, v33, 16, v39
	v_and_b32_e32 v39, 0x80402010, v36
	v_cmp_ne_u16_sdwa s[22:23], v39, v25 src0_sel:BYTE_3 src1_sel:DWORD
	v_cmp_ne_u16_sdwa s[24:25], v39, v25 src0_sel:BYTE_1 src1_sel:DWORD
	v_lshrrev_b32_e32 v36, 22, v36
	v_lshrrev_b16_e32 v39, 4, v39
	v_cndmask_b32_e64 v40, 0, -1, s[24:25]
	v_cndmask_b32_e64 v43, 0, -1, s[22:23]
	v_bfe_i32 v39, v39, 0, 1
	v_lshlrev_b16_e32 v40, 8, v40
	v_bfe_i32 v36, v36, 0, 1
	v_lshlrev_b16_e32 v43, 8, v43
	v_or_b32_sdwa v41, v39, v40 dst_sel:DWORD dst_unused:UNUSED_PAD src0_sel:BYTE_0 src1_sel:DWORD
	v_or_b32_sdwa v44, v36, v43 dst_sel:WORD_1 dst_unused:UNUSED_PAD src0_sel:BYTE_0 src1_sel:DWORD
	v_or_b32_sdwa v41, v41, v44 dst_sel:DWORD dst_unused:UNUSED_PAD src0_sel:WORD_0 src1_sel:DWORD
	s_waitcnt vmcnt(0)
	v_xor_b32_e32 v34, v34, v41
	v_and_b32_e32 v41, 0xffffff00, v34
	v_sub_i16 v40, v41, v40 clamp
	v_lshlrev_b16_e32 v41, 8, v34
	v_lshlrev_b16_e32 v39, 8, v39
	v_sub_i16 v39, v41, v39 clamp
	v_perm_b32 v39, v39, v40, s20
	v_and_b32_sdwa v40, v34, s19 dst_sel:DWORD dst_unused:UNUSED_PAD src0_sel:WORD_1 src1_sel:DWORD
	v_lshlrev_b16_sdwa v34, v31, v34 dst_sel:DWORD dst_unused:UNUSED_PAD src0_sel:DWORD src1_sel:WORD_1
	v_lshlrev_b16_e32 v36, 8, v36
	v_sub_i16 v40, v40, v43 clamp
	v_sub_i16 v34, v34, v36 clamp
	v_perm_b32 v34, v34, v40, s20
	v_lshl_or_b32 v34, v34, 16, v39
	v_dot4_i32_i8 v35, v33, v9, v35
	v_dot4_i32_i8 v39, v34, v2, v35
	v_lshlrev_b32_sdwa v35, v30, v37 dst_sel:DWORD dst_unused:UNUSED_PAD src0_sel:DWORD src1_sel:BYTE_0
	global_load_dword v35, v35, s[12:13]
	v_lshlrev_b32_sdwa v36, v30, v37 dst_sel:DWORD dst_unused:UNUSED_PAD src0_sel:DWORD src1_sel:BYTE_1
	global_load_dword v36, v36, s[12:13]
	v_bfe_u32 v40, v38, 14, 8
	v_bcnt_u32_b32 v41, v40, 0
	v_and_b32_e32 v41, 1, v41
	v_lshlrev_b32_e32 v41, 7, v41
	v_xor_b32_e32 v40, v41, v40
	v_mul_lo_u32 v40, v40, s17
	v_and_b32_e32 v41, 0x8040201, v40
	v_cmp_ne_u16_sdwa s[22:23], v41, v25 src0_sel:BYTE_3 src1_sel:DWORD
	v_cmp_ne_u16_sdwa s[24:25], v41, v25 src0_sel:BYTE_1 src1_sel:DWORD
	v_lshrrev_b32_e32 v43, 18, v40
	v_cndmask_b32_e64 v44, 0, -1, s[24:25]
	v_cndmask_b32_e64 v47, 0, -1, s[22:23]
	v_bfe_i32 v41, v40, 0, 1
	v_lshlrev_b16_e32 v44, 8, v44
	v_bfe_i32 v43, v43, 0, 1
	v_lshlrev_b16_e32 v47, 8, v47
	v_or_b32_sdwa v46, v41, v44 dst_sel:DWORD dst_unused:UNUSED_PAD src0_sel:BYTE_0 src1_sel:DWORD
	v_or_b32_sdwa v48, v43, v47 dst_sel:WORD_1 dst_unused:UNUSED_PAD src0_sel:BYTE_0 src1_sel:DWORD
	v_or_b32_sdwa v46, v46, v48 dst_sel:DWORD dst_unused:UNUSED_PAD src0_sel:WORD_0 src1_sel:DWORD
	v_lshlrev_b16_e32 v41, 8, v41
	v_lshlrev_b16_e32 v43, 8, v43
	s_waitcnt vmcnt(1)
	v_xor_b32_e32 v35, v35, v46
	v_and_b32_e32 v46, 0xffffff00, v35
	v_sub_i16 v44, v46, v44 clamp
	v_lshlrev_b16_e32 v46, 8, v35
	v_sub_i16 v41, v46, v41 clamp
	v_perm_b32 v41, v41, v44, s20
	v_and_b32_sdwa v44, v35, s19 dst_sel:DWORD dst_unused:UNUSED_PAD src0_sel:WORD_1 src1_sel:DWORD
	v_lshlrev_b16_sdwa v35, v31, v35 dst_sel:DWORD dst_unused:UNUSED_PAD src0_sel:DWORD src1_sel:WORD_1
	v_sub_i16 v44, v44, v47 clamp
	v_sub_i16 v35, v35, v43 clamp
	v_perm_b32 v35, v35, v44, s20
	v_lshl_or_b32 v35, v35, 16, v41
	v_and_b32_e32 v41, 0x80402010, v40
	v_cmp_ne_u16_sdwa s[22:23], v41, v25 src0_sel:BYTE_3 src1_sel:DWORD
	v_cmp_ne_u16_sdwa s[24:25], v41, v25 src0_sel:BYTE_1 src1_sel:DWORD
	v_lshrrev_b32_e32 v40, 22, v40
	v_lshrrev_b16_e32 v41, 4, v41
	v_cndmask_b32_e64 v43, 0, -1, s[24:25]
	v_cndmask_b32_e64 v46, 0, -1, s[22:23]
	v_bfe_i32 v41, v41, 0, 1
	v_lshlrev_b16_e32 v43, 8, v43
	v_bfe_i32 v40, v40, 0, 1
	v_lshlrev_b16_e32 v46, 8, v46
	v_or_b32_sdwa v44, v41, v43 dst_sel:DWORD dst_unused:UNUSED_PAD src0_sel:BYTE_0 src1_sel:DWORD
	v_or_b32_sdwa v47, v40, v46 dst_sel:WORD_1 dst_unused:UNUSED_PAD src0_sel:BYTE_0 src1_sel:DWORD
	v_or_b32_sdwa v44, v44, v47 dst_sel:DWORD dst_unused:UNUSED_PAD src0_sel:WORD_0 src1_sel:DWORD
	s_waitcnt vmcnt(0)
	v_xor_b32_e32 v36, v36, v44
	v_and_b32_e32 v44, 0xffffff00, v36
	v_sub_i16 v43, v44, v43 clamp
	v_lshlrev_b16_e32 v44, 8, v36
	v_lshlrev_b16_e32 v41, 8, v41
	v_sub_i16 v41, v44, v41 clamp
	v_perm_b32 v41, v41, v43, s20
	v_and_b32_sdwa v43, v36, s19 dst_sel:DWORD dst_unused:UNUSED_PAD src0_sel:WORD_1 src1_sel:DWORD
	v_lshlrev_b16_sdwa v36, v31, v36 dst_sel:DWORD dst_unused:UNUSED_PAD src0_sel:DWORD src1_sel:WORD_1
	v_lshlrev_b16_e32 v40, 8, v40
	v_sub_i16 v36, v36, v40 clamp
	v_lshlrev_b32_sdwa v40, v30, v37 dst_sel:DWORD dst_unused:UNUSED_PAD src0_sel:DWORD src1_sel:BYTE_2
	global_load_dword v40, v40, s[12:13]
	v_sub_i16 v43, v43, v46 clamp
	v_perm_b32 v36, v36, v43, s20
	v_lshlrev_b32_sdwa v37, v30, v37 dst_sel:DWORD dst_unused:UNUSED_PAD src0_sel:DWORD src1_sel:BYTE_3
	v_lshl_or_b32 v36, v36, 16, v41
	global_load_dword v41, v37, s[12:13]
	v_bfe_u32 v37, v38, 21, 8
	v_bcnt_u32_b32 v43, v37, 0
	v_and_b32_e32 v43, 1, v43
	v_lshlrev_b32_e32 v43, 7, v43
	v_xor_b32_e32 v37, v43, v37
	v_mul_lo_u32 v43, v37, s17
	v_dot4_i32_i8 v39, v35, v3, v39
	v_dot4_i32_i8 v39, v36, v4, v39
	v_and_b32_e32 v37, 0x8040201, v43
	v_cmp_ne_u16_sdwa s[22:23], v37, v25 src0_sel:BYTE_3 src1_sel:DWORD
	v_cmp_ne_u16_sdwa s[24:25], v37, v25 src0_sel:BYTE_1 src1_sel:DWORD
	v_lshrrev_b32_e32 v44, 18, v43
	v_cndmask_b32_e64 v46, 0, -1, s[24:25]
	v_cndmask_b32_e64 v48, 0, -1, s[22:23]
	v_bfe_i32 v37, v43, 0, 1
	v_lshlrev_b16_e32 v46, 8, v46
	v_bfe_i32 v44, v44, 0, 1
	v_lshlrev_b16_e32 v48, 8, v48
	v_or_b32_sdwa v47, v37, v46 dst_sel:DWORD dst_unused:UNUSED_PAD src0_sel:BYTE_0 src1_sel:DWORD
	v_or_b32_sdwa v49, v44, v48 dst_sel:WORD_1 dst_unused:UNUSED_PAD src0_sel:BYTE_0 src1_sel:DWORD
	v_or_b32_sdwa v47, v47, v49 dst_sel:DWORD dst_unused:UNUSED_PAD src0_sel:WORD_0 src1_sel:DWORD
	v_lshlrev_b16_e32 v37, 8, v37
	v_lshlrev_b16_e32 v44, 8, v44
	s_waitcnt vmcnt(1)
	v_xor_b32_e32 v40, v40, v47
	v_and_b32_e32 v47, 0xffffff00, v40
	v_sub_i16 v46, v47, v46 clamp
	v_lshlrev_b16_e32 v47, 8, v40
	v_sub_i16 v37, v47, v37 clamp
	v_perm_b32 v37, v37, v46, s20
	v_and_b32_sdwa v46, v40, s19 dst_sel:DWORD dst_unused:UNUSED_PAD src0_sel:WORD_1 src1_sel:DWORD
	v_lshlrev_b16_sdwa v40, v31, v40 dst_sel:DWORD dst_unused:UNUSED_PAD src0_sel:DWORD src1_sel:WORD_1
	v_sub_i16 v46, v46, v48 clamp
	v_sub_i16 v40, v40, v44 clamp
	v_perm_b32 v40, v40, v46, s20
	v_lshl_or_b32 v37, v40, 16, v37
	v_and_b32_e32 v40, 0x80402010, v43
	v_cmp_ne_u16_sdwa s[22:23], v40, v25 src0_sel:BYTE_3 src1_sel:DWORD
	v_cmp_ne_u16_sdwa s[24:25], v40, v25 src0_sel:BYTE_1 src1_sel:DWORD
	v_lshrrev_b32_e32 v43, 22, v43
	v_lshrrev_b16_e32 v40, 4, v40
	v_cndmask_b32_e64 v44, 0, -1, s[24:25]
	v_cndmask_b32_e64 v47, 0, -1, s[22:23]
	v_bfe_i32 v40, v40, 0, 1
	v_lshlrev_b16_e32 v44, 8, v44
	v_bfe_i32 v43, v43, 0, 1
	v_lshlrev_b16_e32 v47, 8, v47
	v_or_b32_sdwa v46, v40, v44 dst_sel:DWORD dst_unused:UNUSED_PAD src0_sel:BYTE_0 src1_sel:DWORD
	v_or_b32_sdwa v48, v43, v47 dst_sel:WORD_1 dst_unused:UNUSED_PAD src0_sel:BYTE_0 src1_sel:DWORD
	v_or_b32_sdwa v46, v46, v48 dst_sel:DWORD dst_unused:UNUSED_PAD src0_sel:WORD_0 src1_sel:DWORD
	s_waitcnt vmcnt(0)
	v_xor_b32_e32 v41, v41, v46
	v_and_b32_e32 v46, 0xffffff00, v41
	v_sub_i16 v44, v46, v44 clamp
	v_lshlrev_b16_e32 v46, 8, v41
	v_lshlrev_b16_e32 v40, 8, v40
	v_sub_i16 v40, v46, v40 clamp
	v_perm_b32 v40, v40, v44, s20
	v_and_b32_sdwa v44, v41, s19 dst_sel:DWORD dst_unused:UNUSED_PAD src0_sel:WORD_1 src1_sel:DWORD
	v_lshlrev_b16_sdwa v41, v31, v41 dst_sel:DWORD dst_unused:UNUSED_PAD src0_sel:DWORD src1_sel:WORD_1
	v_lshlrev_b16_e32 v43, 8, v43
	v_sub_i16 v44, v44, v47 clamp
	v_sub_i16 v41, v41, v43 clamp
	v_perm_b32 v41, v41, v44, s20
	v_lshl_or_b32 v40, v41, 16, v40
	v_dot4_i32_i8 v39, v37, v5, v39
	v_dot4_i32_i8 v41, v40, v45, v39
	v_lshrrev_b32_e32 v39, 28, v38
	v_lshrrev_b32_e32 v38, 31, v41
	v_add_u32_e32 v38, v41, v38
	v_ashrrev_i32_e32 v38, 1, v38
	v_mad_u64_u32 v[43:44], s[22:23], v41, v39, v[38:39]
	v_lshrrev_b32_e32 v38, 31, v43
	v_add_u32_e32 v38, v43, v38
	v_ashrrev_i32_e32 v41, 1, v38
	v_cvt_f32_f16_e32 v38, v16
	v_cvt_f32_i32_e32 v17, v41
	v_mul_f32_e32 v16, v38, v42
	v_fmac_f32_e32 v23, v16, v17
	v_add_u32_e32 v16, s15, v24
	v_mad_i64_i32 v[16:17], s[22:23], v16, s16, v[14:15]
	v_add_u32_e32 v24, 16, v24
	v_add_co_u32_e32 v43, vcc, v16, v28
	v_addc_co_u32_e32 v44, vcc, 0, v17, vcc
	global_load_dwordx2 v[46:47], v[43:44], off offset:2
	v_add_co_u32_e32 v43, vcc, v16, v29
	v_addc_co_u32_e32 v44, vcc, 0, v17, vcc
	global_load_dword v48, v[43:44], off offset:66
	v_add_co_u32_e32 v12, vcc, 0x1200, v12
	v_addc_co_u32_e32 v13, vcc, 0, v13, vcc
	v_cmp_le_u32_e32 vcc, s9, v24
	s_or_b64 s[0:1], vcc, s[0:1]
	s_waitcnt vmcnt(1)
	v_lshlrev_b32_sdwa v41, v30, v46 dst_sel:DWORD dst_unused:UNUSED_PAD src0_sel:DWORD src1_sel:BYTE_0
	global_load_dword v41, v41, s[12:13]
	v_lshlrev_b32_sdwa v43, v30, v46 dst_sel:DWORD dst_unused:UNUSED_PAD src0_sel:DWORD src1_sel:BYTE_1
	global_load_dword v43, v43, s[12:13]
	s_waitcnt vmcnt(2)
	v_and_b32_e32 v44, 0xff, v48
	v_bcnt_u32_b32 v49, v44, 0
	v_and_b32_e32 v49, 1, v49
	v_lshlrev_b32_e32 v49, 7, v49
	v_xor_b32_e32 v44, v49, v44
	v_mul_lo_u32 v44, v44, s17
	v_and_b32_e32 v49, 0x8040201, v44
	v_cmp_ne_u16_sdwa s[22:23], v49, v25 src0_sel:BYTE_3 src1_sel:DWORD
	v_cmp_ne_u16_sdwa s[24:25], v49, v25 src0_sel:BYTE_1 src1_sel:DWORD
	v_lshrrev_b32_e32 v50, 18, v44
	v_cndmask_b32_e64 v51, 0, -1, s[24:25]
	v_cndmask_b32_e64 v53, 0, -1, s[22:23]
	v_bfe_i32 v49, v44, 0, 1
	v_lshlrev_b16_e32 v51, 8, v51
	v_bfe_i32 v50, v50, 0, 1
	v_lshlrev_b16_e32 v53, 8, v53
	v_or_b32_sdwa v52, v49, v51 dst_sel:DWORD dst_unused:UNUSED_PAD src0_sel:BYTE_0 src1_sel:DWORD
	v_or_b32_sdwa v54, v50, v53 dst_sel:WORD_1 dst_unused:UNUSED_PAD src0_sel:BYTE_0 src1_sel:DWORD
	v_or_b32_sdwa v52, v52, v54 dst_sel:DWORD dst_unused:UNUSED_PAD src0_sel:WORD_0 src1_sel:DWORD
	v_lshlrev_b16_e32 v49, 8, v49
	v_lshlrev_b16_e32 v50, 8, v50
	s_waitcnt vmcnt(1)
	v_xor_b32_e32 v41, v41, v52
	v_and_b32_e32 v52, 0xffffff00, v41
	v_sub_i16 v51, v52, v51 clamp
	v_lshlrev_b16_e32 v52, 8, v41
	v_sub_i16 v49, v52, v49 clamp
	v_perm_b32 v49, v49, v51, s20
	v_and_b32_sdwa v51, v41, s19 dst_sel:DWORD dst_unused:UNUSED_PAD src0_sel:WORD_1 src1_sel:DWORD
	v_lshlrev_b16_sdwa v41, v31, v41 dst_sel:DWORD dst_unused:UNUSED_PAD src0_sel:DWORD src1_sel:WORD_1
	v_sub_i16 v51, v51, v53 clamp
	v_sub_i16 v41, v41, v50 clamp
	v_perm_b32 v41, v41, v51, s20
	v_lshl_or_b32 v41, v41, 16, v49
	v_and_b32_e32 v49, 0x80402010, v44
	v_cmp_ne_u16_sdwa s[22:23], v49, v25 src0_sel:BYTE_3 src1_sel:DWORD
	v_cmp_ne_u16_sdwa s[24:25], v49, v25 src0_sel:BYTE_1 src1_sel:DWORD
	v_lshrrev_b32_e32 v44, 22, v44
	v_lshrrev_b16_e32 v49, 4, v49
	v_cndmask_b32_e64 v50, 0, -1, s[24:25]
	v_cndmask_b32_e64 v52, 0, -1, s[22:23]
	v_bfe_i32 v49, v49, 0, 1
	v_lshlrev_b16_e32 v50, 8, v50
	v_bfe_i32 v44, v44, 0, 1
	v_lshlrev_b16_e32 v52, 8, v52
	v_or_b32_sdwa v51, v49, v50 dst_sel:DWORD dst_unused:UNUSED_PAD src0_sel:BYTE_0 src1_sel:DWORD
	v_or_b32_sdwa v53, v44, v52 dst_sel:WORD_1 dst_unused:UNUSED_PAD src0_sel:BYTE_0 src1_sel:DWORD
	v_or_b32_sdwa v51, v51, v53 dst_sel:DWORD dst_unused:UNUSED_PAD src0_sel:WORD_0 src1_sel:DWORD
	s_waitcnt vmcnt(0)
	v_xor_b32_e32 v43, v43, v51
	v_and_b32_e32 v51, 0xffffff00, v43
	v_sub_i16 v50, v51, v50 clamp
	v_lshlrev_b16_e32 v51, 8, v43
	v_lshlrev_b16_e32 v49, 8, v49
	v_sub_i16 v49, v51, v49 clamp
	v_perm_b32 v49, v49, v50, s20
	v_and_b32_sdwa v50, v43, s19 dst_sel:DWORD dst_unused:UNUSED_PAD src0_sel:WORD_1 src1_sel:DWORD
	v_lshlrev_b16_sdwa v43, v31, v43 dst_sel:DWORD dst_unused:UNUSED_PAD src0_sel:DWORD src1_sel:WORD_1
	v_lshlrev_b16_e32 v44, 8, v44
	v_sub_i16 v50, v50, v52 clamp
	v_sub_i16 v43, v43, v44 clamp
	v_perm_b32 v43, v43, v50, s20
	v_lshl_or_b32 v43, v43, 16, v49
	v_dot4_i32_i8 v7, v41, v7, 0
	v_dot4_i32_i8 v44, v43, v8, v7
	v_lshlrev_b32_sdwa v7, v30, v46 dst_sel:DWORD dst_unused:UNUSED_PAD src0_sel:DWORD src1_sel:BYTE_2
	global_load_dword v7, v7, s[12:13]
	v_lshlrev_b32_sdwa v8, v30, v46 dst_sel:DWORD dst_unused:UNUSED_PAD src0_sel:DWORD src1_sel:BYTE_3
	global_load_dword v8, v8, s[12:13]
	v_bfe_u32 v46, v48, 7, 8
	v_bcnt_u32_b32 v49, v46, 0
	v_and_b32_e32 v49, 1, v49
	v_lshlrev_b32_e32 v49, 7, v49
	v_xor_b32_e32 v46, v49, v46
	v_mul_lo_u32 v46, v46, s17
	v_and_b32_e32 v49, 0x8040201, v46
	v_cmp_ne_u16_sdwa s[22:23], v49, v25 src0_sel:BYTE_3 src1_sel:DWORD
	v_cmp_ne_u16_sdwa s[24:25], v49, v25 src0_sel:BYTE_1 src1_sel:DWORD
	v_lshrrev_b32_e32 v50, 18, v46
	v_cndmask_b32_e64 v51, 0, -1, s[24:25]
	v_cndmask_b32_e64 v53, 0, -1, s[22:23]
	v_bfe_i32 v49, v46, 0, 1
	v_lshlrev_b16_e32 v51, 8, v51
	v_bfe_i32 v50, v50, 0, 1
	v_lshlrev_b16_e32 v53, 8, v53
	v_or_b32_sdwa v52, v49, v51 dst_sel:DWORD dst_unused:UNUSED_PAD src0_sel:BYTE_0 src1_sel:DWORD
	v_or_b32_sdwa v54, v50, v53 dst_sel:WORD_1 dst_unused:UNUSED_PAD src0_sel:BYTE_0 src1_sel:DWORD
	v_or_b32_sdwa v52, v52, v54 dst_sel:DWORD dst_unused:UNUSED_PAD src0_sel:WORD_0 src1_sel:DWORD
	v_lshlrev_b16_e32 v49, 8, v49
	v_lshlrev_b16_e32 v50, 8, v50
	s_waitcnt vmcnt(1)
	v_xor_b32_e32 v7, v7, v52
	v_and_b32_e32 v52, 0xffffff00, v7
	v_sub_i16 v51, v52, v51 clamp
	v_lshlrev_b16_e32 v52, 8, v7
	v_sub_i16 v49, v52, v49 clamp
	v_perm_b32 v49, v49, v51, s20
	v_and_b32_sdwa v51, v7, s19 dst_sel:DWORD dst_unused:UNUSED_PAD src0_sel:WORD_1 src1_sel:DWORD
	v_lshlrev_b16_sdwa v7, v31, v7 dst_sel:DWORD dst_unused:UNUSED_PAD src0_sel:DWORD src1_sel:WORD_1
	v_sub_i16 v51, v51, v53 clamp
	v_sub_i16 v7, v7, v50 clamp
	v_perm_b32 v7, v7, v51, s20
	v_lshl_or_b32 v7, v7, 16, v49
	v_and_b32_e32 v49, 0x80402010, v46
	v_cmp_ne_u16_sdwa s[22:23], v49, v25 src0_sel:BYTE_3 src1_sel:DWORD
	v_cmp_ne_u16_sdwa s[24:25], v49, v25 src0_sel:BYTE_1 src1_sel:DWORD
	v_lshrrev_b32_e32 v46, 22, v46
	v_lshrrev_b16_e32 v49, 4, v49
	v_cndmask_b32_e64 v50, 0, -1, s[24:25]
	v_cndmask_b32_e64 v52, 0, -1, s[22:23]
	v_bfe_i32 v49, v49, 0, 1
	v_lshlrev_b16_e32 v50, 8, v50
	v_bfe_i32 v46, v46, 0, 1
	v_lshlrev_b16_e32 v52, 8, v52
	v_or_b32_sdwa v51, v49, v50 dst_sel:DWORD dst_unused:UNUSED_PAD src0_sel:BYTE_0 src1_sel:DWORD
	v_or_b32_sdwa v53, v46, v52 dst_sel:WORD_1 dst_unused:UNUSED_PAD src0_sel:BYTE_0 src1_sel:DWORD
	v_or_b32_sdwa v51, v51, v53 dst_sel:DWORD dst_unused:UNUSED_PAD src0_sel:WORD_0 src1_sel:DWORD
	s_waitcnt vmcnt(0)
	v_xor_b32_e32 v8, v8, v51
	v_and_b32_e32 v51, 0xffffff00, v8
	v_sub_i16 v50, v51, v50 clamp
	v_lshlrev_b16_e32 v51, 8, v8
	v_lshlrev_b16_e32 v49, 8, v49
	v_sub_i16 v49, v51, v49 clamp
	v_perm_b32 v49, v49, v50, s20
	v_and_b32_sdwa v50, v8, s19 dst_sel:DWORD dst_unused:UNUSED_PAD src0_sel:WORD_1 src1_sel:DWORD
	v_lshlrev_b16_sdwa v8, v31, v8 dst_sel:DWORD dst_unused:UNUSED_PAD src0_sel:DWORD src1_sel:WORD_1
	v_lshlrev_b16_e32 v46, 8, v46
	v_sub_i16 v50, v50, v52 clamp
	v_sub_i16 v8, v8, v46 clamp
	v_perm_b32 v8, v8, v50, s20
	v_lshl_or_b32 v8, v8, 16, v49
	v_dot4_i32_i8 v9, v7, v9, v44
	v_dot4_i32_i8 v44, v8, v2, v9
	v_lshlrev_b32_sdwa v2, v30, v47 dst_sel:DWORD dst_unused:UNUSED_PAD src0_sel:DWORD src1_sel:BYTE_0
	global_load_dword v2, v2, s[12:13]
	v_lshlrev_b32_sdwa v9, v30, v47 dst_sel:DWORD dst_unused:UNUSED_PAD src0_sel:DWORD src1_sel:BYTE_1
	global_load_dword v9, v9, s[12:13]
	v_bfe_u32 v46, v48, 14, 8
	v_bcnt_u32_b32 v49, v46, 0
	v_and_b32_e32 v49, 1, v49
	v_lshlrev_b32_e32 v49, 7, v49
	v_xor_b32_e32 v46, v49, v46
	v_mul_lo_u32 v46, v46, s17
	v_and_b32_e32 v49, 0x8040201, v46
	v_cmp_ne_u16_sdwa s[22:23], v49, v25 src0_sel:BYTE_3 src1_sel:DWORD
	v_cmp_ne_u16_sdwa s[24:25], v49, v25 src0_sel:BYTE_1 src1_sel:DWORD
	v_lshrrev_b32_e32 v50, 18, v46
	v_cndmask_b32_e64 v51, 0, -1, s[24:25]
	v_cndmask_b32_e64 v53, 0, -1, s[22:23]
	v_bfe_i32 v49, v46, 0, 1
	v_lshlrev_b16_e32 v51, 8, v51
	v_bfe_i32 v50, v50, 0, 1
	v_lshlrev_b16_e32 v53, 8, v53
	v_or_b32_sdwa v52, v49, v51 dst_sel:DWORD dst_unused:UNUSED_PAD src0_sel:BYTE_0 src1_sel:DWORD
	v_or_b32_sdwa v54, v50, v53 dst_sel:WORD_1 dst_unused:UNUSED_PAD src0_sel:BYTE_0 src1_sel:DWORD
	v_or_b32_sdwa v52, v52, v54 dst_sel:DWORD dst_unused:UNUSED_PAD src0_sel:WORD_0 src1_sel:DWORD
	v_lshlrev_b16_e32 v49, 8, v49
	v_lshlrev_b16_e32 v50, 8, v50
	s_waitcnt vmcnt(1)
	v_xor_b32_e32 v2, v2, v52
	v_and_b32_e32 v52, 0xffffff00, v2
	v_sub_i16 v51, v52, v51 clamp
	v_lshlrev_b16_e32 v52, 8, v2
	v_sub_i16 v49, v52, v49 clamp
	v_perm_b32 v49, v49, v51, s20
	v_and_b32_sdwa v51, v2, s19 dst_sel:DWORD dst_unused:UNUSED_PAD src0_sel:WORD_1 src1_sel:DWORD
	v_lshlrev_b16_sdwa v2, v31, v2 dst_sel:DWORD dst_unused:UNUSED_PAD src0_sel:DWORD src1_sel:WORD_1
	v_sub_i16 v51, v51, v53 clamp
	v_sub_i16 v2, v2, v50 clamp
	v_perm_b32 v2, v2, v51, s20
	v_lshl_or_b32 v2, v2, 16, v49
	v_and_b32_e32 v49, 0x80402010, v46
	v_cmp_ne_u16_sdwa s[22:23], v49, v25 src0_sel:BYTE_3 src1_sel:DWORD
	v_cmp_ne_u16_sdwa s[24:25], v49, v25 src0_sel:BYTE_1 src1_sel:DWORD
	v_lshrrev_b32_e32 v46, 22, v46
	v_lshrrev_b16_e32 v49, 4, v49
	v_cndmask_b32_e64 v50, 0, -1, s[24:25]
	v_cndmask_b32_e64 v52, 0, -1, s[22:23]
	v_bfe_i32 v49, v49, 0, 1
	v_lshlrev_b16_e32 v50, 8, v50
	v_bfe_i32 v46, v46, 0, 1
	v_lshlrev_b16_e32 v52, 8, v52
	v_or_b32_sdwa v51, v49, v50 dst_sel:DWORD dst_unused:UNUSED_PAD src0_sel:BYTE_0 src1_sel:DWORD
	v_or_b32_sdwa v53, v46, v52 dst_sel:WORD_1 dst_unused:UNUSED_PAD src0_sel:BYTE_0 src1_sel:DWORD
	v_or_b32_sdwa v51, v51, v53 dst_sel:DWORD dst_unused:UNUSED_PAD src0_sel:WORD_0 src1_sel:DWORD
	s_waitcnt vmcnt(0)
	v_xor_b32_e32 v9, v9, v51
	v_and_b32_e32 v51, 0xffffff00, v9
	v_sub_i16 v50, v51, v50 clamp
	v_lshlrev_b16_e32 v51, 8, v9
	v_lshlrev_b16_e32 v49, 8, v49
	v_sub_i16 v49, v51, v49 clamp
	v_perm_b32 v49, v49, v50, s20
	v_and_b32_sdwa v50, v9, s19 dst_sel:DWORD dst_unused:UNUSED_PAD src0_sel:WORD_1 src1_sel:DWORD
	v_lshlrev_b16_sdwa v9, v31, v9 dst_sel:DWORD dst_unused:UNUSED_PAD src0_sel:DWORD src1_sel:WORD_1
	v_lshlrev_b16_e32 v46, 8, v46
	v_sub_i16 v50, v50, v52 clamp
	v_sub_i16 v9, v9, v46 clamp
	v_perm_b32 v9, v9, v50, s20
	v_lshl_or_b32 v9, v9, 16, v49
	v_dot4_i32_i8 v3, v2, v3, v44
	v_dot4_i32_i8 v4, v9, v4, v3
	v_lshlrev_b32_sdwa v3, v30, v47 dst_sel:DWORD dst_unused:UNUSED_PAD src0_sel:DWORD src1_sel:BYTE_2
	global_load_dword v3, v3, s[12:13]
	v_lshlrev_b32_sdwa v44, v30, v47 dst_sel:DWORD dst_unused:UNUSED_PAD src0_sel:DWORD src1_sel:BYTE_3
	global_load_dword v44, v44, s[12:13]
	v_bfe_u32 v46, v48, 21, 8
	v_bcnt_u32_b32 v47, v46, 0
	v_and_b32_e32 v47, 1, v47
	v_lshlrev_b32_e32 v47, 7, v47
	v_xor_b32_e32 v46, v47, v46
	v_mul_lo_u32 v46, v46, s17
	v_and_b32_e32 v47, 0x8040201, v46
	v_cmp_ne_u16_sdwa s[12:13], v47, v25 src0_sel:BYTE_3 src1_sel:DWORD
	v_cmp_ne_u16_sdwa s[22:23], v47, v25 src0_sel:BYTE_1 src1_sel:DWORD
	v_lshrrev_b32_e32 v49, 18, v46
	v_cndmask_b32_e64 v50, 0, -1, s[22:23]
	v_cndmask_b32_e64 v52, 0, -1, s[12:13]
	v_bfe_i32 v47, v46, 0, 1
	v_lshlrev_b16_e32 v50, 8, v50
	v_bfe_i32 v49, v49, 0, 1
	v_lshlrev_b16_e32 v52, 8, v52
	v_or_b32_sdwa v51, v47, v50 dst_sel:DWORD dst_unused:UNUSED_PAD src0_sel:BYTE_0 src1_sel:DWORD
	v_or_b32_sdwa v53, v49, v52 dst_sel:WORD_1 dst_unused:UNUSED_PAD src0_sel:BYTE_0 src1_sel:DWORD
	v_or_b32_sdwa v51, v51, v53 dst_sel:DWORD dst_unused:UNUSED_PAD src0_sel:WORD_0 src1_sel:DWORD
	v_lshlrev_b16_e32 v47, 8, v47
	v_lshlrev_b16_e32 v49, 8, v49
	s_waitcnt vmcnt(1)
	v_xor_b32_e32 v3, v3, v51
	v_and_b32_e32 v51, 0xffffff00, v3
	v_sub_i16 v50, v51, v50 clamp
	v_lshlrev_b16_e32 v51, 8, v3
	v_sub_i16 v47, v51, v47 clamp
	v_perm_b32 v47, v47, v50, s20
	v_and_b32_sdwa v50, v3, s19 dst_sel:DWORD dst_unused:UNUSED_PAD src0_sel:WORD_1 src1_sel:DWORD
	v_lshlrev_b16_sdwa v3, v31, v3 dst_sel:DWORD dst_unused:UNUSED_PAD src0_sel:DWORD src1_sel:WORD_1
	v_sub_i16 v50, v50, v52 clamp
	v_sub_i16 v3, v3, v49 clamp
	v_perm_b32 v3, v3, v50, s20
	v_lshl_or_b32 v3, v3, 16, v47
	v_and_b32_e32 v47, 0x80402010, v46
	v_cmp_ne_u16_sdwa s[12:13], v47, v25 src0_sel:BYTE_3 src1_sel:DWORD
	v_cmp_ne_u16_sdwa s[22:23], v47, v25 src0_sel:BYTE_1 src1_sel:DWORD
	v_lshrrev_b32_e32 v46, 22, v46
	v_lshrrev_b16_e32 v47, 4, v47
	v_cndmask_b32_e64 v49, 0, -1, s[22:23]
	v_cndmask_b32_e64 v51, 0, -1, s[12:13]
	v_bfe_i32 v47, v47, 0, 1
	v_lshlrev_b16_e32 v49, 8, v49
	v_bfe_i32 v46, v46, 0, 1
	v_lshlrev_b16_e32 v51, 8, v51
	v_or_b32_sdwa v50, v47, v49 dst_sel:DWORD dst_unused:UNUSED_PAD src0_sel:BYTE_0 src1_sel:DWORD
	v_or_b32_sdwa v52, v46, v51 dst_sel:WORD_1 dst_unused:UNUSED_PAD src0_sel:BYTE_0 src1_sel:DWORD
	v_or_b32_sdwa v50, v50, v52 dst_sel:DWORD dst_unused:UNUSED_PAD src0_sel:WORD_0 src1_sel:DWORD
	s_waitcnt vmcnt(0)
	v_xor_b32_e32 v44, v44, v50
	v_and_b32_e32 v50, 0xffffff00, v44
	v_sub_i16 v49, v50, v49 clamp
	v_lshlrev_b16_e32 v50, 8, v44
	v_lshlrev_b16_e32 v47, 8, v47
	v_sub_i16 v47, v50, v47 clamp
	v_perm_b32 v47, v47, v49, s20
	v_and_b32_sdwa v49, v44, s19 dst_sel:DWORD dst_unused:UNUSED_PAD src0_sel:WORD_1 src1_sel:DWORD
	v_lshlrev_b16_sdwa v44, v31, v44 dst_sel:DWORD dst_unused:UNUSED_PAD src0_sel:DWORD src1_sel:WORD_1
	v_lshlrev_b16_e32 v46, 8, v46
	v_sub_i16 v49, v49, v51 clamp
	v_sub_i16 v44, v44, v46 clamp
	v_perm_b32 v44, v44, v49, s20
	v_lshl_or_b32 v44, v44, 16, v47
	v_dot4_i32_i8 v4, v3, v5, v4
	v_dot4_i32_i8 v45, v44, v45, v4
	v_lshrrev_b32_e32 v5, 31, v45
	v_add_u32_e32 v5, v45, v5
	v_lshrrev_b32_e32 v4, 28, v48
	v_ashrrev_i32_e32 v5, 1, v5
	v_mad_u64_u32 v[45:46], s[12:13], v45, v4, v[5:6]
	v_lshrrev_b32_e32 v5, 31, v45
	v_add_u32_e32 v5, v45, v5
	v_ashrrev_i32_e32 v45, 1, v5
	global_load_ushort v5, v[16:17], off
	v_cvt_f32_i32_e32 v17, v45
	s_waitcnt vmcnt(0)
	v_cvt_f32_f16_e32 v5, v5
	v_mul_f32_e32 v16, v5, v42
	v_fmac_f32_e32 v22, v16, v17
	v_mad_u64_u32 v[16:17], s[12:13], v26, 36, v[10:11]
	global_load_dword v42, v[16:17], off offset:32
	global_load_dwordx4 v[45:48], v[16:17], off offset:16
	global_load_dwordx4 v[49:52], v[16:17], off
	v_add_u32_e32 v26, 0x80, v26
	s_waitcnt vmcnt(0)
	v_dot4_i32_i8 v16, v6, v50, 0
	v_dot4_i32_i8 v16, v32, v51, v16
	;; [unrolled: 1-line block ×8, first 2 shown]
	v_lshrrev_b32_e32 v16, 31, v17
	v_add_u32_e32 v16, v17, v16
	v_ashrrev_i32_e32 v16, 1, v16
	v_mad_u64_u32 v[16:17], s[12:13], v17, v39, v[16:17]
	v_cvt_f32_f16_e32 v49, v49
	v_lshrrev_b32_e32 v17, 31, v16
	v_add_u32_e32 v16, v16, v17
	v_ashrrev_i32_e32 v16, 1, v16
	v_cvt_f32_i32_e32 v16, v16
	v_mul_f32_e32 v17, v38, v49
	v_fmac_f32_e32 v21, v17, v16
	v_dot4_i32_i8 v16, v41, v50, 0
	v_dot4_i32_i8 v16, v43, v51, v16
	;; [unrolled: 1-line block ×8, first 2 shown]
	v_lshrrev_b32_e32 v16, 31, v17
	v_add_u32_e32 v16, v17, v16
	v_ashrrev_i32_e32 v16, 1, v16
	v_mad_u64_u32 v[16:17], s[12:13], v17, v4, v[16:17]
	v_lshrrev_b32_e32 v17, 31, v16
	v_add_u32_e32 v16, v16, v17
	v_ashrrev_i32_e32 v16, 1, v16
	v_cvt_f32_i32_e32 v16, v16
	v_mul_f32_e32 v17, v5, v49
	v_fmac_f32_e32 v20, v17, v16
	v_mad_u64_u32 v[16:17], s[12:13], v27, 36, v[10:11]
	global_load_dword v42, v[16:17], off offset:32
	global_load_dwordx4 v[45:48], v[16:17], off offset:16
	global_load_dwordx4 v[49:52], v[16:17], off
	v_add_u32_e32 v27, 0x80, v27
	s_waitcnt vmcnt(0)
	v_dot4_i32_i8 v6, v6, v50, 0
	v_dot4_i32_i8 v6, v32, v51, v6
	;; [unrolled: 1-line block ×8, first 2 shown]
	v_lshrrev_b32_e32 v6, 31, v16
	v_add_u32_e32 v6, v16, v6
	v_ashrrev_i32_e32 v6, 1, v6
	v_mad_u64_u32 v[16:17], s[12:13], v16, v39, v[6:7]
	v_cvt_f32_f16_e32 v49, v49
	v_lshrrev_b32_e32 v6, 31, v16
	v_add_u32_e32 v6, v16, v6
	v_ashrrev_i32_e32 v6, 1, v6
	v_cvt_f32_i32_e32 v6, v6
	v_mul_f32_e32 v16, v38, v49
	v_fmac_f32_e32 v19, v16, v6
	v_dot4_i32_i8 v6, v41, v50, 0
	v_dot4_i32_i8 v6, v43, v51, v6
	;; [unrolled: 1-line block ×8, first 2 shown]
	v_lshrrev_b32_e32 v2, 31, v3
	v_add_u32_e32 v2, v3, v2
	v_ashrrev_i32_e32 v2, 1, v2
	v_mad_u64_u32 v[2:3], s[12:13], v3, v4, v[2:3]
	v_lshrrev_b32_e32 v3, 31, v2
	v_add_u32_e32 v2, v2, v3
	v_ashrrev_i32_e32 v2, 1, v2
	v_cvt_f32_i32_e32 v2, v2
	v_mul_f32_e32 v3, v5, v49
	v_fmac_f32_e32 v18, v3, v2
	s_andn2_b64 exec, exec, s[0:1]
	s_cbranch_execnz .LBB198_2
; %bb.3:
	s_or_b64 exec, exec, s[0:1]
.LBB198_4:
	s_or_b64 exec, exec, s[10:11]
	v_cmp_eq_u32_e32 vcc, 0, v1
	v_cmp_ne_u32_e64 s[0:1], 0, v1
	s_and_saveexec_b64 s[10:11], s[0:1]
	s_cbranch_execz .LBB198_6
; %bb.5:
	v_mul_u32_u24_e32 v1, 0x600, v1
	v_lshl_or_b32 v1, v0, 2, v1
	v_add_u32_e32 v1, 0xfffffa00, v1
	ds_write2st64_b32 v1, v23, v22 offset1:1
	ds_write2st64_b32 v1, v21, v20 offset0:2 offset1:3
	ds_write2st64_b32 v1, v19, v18 offset0:4 offset1:5
.LBB198_6:
	s_or_b64 exec, exec, s[10:11]
	s_waitcnt lgkmcnt(0)
	s_barrier
	s_and_saveexec_b64 s[0:1], vcc
	s_cbranch_execz .LBB198_13
; %bb.7:
	v_lshlrev_b32_e32 v3, 2, v0
	v_mbcnt_lo_u32_b32 v1, -1, 0
	v_mbcnt_hi_u32_b32 v7, -1, v1
	ds_read2st64_b32 v[5:6], v3 offset1:1
	v_and_b32_e32 v1, 64, v7
	v_add_u32_e32 v8, 64, v1
	v_xor_b32_e32 v1, 32, v7
	v_cmp_lt_i32_e32 vcc, v1, v8
	v_cndmask_b32_e32 v1, v7, v1, vcc
	v_lshlrev_b32_e32 v1, 2, v1
	s_waitcnt lgkmcnt(0)
	v_add_f32_e32 v10, v5, v23
	v_add_f32_e32 v6, v6, v22
	ds_bpermute_b32 v11, v1, v10
	ds_bpermute_b32 v12, v1, v6
	v_xor_b32_e32 v2, 16, v7
	v_cmp_lt_i32_e32 vcc, v2, v8
	v_cndmask_b32_e32 v2, v7, v2, vcc
	v_lshlrev_b32_e32 v2, 2, v2
	s_waitcnt lgkmcnt(1)
	v_add_f32_e32 v10, v10, v11
	s_waitcnt lgkmcnt(0)
	v_add_f32_e32 v6, v6, v12
	ds_bpermute_b32 v11, v2, v10
	ds_bpermute_b32 v12, v2, v6
	v_xor_b32_e32 v4, 8, v7
	v_cmp_lt_i32_e32 vcc, v4, v8
	v_cndmask_b32_e32 v4, v7, v4, vcc
	v_lshlrev_b32_e32 v4, 2, v4
	s_waitcnt lgkmcnt(1)
	v_add_f32_e32 v10, v10, v11
	s_waitcnt lgkmcnt(0)
	;; [unrolled: 10-line block ×3, first 2 shown]
	v_add_f32_e32 v12, v12, v13
	ds_bpermute_b32 v11, v5, v10
	ds_bpermute_b32 v13, v5, v12
	v_xor_b32_e32 v9, 2, v7
	v_cmp_lt_i32_e32 vcc, v9, v8
	v_cndmask_b32_e32 v9, v7, v9, vcc
	v_lshlrev_b32_e32 v6, 2, v9
	v_xor_b32_e32 v9, 1, v7
	v_cmp_lt_i32_e32 vcc, v9, v8
	s_waitcnt lgkmcnt(1)
	v_add_f32_e32 v8, v10, v11
	s_waitcnt lgkmcnt(0)
	v_add_f32_e32 v11, v12, v13
	ds_bpermute_b32 v10, v6, v8
	ds_bpermute_b32 v12, v6, v11
	s_load_dwordx2 s[0:1], s[4:5], 0x38
	v_cndmask_b32_e32 v7, v7, v9, vcc
	s_mul_i32 s4, s14, s7
	v_lshlrev_b32_e32 v9, 2, v7
	s_waitcnt lgkmcnt(0)
	v_add_f32_e32 v7, v8, v10
	v_add_f32_e32 v10, v11, v12
	s_mul_i32 s3, s18, s8
	s_add_i32 s4, s4, s6
	ds_bpermute_b32 v8, v9, v7
	ds_bpermute_b32 v11, v9, v10
	s_add_i32 s4, s4, s3
	s_mov_b32 s5, 0
	s_lshl_b64 s[4:5], s[4:5], 2
	s_add_u32 s4, s0, s4
	v_add_u32_e32 v12, s6, v0
	s_addc_u32 s5, s1, s5
	v_cmp_gt_u32_e32 vcc, 2, v0
	v_cmp_gt_u32_e64 s[0:1], s2, v12
	s_and_b64 s[0:1], vcc, s[0:1]
	s_waitcnt lgkmcnt(1)
	v_add_f32_e32 v7, v7, v8
	s_waitcnt lgkmcnt(0)
	v_add_f32_e32 v8, v10, v11
	s_and_saveexec_b64 s[6:7], s[0:1]
	s_cbranch_execz .LBB198_9
; %bb.8:
	v_cmp_eq_u32_e32 vcc, 1, v0
	v_cndmask_b32_e32 v10, v7, v8, vcc
	v_cmp_eq_u32_e32 vcc, 2, v0
	v_cndmask_b32_e32 v10, v10, v21, vcc
	;; [unrolled: 2-line block ×5, first 2 shown]
	global_store_dword v3, v10, s[4:5]
.LBB198_9:
	s_or_b64 exec, exec, s[6:7]
	ds_read2st64_b32 v[10:11], v3 offset0:2 offset1:3
	s_waitcnt lgkmcnt(0)
	v_add_f32_e32 v10, v10, v21
	v_add_f32_e32 v11, v11, v20
	ds_bpermute_b32 v12, v1, v10
	ds_bpermute_b32 v13, v1, v11
	s_waitcnt lgkmcnt(1)
	v_add_f32_e32 v10, v10, v12
	s_waitcnt lgkmcnt(0)
	v_add_f32_e32 v11, v11, v13
	ds_bpermute_b32 v12, v2, v10
	ds_bpermute_b32 v13, v2, v11
	s_waitcnt lgkmcnt(1)
	v_add_f32_e32 v10, v10, v12
	s_waitcnt lgkmcnt(0)
	;; [unrolled: 6-line block ×6, first 2 shown]
	v_add_f32_e32 v10, v12, v13
	s_and_saveexec_b64 s[6:7], s[0:1]
	s_cbranch_execz .LBB198_11
; %bb.10:
	v_add_u32_e32 v12, 2, v0
	v_cmp_eq_u32_e32 vcc, 1, v12
	v_cndmask_b32_e32 v13, v7, v8, vcc
	v_cmp_eq_u32_e32 vcc, 2, v12
	v_cndmask_b32_e32 v13, v13, v11, vcc
	;; [unrolled: 2-line block ×5, first 2 shown]
	v_add_u32_e32 v12, s2, v0
	v_mov_b32_e32 v13, 0
	v_lshlrev_b64 v[12:13], 2, v[12:13]
	v_mov_b32_e32 v15, s5
	v_add_co_u32_e32 v12, vcc, s4, v12
	v_addc_co_u32_e32 v13, vcc, v15, v13, vcc
	global_store_dword v[12:13], v14, off
.LBB198_11:
	s_or_b64 exec, exec, s[6:7]
	ds_read2st64_b32 v[12:13], v3 offset0:4 offset1:5
	s_waitcnt lgkmcnt(0)
	v_add_f32_e32 v3, v12, v19
	v_add_f32_e32 v12, v13, v18
	ds_bpermute_b32 v13, v1, v3
	ds_bpermute_b32 v1, v1, v12
	s_waitcnt lgkmcnt(1)
	v_add_f32_e32 v3, v3, v13
	s_waitcnt lgkmcnt(0)
	v_add_f32_e32 v1, v12, v1
	ds_bpermute_b32 v12, v2, v3
	ds_bpermute_b32 v2, v2, v1
	s_waitcnt lgkmcnt(1)
	v_add_f32_e32 v3, v3, v12
	s_waitcnt lgkmcnt(0)
	v_add_f32_e32 v1, v1, v2
	ds_bpermute_b32 v2, v4, v3
	ds_bpermute_b32 v4, v4, v1
	s_waitcnt lgkmcnt(1)
	v_add_f32_e32 v2, v3, v2
	s_waitcnt lgkmcnt(0)
	v_add_f32_e32 v1, v1, v4
	ds_bpermute_b32 v3, v5, v2
	ds_bpermute_b32 v4, v5, v1
	s_waitcnt lgkmcnt(1)
	v_add_f32_e32 v2, v2, v3
	s_waitcnt lgkmcnt(0)
	v_add_f32_e32 v3, v1, v4
	ds_bpermute_b32 v1, v6, v2
	ds_bpermute_b32 v4, v6, v3
	s_waitcnt lgkmcnt(1)
	v_add_f32_e32 v1, v2, v1
	s_waitcnt lgkmcnt(0)
	v_add_f32_e32 v2, v3, v4
	ds_bpermute_b32 v3, v9, v1
	ds_bpermute_b32 v4, v9, v2
	s_and_b64 exec, exec, s[0:1]
	s_cbranch_execz .LBB198_13
; %bb.12:
	s_waitcnt lgkmcnt(1)
	v_add_f32_e32 v1, v1, v3
	v_add_u32_e32 v3, 4, v0
	v_cmp_eq_u32_e32 vcc, 1, v3
	s_waitcnt lgkmcnt(0)
	v_add_f32_e32 v2, v2, v4
	v_cndmask_b32_e32 v4, v7, v8, vcc
	v_cmp_eq_u32_e32 vcc, 2, v3
	v_cndmask_b32_e32 v4, v4, v11, vcc
	v_cmp_eq_u32_e32 vcc, 3, v3
	;; [unrolled: 2-line block ×4, first 2 shown]
	v_cndmask_b32_e32 v2, v1, v2, vcc
	v_lshl_or_b32 v0, s2, 1, v0
	v_mov_b32_e32 v1, 0
	v_lshlrev_b64 v[0:1], 2, v[0:1]
	v_mov_b32_e32 v3, s5
	v_add_co_u32_e32 v0, vcc, s4, v0
	v_addc_co_u32_e32 v1, vcc, v3, v1, vcc
	global_store_dword v[0:1], v2, off
.LBB198_13:
	s_endpgm
	.section	.rodata,"a",@progbits
	.p2align	6, 0x0
	.amdhsa_kernel _ZL13mul_mat_vec_qIL9ggml_type18ELi3ELb0ELb0EEvPKvS2_PKi31ggml_cuda_mm_fusion_args_devicePfj15HIP_vector_typeIjLj3EEjjjS8_jjjS8_jjjj
		.amdhsa_group_segment_fixed_size 1536
		.amdhsa_private_segment_fixed_size 0
		.amdhsa_kernarg_size 144
		.amdhsa_user_sgpr_count 6
		.amdhsa_user_sgpr_private_segment_buffer 1
		.amdhsa_user_sgpr_dispatch_ptr 0
		.amdhsa_user_sgpr_queue_ptr 0
		.amdhsa_user_sgpr_kernarg_segment_ptr 1
		.amdhsa_user_sgpr_dispatch_id 0
		.amdhsa_user_sgpr_flat_scratch_init 0
		.amdhsa_user_sgpr_private_segment_size 0
		.amdhsa_uses_dynamic_stack 0
		.amdhsa_system_sgpr_private_segment_wavefront_offset 0
		.amdhsa_system_sgpr_workgroup_id_x 1
		.amdhsa_system_sgpr_workgroup_id_y 1
		.amdhsa_system_sgpr_workgroup_id_z 1
		.amdhsa_system_sgpr_workgroup_info 0
		.amdhsa_system_vgpr_workitem_id 1
		.amdhsa_next_free_vgpr 55
		.amdhsa_next_free_sgpr 26
		.amdhsa_reserve_vcc 1
		.amdhsa_reserve_flat_scratch 0
		.amdhsa_float_round_mode_32 0
		.amdhsa_float_round_mode_16_64 0
		.amdhsa_float_denorm_mode_32 3
		.amdhsa_float_denorm_mode_16_64 3
		.amdhsa_dx10_clamp 1
		.amdhsa_ieee_mode 1
		.amdhsa_fp16_overflow 0
		.amdhsa_exception_fp_ieee_invalid_op 0
		.amdhsa_exception_fp_denorm_src 0
		.amdhsa_exception_fp_ieee_div_zero 0
		.amdhsa_exception_fp_ieee_overflow 0
		.amdhsa_exception_fp_ieee_underflow 0
		.amdhsa_exception_fp_ieee_inexact 0
		.amdhsa_exception_int_div_zero 0
	.end_amdhsa_kernel
	.section	.text._ZL13mul_mat_vec_qIL9ggml_type18ELi3ELb0ELb0EEvPKvS2_PKi31ggml_cuda_mm_fusion_args_devicePfj15HIP_vector_typeIjLj3EEjjjS8_jjjS8_jjjj,"axG",@progbits,_ZL13mul_mat_vec_qIL9ggml_type18ELi3ELb0ELb0EEvPKvS2_PKi31ggml_cuda_mm_fusion_args_devicePfj15HIP_vector_typeIjLj3EEjjjS8_jjjS8_jjjj,comdat
.Lfunc_end198:
	.size	_ZL13mul_mat_vec_qIL9ggml_type18ELi3ELb0ELb0EEvPKvS2_PKi31ggml_cuda_mm_fusion_args_devicePfj15HIP_vector_typeIjLj3EEjjjS8_jjjS8_jjjj, .Lfunc_end198-_ZL13mul_mat_vec_qIL9ggml_type18ELi3ELb0ELb0EEvPKvS2_PKi31ggml_cuda_mm_fusion_args_devicePfj15HIP_vector_typeIjLj3EEjjjS8_jjjS8_jjjj
                                        ; -- End function
	.set _ZL13mul_mat_vec_qIL9ggml_type18ELi3ELb0ELb0EEvPKvS2_PKi31ggml_cuda_mm_fusion_args_devicePfj15HIP_vector_typeIjLj3EEjjjS8_jjjS8_jjjj.num_vgpr, 55
	.set _ZL13mul_mat_vec_qIL9ggml_type18ELi3ELb0ELb0EEvPKvS2_PKi31ggml_cuda_mm_fusion_args_devicePfj15HIP_vector_typeIjLj3EEjjjS8_jjjS8_jjjj.num_agpr, 0
	.set _ZL13mul_mat_vec_qIL9ggml_type18ELi3ELb0ELb0EEvPKvS2_PKi31ggml_cuda_mm_fusion_args_devicePfj15HIP_vector_typeIjLj3EEjjjS8_jjjS8_jjjj.numbered_sgpr, 26
	.set _ZL13mul_mat_vec_qIL9ggml_type18ELi3ELb0ELb0EEvPKvS2_PKi31ggml_cuda_mm_fusion_args_devicePfj15HIP_vector_typeIjLj3EEjjjS8_jjjS8_jjjj.num_named_barrier, 0
	.set _ZL13mul_mat_vec_qIL9ggml_type18ELi3ELb0ELb0EEvPKvS2_PKi31ggml_cuda_mm_fusion_args_devicePfj15HIP_vector_typeIjLj3EEjjjS8_jjjS8_jjjj.private_seg_size, 0
	.set _ZL13mul_mat_vec_qIL9ggml_type18ELi3ELb0ELb0EEvPKvS2_PKi31ggml_cuda_mm_fusion_args_devicePfj15HIP_vector_typeIjLj3EEjjjS8_jjjS8_jjjj.uses_vcc, 1
	.set _ZL13mul_mat_vec_qIL9ggml_type18ELi3ELb0ELb0EEvPKvS2_PKi31ggml_cuda_mm_fusion_args_devicePfj15HIP_vector_typeIjLj3EEjjjS8_jjjS8_jjjj.uses_flat_scratch, 0
	.set _ZL13mul_mat_vec_qIL9ggml_type18ELi3ELb0ELb0EEvPKvS2_PKi31ggml_cuda_mm_fusion_args_devicePfj15HIP_vector_typeIjLj3EEjjjS8_jjjS8_jjjj.has_dyn_sized_stack, 0
	.set _ZL13mul_mat_vec_qIL9ggml_type18ELi3ELb0ELb0EEvPKvS2_PKi31ggml_cuda_mm_fusion_args_devicePfj15HIP_vector_typeIjLj3EEjjjS8_jjjS8_jjjj.has_recursion, 0
	.set _ZL13mul_mat_vec_qIL9ggml_type18ELi3ELb0ELb0EEvPKvS2_PKi31ggml_cuda_mm_fusion_args_devicePfj15HIP_vector_typeIjLj3EEjjjS8_jjjS8_jjjj.has_indirect_call, 0
	.section	.AMDGPU.csdata,"",@progbits
; Kernel info:
; codeLenInByte = 6168
; TotalNumSgprs: 30
; NumVgprs: 55
; ScratchSize: 0
; MemoryBound: 0
; FloatMode: 240
; IeeeMode: 1
; LDSByteSize: 1536 bytes/workgroup (compile time only)
; SGPRBlocks: 3
; VGPRBlocks: 13
; NumSGPRsForWavesPerEU: 30
; NumVGPRsForWavesPerEU: 55
; Occupancy: 4
; WaveLimiterHint : 0
; COMPUTE_PGM_RSRC2:SCRATCH_EN: 0
; COMPUTE_PGM_RSRC2:USER_SGPR: 6
; COMPUTE_PGM_RSRC2:TRAP_HANDLER: 0
; COMPUTE_PGM_RSRC2:TGID_X_EN: 1
; COMPUTE_PGM_RSRC2:TGID_Y_EN: 1
; COMPUTE_PGM_RSRC2:TGID_Z_EN: 1
; COMPUTE_PGM_RSRC2:TIDIG_COMP_CNT: 1
	.section	.text._ZL13mul_mat_vec_qIL9ggml_type18ELi4ELb0ELb0EEvPKvS2_PKi31ggml_cuda_mm_fusion_args_devicePfj15HIP_vector_typeIjLj3EEjjjS8_jjjS8_jjjj,"axG",@progbits,_ZL13mul_mat_vec_qIL9ggml_type18ELi4ELb0ELb0EEvPKvS2_PKi31ggml_cuda_mm_fusion_args_devicePfj15HIP_vector_typeIjLj3EEjjjS8_jjjS8_jjjj,comdat
	.globl	_ZL13mul_mat_vec_qIL9ggml_type18ELi4ELb0ELb0EEvPKvS2_PKi31ggml_cuda_mm_fusion_args_devicePfj15HIP_vector_typeIjLj3EEjjjS8_jjjS8_jjjj ; -- Begin function _ZL13mul_mat_vec_qIL9ggml_type18ELi4ELb0ELb0EEvPKvS2_PKi31ggml_cuda_mm_fusion_args_devicePfj15HIP_vector_typeIjLj3EEjjjS8_jjjS8_jjjj
	.p2align	8
	.type	_ZL13mul_mat_vec_qIL9ggml_type18ELi4ELb0ELb0EEvPKvS2_PKi31ggml_cuda_mm_fusion_args_devicePfj15HIP_vector_typeIjLj3EEjjjS8_jjjS8_jjjj,@function
_ZL13mul_mat_vec_qIL9ggml_type18ELi4ELb0ELb0EEvPKvS2_PKi31ggml_cuda_mm_fusion_args_devicePfj15HIP_vector_typeIjLj3EEjjjS8_jjjS8_jjjj: ; @_ZL13mul_mat_vec_qIL9ggml_type18ELi4ELb0ELb0EEvPKvS2_PKi31ggml_cuda_mm_fusion_args_devicePfj15HIP_vector_typeIjLj3EEjjjS8_jjjS8_jjjj
; %bb.0:
	s_load_dword s9, s[4:5], 0x40
	s_load_dwordx4 s[0:3], s[4:5], 0x50
	s_load_dword s25, s[4:5], 0x60
	s_load_dwordx4 s[12:15], s[4:5], 0x68
	;; [unrolled: 2-line block ×3, first 2 shown]
	v_lshl_add_u32 v2, v1, 6, v0
	s_waitcnt lgkmcnt(0)
	s_lshr_b32 s9, s9, 8
	v_lshrrev_b32_e32 v27, 3, v2
	v_mov_b32_e32 v20, 0
	s_lshl_b32 s6, s6, 1
	v_cmp_gt_u32_e32 vcc, s9, v27
	v_mov_b32_e32 v21, v20
	v_mov_b32_e32 v22, v20
	;; [unrolled: 1-line block ×7, first 2 shown]
	s_and_saveexec_b64 s[10:11], vcc
	s_cbranch_execz .LBB199_4
; %bb.1:
	s_mul_hi_u32 s3, s3, s7
	s_add_i32 s3, s7, s3
	s_load_dwordx4 s[20:23], s[4:5], 0x0
	s_lshr_b32 s3, s3, s25
	s_mul_i32 s3, s3, s12
	s_mul_hi_u32 s12, s15, s8
	s_add_i32 s12, s8, s12
	s_lshr_b32 s12, s12, s24
	s_mul_i32 s19, s17, s8
	s_mul_i32 s15, s12, s16
	;; [unrolled: 1-line block ×3, first 2 shown]
	s_mul_hi_u32 s12, s19, 36
	s_waitcnt lgkmcnt(0)
	s_add_u32 s16, s22, s16
	s_addc_u32 s17, s23, s12
	s_mul_i32 s12, s13, s7
	s_mul_hi_u32 s13, s12, 36
	s_mul_i32 s12, s12, 36
	s_add_u32 s16, s16, s12
	s_addc_u32 s17, s17, s13
	v_and_b32_e32 v7, 7, v0
	v_lshlrev_b32_e32 v2, 1, v0
	v_mad_u64_u32 v[10:11], s[16:17], v7, 36, s[16:17]
	v_and_b32_e32 v5, 14, v2
	s_add_i32 s16, s6, 1
	v_mov_b32_e32 v2, s12
	s_add_i32 s15, s15, s3
	s_mul_i32 s3, s6, s0
	s_mul_i32 s0, s0, s16
	s_movk_i32 s16, 0x120
	v_mov_b32_e32 v3, s13
	v_mad_u64_u32 v[2:3], s[12:13], v27, s16, v[2:3]
	v_lshlrev_b32_e32 v4, 3, v27
	s_add_i32 s3, s15, s3
	v_mad_u64_u32 v[2:3], s[12:13], s19, 36, v[2:3]
	s_add_i32 s15, s15, s0
	v_add_u32_e32 v29, s1, v4
	v_mad_u64_u32 v[2:3], s[12:13], v7, 36, v[2:3]
	v_lshl_add_u32 v30, s1, 1, v4
	v_mad_u64_u32 v[12:13], s[0:1], s1, 3, v[4:5]
	v_mov_b32_e32 v4, s23
	v_add_co_u32_e32 v2, vcc, s22, v2
	v_addc_co_u32_e32 v3, vcc, v4, v3, vcc
	v_lshlrev_b32_e32 v6, 1, v5
	v_add_co_u32_e32 v13, vcc, 16, v2
	v_mov_b32_e32 v15, s20
	v_mov_b32_e32 v28, 0
	v_addc_co_u32_e32 v14, vcc, 0, v3, vcc
	s_mov_b64 s[0:1], 0
	s_movk_i32 s16, 0x62
	v_lshlrev_b32_e32 v31, 1, v6
	v_lshlrev_b32_e32 v32, 1, v5
	s_mov_b32 s17, 0x1010101
	s_movk_i32 s19, 0xff00
	s_mov_b32 s22, 0xc0c0105
	v_mov_b32_e32 v16, s21
	v_mov_b32_e32 v33, 2
	;; [unrolled: 1-line block ×11, first 2 shown]
.LBB199_2:                              ; =>This Inner Loop Header: Depth=1
	v_add_u32_e32 v17, s3, v27
	v_mad_i64_i32 v[17:18], s[12:13], v17, s16, v[15:16]
	global_load_dword v48, v[13:14], off offset:16
	global_load_dwordx4 v[2:5], v[13:14], off
	global_load_dwordx4 v[6:9], v[13:14], off offset:-16
	s_getpc_b64 s[12:13]
	s_add_u32 s12, s12, _ZL11iq3xxs_grid@rel32@lo+4
	s_addc_u32 s13, s13, _ZL11iq3xxs_grid@rel32@hi+12
	v_add_co_u32_e32 v35, vcc, v17, v31
	v_addc_co_u32_e32 v36, vcc, 0, v18, vcc
	global_load_dwordx2 v[39:40], v[35:36], off offset:2
	v_add_co_u32_e32 v35, vcc, v17, v32
	v_addc_co_u32_e32 v36, vcc, 0, v18, vcc
	global_load_dword v41, v[35:36], off offset:66
	s_waitcnt vmcnt(2)
	v_cvt_f32_f16_e32 v47, v6
	global_load_ushort v17, v[17:18], off
	s_waitcnt vmcnt(2)
	v_lshlrev_b32_sdwa v6, v33, v39 dst_sel:DWORD dst_unused:UNUSED_PAD src0_sel:DWORD src1_sel:BYTE_0
	global_load_dword v6, v6, s[12:13]
	v_lshlrev_b32_sdwa v35, v33, v39 dst_sel:DWORD dst_unused:UNUSED_PAD src0_sel:DWORD src1_sel:BYTE_1
	global_load_dword v35, v35, s[12:13]
	s_waitcnt vmcnt(3)
	v_and_b32_e32 v36, 0xff, v41
	v_bcnt_u32_b32 v37, v36, 0
	v_and_b32_e32 v37, 1, v37
	v_lshlrev_b32_e32 v37, 7, v37
	v_xor_b32_e32 v36, v37, v36
	v_mul_lo_u32 v36, v36, s17
	v_and_b32_e32 v37, 0x8040201, v36
	v_cmp_ne_u16_sdwa s[20:21], v37, v28 src0_sel:BYTE_3 src1_sel:DWORD
	v_cmp_ne_u16_sdwa s[24:25], v37, v28 src0_sel:BYTE_1 src1_sel:DWORD
	v_lshrrev_b32_e32 v38, 18, v36
	v_cndmask_b32_e64 v42, 0, -1, s[24:25]
	v_cndmask_b32_e64 v44, 0, -1, s[20:21]
	v_bfe_i32 v37, v36, 0, 1
	v_lshlrev_b16_e32 v42, 8, v42
	v_bfe_i32 v38, v38, 0, 1
	v_lshlrev_b16_e32 v44, 8, v44
	v_or_b32_sdwa v43, v37, v42 dst_sel:DWORD dst_unused:UNUSED_PAD src0_sel:BYTE_0 src1_sel:DWORD
	v_or_b32_sdwa v45, v38, v44 dst_sel:WORD_1 dst_unused:UNUSED_PAD src0_sel:BYTE_0 src1_sel:DWORD
	v_or_b32_sdwa v43, v43, v45 dst_sel:DWORD dst_unused:UNUSED_PAD src0_sel:WORD_0 src1_sel:DWORD
	v_lshlrev_b16_e32 v37, 8, v37
	v_lshlrev_b16_e32 v38, 8, v38
	s_waitcnt vmcnt(1)
	v_xor_b32_e32 v6, v6, v43
	v_and_b32_e32 v43, 0xffffff00, v6
	v_sub_i16 v42, v43, v42 clamp
	v_lshlrev_b16_e32 v43, 8, v6
	v_sub_i16 v37, v43, v37 clamp
	v_perm_b32 v37, v37, v42, s22
	v_and_b32_sdwa v42, v6, s19 dst_sel:DWORD dst_unused:UNUSED_PAD src0_sel:WORD_1 src1_sel:DWORD
	v_lshlrev_b16_sdwa v6, v34, v6 dst_sel:DWORD dst_unused:UNUSED_PAD src0_sel:DWORD src1_sel:WORD_1
	v_sub_i16 v42, v42, v44 clamp
	v_sub_i16 v6, v6, v38 clamp
	v_perm_b32 v6, v6, v42, s22
	v_lshl_or_b32 v6, v6, 16, v37
	v_and_b32_e32 v37, 0x80402010, v36
	v_cmp_ne_u16_sdwa s[20:21], v37, v28 src0_sel:BYTE_3 src1_sel:DWORD
	v_cmp_ne_u16_sdwa s[24:25], v37, v28 src0_sel:BYTE_1 src1_sel:DWORD
	v_lshrrev_b32_e32 v36, 22, v36
	v_lshrrev_b16_e32 v37, 4, v37
	v_cndmask_b32_e64 v38, 0, -1, s[24:25]
	v_cndmask_b32_e64 v43, 0, -1, s[20:21]
	v_bfe_i32 v37, v37, 0, 1
	v_lshlrev_b16_e32 v38, 8, v38
	v_bfe_i32 v36, v36, 0, 1
	v_lshlrev_b16_e32 v43, 8, v43
	v_or_b32_sdwa v42, v37, v38 dst_sel:DWORD dst_unused:UNUSED_PAD src0_sel:BYTE_0 src1_sel:DWORD
	v_or_b32_sdwa v44, v36, v43 dst_sel:WORD_1 dst_unused:UNUSED_PAD src0_sel:BYTE_0 src1_sel:DWORD
	v_or_b32_sdwa v42, v42, v44 dst_sel:DWORD dst_unused:UNUSED_PAD src0_sel:WORD_0 src1_sel:DWORD
	s_waitcnt vmcnt(0)
	v_xor_b32_e32 v35, v35, v42
	v_and_b32_e32 v42, 0xffffff00, v35
	v_sub_i16 v38, v42, v38 clamp
	v_lshlrev_b16_e32 v42, 8, v35
	v_lshlrev_b16_e32 v37, 8, v37
	v_sub_i16 v37, v42, v37 clamp
	v_perm_b32 v37, v37, v38, s22
	v_and_b32_sdwa v38, v35, s19 dst_sel:DWORD dst_unused:UNUSED_PAD src0_sel:WORD_1 src1_sel:DWORD
	v_lshlrev_b16_sdwa v35, v34, v35 dst_sel:DWORD dst_unused:UNUSED_PAD src0_sel:DWORD src1_sel:WORD_1
	v_lshlrev_b16_e32 v36, 8, v36
	v_sub_i16 v38, v38, v43 clamp
	v_sub_i16 v35, v35, v36 clamp
	v_perm_b32 v35, v35, v38, s22
	v_lshl_or_b32 v35, v35, 16, v37
	v_dot4_i32_i8 v36, v6, v7, 0
	v_dot4_i32_i8 v38, v35, v8, v36
	v_lshlrev_b32_sdwa v36, v33, v39 dst_sel:DWORD dst_unused:UNUSED_PAD src0_sel:DWORD src1_sel:BYTE_2
	global_load_dword v36, v36, s[12:13]
	v_lshlrev_b32_sdwa v37, v33, v39 dst_sel:DWORD dst_unused:UNUSED_PAD src0_sel:DWORD src1_sel:BYTE_3
	global_load_dword v37, v37, s[12:13]
	v_bfe_u32 v39, v41, 7, 8
	v_bcnt_u32_b32 v42, v39, 0
	v_and_b32_e32 v42, 1, v42
	v_lshlrev_b32_e32 v42, 7, v42
	v_xor_b32_e32 v39, v42, v39
	v_mul_lo_u32 v39, v39, s17
	v_and_b32_e32 v42, 0x8040201, v39
	v_cmp_ne_u16_sdwa s[20:21], v42, v28 src0_sel:BYTE_3 src1_sel:DWORD
	v_cmp_ne_u16_sdwa s[24:25], v42, v28 src0_sel:BYTE_1 src1_sel:DWORD
	v_lshrrev_b32_e32 v43, 18, v39
	v_cndmask_b32_e64 v44, 0, -1, s[24:25]
	v_cndmask_b32_e64 v46, 0, -1, s[20:21]
	v_bfe_i32 v42, v39, 0, 1
	v_lshlrev_b16_e32 v44, 8, v44
	v_bfe_i32 v43, v43, 0, 1
	v_lshlrev_b16_e32 v46, 8, v46
	v_or_b32_sdwa v45, v42, v44 dst_sel:DWORD dst_unused:UNUSED_PAD src0_sel:BYTE_0 src1_sel:DWORD
	v_or_b32_sdwa v49, v43, v46 dst_sel:WORD_1 dst_unused:UNUSED_PAD src0_sel:BYTE_0 src1_sel:DWORD
	v_or_b32_sdwa v45, v45, v49 dst_sel:DWORD dst_unused:UNUSED_PAD src0_sel:WORD_0 src1_sel:DWORD
	v_lshlrev_b16_e32 v42, 8, v42
	v_lshlrev_b16_e32 v43, 8, v43
	s_waitcnt vmcnt(1)
	v_xor_b32_e32 v36, v36, v45
	v_and_b32_e32 v45, 0xffffff00, v36
	v_sub_i16 v44, v45, v44 clamp
	v_lshlrev_b16_e32 v45, 8, v36
	v_sub_i16 v42, v45, v42 clamp
	v_perm_b32 v42, v42, v44, s22
	v_and_b32_sdwa v44, v36, s19 dst_sel:DWORD dst_unused:UNUSED_PAD src0_sel:WORD_1 src1_sel:DWORD
	v_lshlrev_b16_sdwa v36, v34, v36 dst_sel:DWORD dst_unused:UNUSED_PAD src0_sel:DWORD src1_sel:WORD_1
	v_sub_i16 v44, v44, v46 clamp
	v_sub_i16 v36, v36, v43 clamp
	v_perm_b32 v36, v36, v44, s22
	v_lshl_or_b32 v36, v36, 16, v42
	v_and_b32_e32 v42, 0x80402010, v39
	v_cmp_ne_u16_sdwa s[20:21], v42, v28 src0_sel:BYTE_3 src1_sel:DWORD
	v_cmp_ne_u16_sdwa s[24:25], v42, v28 src0_sel:BYTE_1 src1_sel:DWORD
	v_lshrrev_b32_e32 v39, 22, v39
	v_lshrrev_b16_e32 v42, 4, v42
	v_cndmask_b32_e64 v43, 0, -1, s[24:25]
	v_cndmask_b32_e64 v45, 0, -1, s[20:21]
	v_bfe_i32 v42, v42, 0, 1
	v_lshlrev_b16_e32 v43, 8, v43
	v_bfe_i32 v39, v39, 0, 1
	v_lshlrev_b16_e32 v45, 8, v45
	v_or_b32_sdwa v44, v42, v43 dst_sel:DWORD dst_unused:UNUSED_PAD src0_sel:BYTE_0 src1_sel:DWORD
	v_or_b32_sdwa v46, v39, v45 dst_sel:WORD_1 dst_unused:UNUSED_PAD src0_sel:BYTE_0 src1_sel:DWORD
	v_or_b32_sdwa v44, v44, v46 dst_sel:DWORD dst_unused:UNUSED_PAD src0_sel:WORD_0 src1_sel:DWORD
	s_waitcnt vmcnt(0)
	v_xor_b32_e32 v37, v37, v44
	v_and_b32_e32 v44, 0xffffff00, v37
	v_sub_i16 v43, v44, v43 clamp
	v_lshlrev_b16_e32 v44, 8, v37
	v_lshlrev_b16_e32 v42, 8, v42
	v_sub_i16 v42, v44, v42 clamp
	v_perm_b32 v42, v42, v43, s22
	v_and_b32_sdwa v43, v37, s19 dst_sel:DWORD dst_unused:UNUSED_PAD src0_sel:WORD_1 src1_sel:DWORD
	v_lshlrev_b16_sdwa v37, v34, v37 dst_sel:DWORD dst_unused:UNUSED_PAD src0_sel:DWORD src1_sel:WORD_1
	v_lshlrev_b16_e32 v39, 8, v39
	v_sub_i16 v43, v43, v45 clamp
	v_sub_i16 v37, v37, v39 clamp
	v_perm_b32 v37, v37, v43, s22
	v_lshl_or_b32 v37, v37, 16, v42
	v_dot4_i32_i8 v38, v36, v9, v38
	v_dot4_i32_i8 v42, v37, v2, v38
	v_lshlrev_b32_sdwa v38, v33, v40 dst_sel:DWORD dst_unused:UNUSED_PAD src0_sel:DWORD src1_sel:BYTE_0
	global_load_dword v38, v38, s[12:13]
	v_lshlrev_b32_sdwa v39, v33, v40 dst_sel:DWORD dst_unused:UNUSED_PAD src0_sel:DWORD src1_sel:BYTE_1
	global_load_dword v39, v39, s[12:13]
	v_bfe_u32 v43, v41, 14, 8
	v_bcnt_u32_b32 v44, v43, 0
	v_and_b32_e32 v44, 1, v44
	v_lshlrev_b32_e32 v44, 7, v44
	v_xor_b32_e32 v43, v44, v43
	v_mul_lo_u32 v43, v43, s17
	v_and_b32_e32 v44, 0x8040201, v43
	v_cmp_ne_u16_sdwa s[20:21], v44, v28 src0_sel:BYTE_3 src1_sel:DWORD
	v_cmp_ne_u16_sdwa s[24:25], v44, v28 src0_sel:BYTE_1 src1_sel:DWORD
	v_lshrrev_b32_e32 v45, 18, v43
	v_cndmask_b32_e64 v46, 0, -1, s[24:25]
	v_cndmask_b32_e64 v50, 0, -1, s[20:21]
	v_bfe_i32 v44, v43, 0, 1
	v_lshlrev_b16_e32 v46, 8, v46
	v_bfe_i32 v45, v45, 0, 1
	v_lshlrev_b16_e32 v50, 8, v50
	v_or_b32_sdwa v49, v44, v46 dst_sel:DWORD dst_unused:UNUSED_PAD src0_sel:BYTE_0 src1_sel:DWORD
	v_or_b32_sdwa v51, v45, v50 dst_sel:WORD_1 dst_unused:UNUSED_PAD src0_sel:BYTE_0 src1_sel:DWORD
	v_or_b32_sdwa v49, v49, v51 dst_sel:DWORD dst_unused:UNUSED_PAD src0_sel:WORD_0 src1_sel:DWORD
	v_lshlrev_b16_e32 v44, 8, v44
	v_lshlrev_b16_e32 v45, 8, v45
	s_waitcnt vmcnt(1)
	v_xor_b32_e32 v38, v38, v49
	v_and_b32_e32 v49, 0xffffff00, v38
	v_sub_i16 v46, v49, v46 clamp
	v_lshlrev_b16_e32 v49, 8, v38
	v_sub_i16 v44, v49, v44 clamp
	v_perm_b32 v44, v44, v46, s22
	v_and_b32_sdwa v46, v38, s19 dst_sel:DWORD dst_unused:UNUSED_PAD src0_sel:WORD_1 src1_sel:DWORD
	v_lshlrev_b16_sdwa v38, v34, v38 dst_sel:DWORD dst_unused:UNUSED_PAD src0_sel:DWORD src1_sel:WORD_1
	v_sub_i16 v46, v46, v50 clamp
	v_sub_i16 v38, v38, v45 clamp
	v_perm_b32 v38, v38, v46, s22
	v_lshl_or_b32 v38, v38, 16, v44
	v_and_b32_e32 v44, 0x80402010, v43
	v_cmp_ne_u16_sdwa s[20:21], v44, v28 src0_sel:BYTE_3 src1_sel:DWORD
	v_cmp_ne_u16_sdwa s[24:25], v44, v28 src0_sel:BYTE_1 src1_sel:DWORD
	v_lshrrev_b32_e32 v43, 22, v43
	v_lshrrev_b16_e32 v44, 4, v44
	v_cndmask_b32_e64 v45, 0, -1, s[24:25]
	v_cndmask_b32_e64 v49, 0, -1, s[20:21]
	v_bfe_i32 v44, v44, 0, 1
	v_lshlrev_b16_e32 v45, 8, v45
	v_bfe_i32 v43, v43, 0, 1
	v_lshlrev_b16_e32 v49, 8, v49
	v_or_b32_sdwa v46, v44, v45 dst_sel:DWORD dst_unused:UNUSED_PAD src0_sel:BYTE_0 src1_sel:DWORD
	v_or_b32_sdwa v50, v43, v49 dst_sel:WORD_1 dst_unused:UNUSED_PAD src0_sel:BYTE_0 src1_sel:DWORD
	v_or_b32_sdwa v46, v46, v50 dst_sel:DWORD dst_unused:UNUSED_PAD src0_sel:WORD_0 src1_sel:DWORD
	s_waitcnt vmcnt(0)
	v_xor_b32_e32 v39, v39, v46
	v_and_b32_e32 v46, 0xffffff00, v39
	v_sub_i16 v45, v46, v45 clamp
	v_lshlrev_b16_e32 v46, 8, v39
	v_lshlrev_b16_e32 v44, 8, v44
	v_sub_i16 v44, v46, v44 clamp
	v_perm_b32 v44, v44, v45, s22
	v_and_b32_sdwa v45, v39, s19 dst_sel:DWORD dst_unused:UNUSED_PAD src0_sel:WORD_1 src1_sel:DWORD
	v_lshlrev_b16_sdwa v39, v34, v39 dst_sel:DWORD dst_unused:UNUSED_PAD src0_sel:DWORD src1_sel:WORD_1
	v_lshlrev_b16_e32 v43, 8, v43
	v_sub_i16 v45, v45, v49 clamp
	v_sub_i16 v39, v39, v43 clamp
	v_perm_b32 v39, v39, v45, s22
	v_lshl_or_b32 v39, v39, 16, v44
	v_dot4_i32_i8 v42, v38, v3, v42
	v_dot4_i32_i8 v43, v39, v4, v42
	v_lshlrev_b32_sdwa v42, v33, v40 dst_sel:DWORD dst_unused:UNUSED_PAD src0_sel:DWORD src1_sel:BYTE_2
	global_load_dword v42, v42, s[12:13]
	v_lshlrev_b32_sdwa v40, v33, v40 dst_sel:DWORD dst_unused:UNUSED_PAD src0_sel:DWORD src1_sel:BYTE_3
	global_load_dword v44, v40, s[12:13]
	v_bfe_u32 v40, v41, 21, 8
	v_bcnt_u32_b32 v45, v40, 0
	v_and_b32_e32 v45, 1, v45
	v_lshlrev_b32_e32 v45, 7, v45
	v_xor_b32_e32 v40, v45, v40
	v_mul_lo_u32 v45, v40, s17
	v_lshrrev_b32_e32 v41, 28, v41
	v_and_b32_e32 v40, 0x8040201, v45
	v_cmp_ne_u16_sdwa s[20:21], v40, v28 src0_sel:BYTE_3 src1_sel:DWORD
	v_cmp_ne_u16_sdwa s[24:25], v40, v28 src0_sel:BYTE_1 src1_sel:DWORD
	v_lshrrev_b32_e32 v46, 18, v45
	v_cndmask_b32_e64 v49, 0, -1, s[24:25]
	v_cndmask_b32_e64 v51, 0, -1, s[20:21]
	v_bfe_i32 v40, v45, 0, 1
	v_lshlrev_b16_e32 v49, 8, v49
	v_bfe_i32 v46, v46, 0, 1
	v_lshlrev_b16_e32 v51, 8, v51
	v_or_b32_sdwa v50, v40, v49 dst_sel:DWORD dst_unused:UNUSED_PAD src0_sel:BYTE_0 src1_sel:DWORD
	v_or_b32_sdwa v52, v46, v51 dst_sel:WORD_1 dst_unused:UNUSED_PAD src0_sel:BYTE_0 src1_sel:DWORD
	v_or_b32_sdwa v50, v50, v52 dst_sel:DWORD dst_unused:UNUSED_PAD src0_sel:WORD_0 src1_sel:DWORD
	v_lshlrev_b16_e32 v40, 8, v40
	v_lshlrev_b16_e32 v46, 8, v46
	s_waitcnt vmcnt(1)
	v_xor_b32_e32 v42, v42, v50
	v_and_b32_e32 v50, 0xffffff00, v42
	v_sub_i16 v49, v50, v49 clamp
	v_lshlrev_b16_e32 v50, 8, v42
	v_sub_i16 v40, v50, v40 clamp
	v_perm_b32 v40, v40, v49, s22
	v_and_b32_sdwa v49, v42, s19 dst_sel:DWORD dst_unused:UNUSED_PAD src0_sel:WORD_1 src1_sel:DWORD
	v_lshlrev_b16_sdwa v42, v34, v42 dst_sel:DWORD dst_unused:UNUSED_PAD src0_sel:DWORD src1_sel:WORD_1
	v_sub_i16 v49, v49, v51 clamp
	v_sub_i16 v42, v42, v46 clamp
	v_perm_b32 v42, v42, v49, s22
	v_lshl_or_b32 v40, v42, 16, v40
	v_and_b32_e32 v42, 0x80402010, v45
	v_cmp_ne_u16_sdwa s[20:21], v42, v28 src0_sel:BYTE_3 src1_sel:DWORD
	v_cmp_ne_u16_sdwa s[24:25], v42, v28 src0_sel:BYTE_1 src1_sel:DWORD
	v_lshrrev_b32_e32 v45, 22, v45
	v_lshrrev_b16_e32 v42, 4, v42
	v_cndmask_b32_e64 v46, 0, -1, s[24:25]
	v_cndmask_b32_e64 v50, 0, -1, s[20:21]
	v_bfe_i32 v42, v42, 0, 1
	v_lshlrev_b16_e32 v46, 8, v46
	v_bfe_i32 v45, v45, 0, 1
	v_lshlrev_b16_e32 v50, 8, v50
	v_or_b32_sdwa v49, v42, v46 dst_sel:DWORD dst_unused:UNUSED_PAD src0_sel:BYTE_0 src1_sel:DWORD
	v_or_b32_sdwa v51, v45, v50 dst_sel:WORD_1 dst_unused:UNUSED_PAD src0_sel:BYTE_0 src1_sel:DWORD
	v_or_b32_sdwa v49, v49, v51 dst_sel:DWORD dst_unused:UNUSED_PAD src0_sel:WORD_0 src1_sel:DWORD
	s_waitcnt vmcnt(0)
	v_xor_b32_e32 v44, v44, v49
	v_and_b32_e32 v49, 0xffffff00, v44
	v_sub_i16 v46, v49, v46 clamp
	v_lshlrev_b16_e32 v49, 8, v44
	v_lshlrev_b16_e32 v42, 8, v42
	v_sub_i16 v42, v49, v42 clamp
	v_perm_b32 v42, v42, v46, s22
	v_and_b32_sdwa v46, v44, s19 dst_sel:DWORD dst_unused:UNUSED_PAD src0_sel:WORD_1 src1_sel:DWORD
	v_lshlrev_b16_sdwa v44, v34, v44 dst_sel:DWORD dst_unused:UNUSED_PAD src0_sel:DWORD src1_sel:WORD_1
	v_lshlrev_b16_e32 v45, 8, v45
	v_sub_i16 v46, v46, v50 clamp
	v_sub_i16 v44, v44, v45 clamp
	v_perm_b32 v44, v44, v46, s22
	v_lshl_or_b32 v42, v44, 16, v42
	v_dot4_i32_i8 v43, v40, v5, v43
	v_dot4_i32_i8 v44, v42, v48, v43
	v_lshrrev_b32_e32 v43, 31, v44
	v_add_u32_e32 v43, v44, v43
	v_ashrrev_i32_e32 v43, 1, v43
	v_mad_u64_u32 v[43:44], s[20:21], v44, v41, v[43:44]
	v_lshrrev_b32_e32 v44, 31, v43
	v_add_u32_e32 v43, v43, v44
	v_ashrrev_i32_e32 v44, 1, v43
	v_cvt_f32_f16_e32 v43, v17
	v_cvt_f32_i32_e32 v18, v44
	v_mul_f32_e32 v17, v43, v47
	v_fmac_f32_e32 v26, v17, v18
	v_add_u32_e32 v17, s15, v27
	v_mad_i64_i32 v[17:18], s[20:21], v17, s16, v[15:16]
	v_add_u32_e32 v27, 16, v27
	v_add_co_u32_e32 v44, vcc, v17, v31
	v_addc_co_u32_e32 v45, vcc, 0, v18, vcc
	global_load_dwordx2 v[49:50], v[44:45], off offset:2
	v_add_co_u32_e32 v44, vcc, v17, v32
	v_addc_co_u32_e32 v45, vcc, 0, v18, vcc
	global_load_dword v51, v[44:45], off offset:66
	v_add_co_u32_e32 v13, vcc, 0x1200, v13
	v_addc_co_u32_e32 v14, vcc, 0, v14, vcc
	v_cmp_le_u32_e32 vcc, s9, v27
	s_or_b64 s[0:1], vcc, s[0:1]
	s_waitcnt vmcnt(1)
	v_lshlrev_b32_sdwa v44, v33, v49 dst_sel:DWORD dst_unused:UNUSED_PAD src0_sel:DWORD src1_sel:BYTE_0
	global_load_dword v44, v44, s[12:13]
	v_lshlrev_b32_sdwa v45, v33, v49 dst_sel:DWORD dst_unused:UNUSED_PAD src0_sel:DWORD src1_sel:BYTE_1
	global_load_dword v45, v45, s[12:13]
	s_waitcnt vmcnt(2)
	v_and_b32_e32 v46, 0xff, v51
	v_bcnt_u32_b32 v52, v46, 0
	v_and_b32_e32 v52, 1, v52
	v_lshlrev_b32_e32 v52, 7, v52
	v_xor_b32_e32 v46, v52, v46
	v_mul_lo_u32 v46, v46, s17
	v_and_b32_e32 v52, 0x8040201, v46
	v_cmp_ne_u16_sdwa s[20:21], v52, v28 src0_sel:BYTE_3 src1_sel:DWORD
	v_cmp_ne_u16_sdwa s[24:25], v52, v28 src0_sel:BYTE_1 src1_sel:DWORD
	v_lshrrev_b32_e32 v53, 18, v46
	v_cndmask_b32_e64 v54, 0, -1, s[24:25]
	v_cndmask_b32_e64 v56, 0, -1, s[20:21]
	v_bfe_i32 v52, v46, 0, 1
	v_lshlrev_b16_e32 v54, 8, v54
	v_bfe_i32 v53, v53, 0, 1
	v_lshlrev_b16_e32 v56, 8, v56
	v_or_b32_sdwa v55, v52, v54 dst_sel:DWORD dst_unused:UNUSED_PAD src0_sel:BYTE_0 src1_sel:DWORD
	v_or_b32_sdwa v57, v53, v56 dst_sel:WORD_1 dst_unused:UNUSED_PAD src0_sel:BYTE_0 src1_sel:DWORD
	v_or_b32_sdwa v55, v55, v57 dst_sel:DWORD dst_unused:UNUSED_PAD src0_sel:WORD_0 src1_sel:DWORD
	v_lshlrev_b16_e32 v52, 8, v52
	v_lshlrev_b16_e32 v53, 8, v53
	s_waitcnt vmcnt(1)
	v_xor_b32_e32 v44, v44, v55
	v_and_b32_e32 v55, 0xffffff00, v44
	v_sub_i16 v54, v55, v54 clamp
	v_lshlrev_b16_e32 v55, 8, v44
	v_sub_i16 v52, v55, v52 clamp
	v_perm_b32 v52, v52, v54, s22
	v_and_b32_sdwa v54, v44, s19 dst_sel:DWORD dst_unused:UNUSED_PAD src0_sel:WORD_1 src1_sel:DWORD
	v_lshlrev_b16_sdwa v44, v34, v44 dst_sel:DWORD dst_unused:UNUSED_PAD src0_sel:DWORD src1_sel:WORD_1
	v_sub_i16 v54, v54, v56 clamp
	v_sub_i16 v44, v44, v53 clamp
	v_perm_b32 v44, v44, v54, s22
	v_lshl_or_b32 v44, v44, 16, v52
	v_and_b32_e32 v52, 0x80402010, v46
	v_cmp_ne_u16_sdwa s[20:21], v52, v28 src0_sel:BYTE_3 src1_sel:DWORD
	v_cmp_ne_u16_sdwa s[24:25], v52, v28 src0_sel:BYTE_1 src1_sel:DWORD
	v_lshrrev_b32_e32 v46, 22, v46
	v_lshrrev_b16_e32 v52, 4, v52
	v_cndmask_b32_e64 v53, 0, -1, s[24:25]
	v_cndmask_b32_e64 v55, 0, -1, s[20:21]
	v_bfe_i32 v52, v52, 0, 1
	v_lshlrev_b16_e32 v53, 8, v53
	v_bfe_i32 v46, v46, 0, 1
	v_lshlrev_b16_e32 v55, 8, v55
	v_or_b32_sdwa v54, v52, v53 dst_sel:DWORD dst_unused:UNUSED_PAD src0_sel:BYTE_0 src1_sel:DWORD
	v_or_b32_sdwa v56, v46, v55 dst_sel:WORD_1 dst_unused:UNUSED_PAD src0_sel:BYTE_0 src1_sel:DWORD
	v_or_b32_sdwa v54, v54, v56 dst_sel:DWORD dst_unused:UNUSED_PAD src0_sel:WORD_0 src1_sel:DWORD
	s_waitcnt vmcnt(0)
	v_xor_b32_e32 v45, v45, v54
	v_and_b32_e32 v54, 0xffffff00, v45
	v_sub_i16 v53, v54, v53 clamp
	v_lshlrev_b16_e32 v54, 8, v45
	v_lshlrev_b16_e32 v52, 8, v52
	v_sub_i16 v52, v54, v52 clamp
	v_perm_b32 v52, v52, v53, s22
	v_and_b32_sdwa v53, v45, s19 dst_sel:DWORD dst_unused:UNUSED_PAD src0_sel:WORD_1 src1_sel:DWORD
	v_lshlrev_b16_sdwa v45, v34, v45 dst_sel:DWORD dst_unused:UNUSED_PAD src0_sel:DWORD src1_sel:WORD_1
	v_lshlrev_b16_e32 v46, 8, v46
	v_sub_i16 v53, v53, v55 clamp
	v_sub_i16 v45, v45, v46 clamp
	v_perm_b32 v45, v45, v53, s22
	v_lshl_or_b32 v45, v45, 16, v52
	v_dot4_i32_i8 v7, v44, v7, 0
	v_dot4_i32_i8 v46, v45, v8, v7
	v_lshlrev_b32_sdwa v7, v33, v49 dst_sel:DWORD dst_unused:UNUSED_PAD src0_sel:DWORD src1_sel:BYTE_2
	global_load_dword v7, v7, s[12:13]
	v_lshlrev_b32_sdwa v8, v33, v49 dst_sel:DWORD dst_unused:UNUSED_PAD src0_sel:DWORD src1_sel:BYTE_3
	global_load_dword v8, v8, s[12:13]
	v_bfe_u32 v49, v51, 7, 8
	v_bcnt_u32_b32 v52, v49, 0
	v_and_b32_e32 v52, 1, v52
	v_lshlrev_b32_e32 v52, 7, v52
	v_xor_b32_e32 v49, v52, v49
	v_mul_lo_u32 v49, v49, s17
	v_and_b32_e32 v52, 0x8040201, v49
	v_cmp_ne_u16_sdwa s[20:21], v52, v28 src0_sel:BYTE_3 src1_sel:DWORD
	v_cmp_ne_u16_sdwa s[24:25], v52, v28 src0_sel:BYTE_1 src1_sel:DWORD
	v_lshrrev_b32_e32 v53, 18, v49
	v_cndmask_b32_e64 v54, 0, -1, s[24:25]
	v_cndmask_b32_e64 v56, 0, -1, s[20:21]
	v_bfe_i32 v52, v49, 0, 1
	v_lshlrev_b16_e32 v54, 8, v54
	v_bfe_i32 v53, v53, 0, 1
	v_lshlrev_b16_e32 v56, 8, v56
	v_or_b32_sdwa v55, v52, v54 dst_sel:DWORD dst_unused:UNUSED_PAD src0_sel:BYTE_0 src1_sel:DWORD
	v_or_b32_sdwa v57, v53, v56 dst_sel:WORD_1 dst_unused:UNUSED_PAD src0_sel:BYTE_0 src1_sel:DWORD
	v_or_b32_sdwa v55, v55, v57 dst_sel:DWORD dst_unused:UNUSED_PAD src0_sel:WORD_0 src1_sel:DWORD
	v_lshlrev_b16_e32 v52, 8, v52
	v_lshlrev_b16_e32 v53, 8, v53
	s_waitcnt vmcnt(1)
	v_xor_b32_e32 v7, v7, v55
	v_and_b32_e32 v55, 0xffffff00, v7
	v_sub_i16 v54, v55, v54 clamp
	v_lshlrev_b16_e32 v55, 8, v7
	v_sub_i16 v52, v55, v52 clamp
	v_perm_b32 v52, v52, v54, s22
	v_and_b32_sdwa v54, v7, s19 dst_sel:DWORD dst_unused:UNUSED_PAD src0_sel:WORD_1 src1_sel:DWORD
	v_lshlrev_b16_sdwa v7, v34, v7 dst_sel:DWORD dst_unused:UNUSED_PAD src0_sel:DWORD src1_sel:WORD_1
	v_sub_i16 v54, v54, v56 clamp
	v_sub_i16 v7, v7, v53 clamp
	v_perm_b32 v7, v7, v54, s22
	v_lshl_or_b32 v7, v7, 16, v52
	v_and_b32_e32 v52, 0x80402010, v49
	v_cmp_ne_u16_sdwa s[20:21], v52, v28 src0_sel:BYTE_3 src1_sel:DWORD
	v_cmp_ne_u16_sdwa s[24:25], v52, v28 src0_sel:BYTE_1 src1_sel:DWORD
	v_lshrrev_b32_e32 v49, 22, v49
	v_lshrrev_b16_e32 v52, 4, v52
	v_cndmask_b32_e64 v53, 0, -1, s[24:25]
	v_cndmask_b32_e64 v55, 0, -1, s[20:21]
	v_bfe_i32 v52, v52, 0, 1
	v_lshlrev_b16_e32 v53, 8, v53
	v_bfe_i32 v49, v49, 0, 1
	v_lshlrev_b16_e32 v55, 8, v55
	v_or_b32_sdwa v54, v52, v53 dst_sel:DWORD dst_unused:UNUSED_PAD src0_sel:BYTE_0 src1_sel:DWORD
	v_or_b32_sdwa v56, v49, v55 dst_sel:WORD_1 dst_unused:UNUSED_PAD src0_sel:BYTE_0 src1_sel:DWORD
	v_or_b32_sdwa v54, v54, v56 dst_sel:DWORD dst_unused:UNUSED_PAD src0_sel:WORD_0 src1_sel:DWORD
	s_waitcnt vmcnt(0)
	v_xor_b32_e32 v8, v8, v54
	v_and_b32_e32 v54, 0xffffff00, v8
	v_sub_i16 v53, v54, v53 clamp
	v_lshlrev_b16_e32 v54, 8, v8
	v_lshlrev_b16_e32 v52, 8, v52
	v_sub_i16 v52, v54, v52 clamp
	v_perm_b32 v52, v52, v53, s22
	v_and_b32_sdwa v53, v8, s19 dst_sel:DWORD dst_unused:UNUSED_PAD src0_sel:WORD_1 src1_sel:DWORD
	v_lshlrev_b16_sdwa v8, v34, v8 dst_sel:DWORD dst_unused:UNUSED_PAD src0_sel:DWORD src1_sel:WORD_1
	v_lshlrev_b16_e32 v49, 8, v49
	v_sub_i16 v53, v53, v55 clamp
	v_sub_i16 v8, v8, v49 clamp
	v_perm_b32 v8, v8, v53, s22
	v_lshl_or_b32 v8, v8, 16, v52
	v_dot4_i32_i8 v9, v7, v9, v46
	v_dot4_i32_i8 v46, v8, v2, v9
	v_lshlrev_b32_sdwa v2, v33, v50 dst_sel:DWORD dst_unused:UNUSED_PAD src0_sel:DWORD src1_sel:BYTE_0
	global_load_dword v2, v2, s[12:13]
	v_lshlrev_b32_sdwa v9, v33, v50 dst_sel:DWORD dst_unused:UNUSED_PAD src0_sel:DWORD src1_sel:BYTE_1
	global_load_dword v9, v9, s[12:13]
	v_bfe_u32 v49, v51, 14, 8
	v_bcnt_u32_b32 v52, v49, 0
	v_and_b32_e32 v52, 1, v52
	v_lshlrev_b32_e32 v52, 7, v52
	v_xor_b32_e32 v49, v52, v49
	v_mul_lo_u32 v49, v49, s17
	v_and_b32_e32 v52, 0x8040201, v49
	v_cmp_ne_u16_sdwa s[20:21], v52, v28 src0_sel:BYTE_3 src1_sel:DWORD
	v_cmp_ne_u16_sdwa s[24:25], v52, v28 src0_sel:BYTE_1 src1_sel:DWORD
	v_lshrrev_b32_e32 v53, 18, v49
	v_cndmask_b32_e64 v54, 0, -1, s[24:25]
	v_cndmask_b32_e64 v56, 0, -1, s[20:21]
	v_bfe_i32 v52, v49, 0, 1
	v_lshlrev_b16_e32 v54, 8, v54
	v_bfe_i32 v53, v53, 0, 1
	v_lshlrev_b16_e32 v56, 8, v56
	v_or_b32_sdwa v55, v52, v54 dst_sel:DWORD dst_unused:UNUSED_PAD src0_sel:BYTE_0 src1_sel:DWORD
	v_or_b32_sdwa v57, v53, v56 dst_sel:WORD_1 dst_unused:UNUSED_PAD src0_sel:BYTE_0 src1_sel:DWORD
	v_or_b32_sdwa v55, v55, v57 dst_sel:DWORD dst_unused:UNUSED_PAD src0_sel:WORD_0 src1_sel:DWORD
	v_lshlrev_b16_e32 v52, 8, v52
	v_lshlrev_b16_e32 v53, 8, v53
	s_waitcnt vmcnt(1)
	v_xor_b32_e32 v2, v2, v55
	v_and_b32_e32 v55, 0xffffff00, v2
	v_sub_i16 v54, v55, v54 clamp
	v_lshlrev_b16_e32 v55, 8, v2
	v_sub_i16 v52, v55, v52 clamp
	v_perm_b32 v52, v52, v54, s22
	v_and_b32_sdwa v54, v2, s19 dst_sel:DWORD dst_unused:UNUSED_PAD src0_sel:WORD_1 src1_sel:DWORD
	v_lshlrev_b16_sdwa v2, v34, v2 dst_sel:DWORD dst_unused:UNUSED_PAD src0_sel:DWORD src1_sel:WORD_1
	v_sub_i16 v54, v54, v56 clamp
	v_sub_i16 v2, v2, v53 clamp
	v_perm_b32 v2, v2, v54, s22
	v_lshl_or_b32 v2, v2, 16, v52
	v_and_b32_e32 v52, 0x80402010, v49
	v_cmp_ne_u16_sdwa s[20:21], v52, v28 src0_sel:BYTE_3 src1_sel:DWORD
	v_cmp_ne_u16_sdwa s[24:25], v52, v28 src0_sel:BYTE_1 src1_sel:DWORD
	v_lshrrev_b32_e32 v49, 22, v49
	v_lshrrev_b16_e32 v52, 4, v52
	v_cndmask_b32_e64 v53, 0, -1, s[24:25]
	v_cndmask_b32_e64 v55, 0, -1, s[20:21]
	v_bfe_i32 v52, v52, 0, 1
	v_lshlrev_b16_e32 v53, 8, v53
	v_bfe_i32 v49, v49, 0, 1
	v_lshlrev_b16_e32 v55, 8, v55
	v_or_b32_sdwa v54, v52, v53 dst_sel:DWORD dst_unused:UNUSED_PAD src0_sel:BYTE_0 src1_sel:DWORD
	v_or_b32_sdwa v56, v49, v55 dst_sel:WORD_1 dst_unused:UNUSED_PAD src0_sel:BYTE_0 src1_sel:DWORD
	v_or_b32_sdwa v54, v54, v56 dst_sel:DWORD dst_unused:UNUSED_PAD src0_sel:WORD_0 src1_sel:DWORD
	s_waitcnt vmcnt(0)
	v_xor_b32_e32 v9, v9, v54
	v_and_b32_e32 v54, 0xffffff00, v9
	v_sub_i16 v53, v54, v53 clamp
	v_lshlrev_b16_e32 v54, 8, v9
	v_lshlrev_b16_e32 v52, 8, v52
	v_sub_i16 v52, v54, v52 clamp
	v_perm_b32 v52, v52, v53, s22
	v_and_b32_sdwa v53, v9, s19 dst_sel:DWORD dst_unused:UNUSED_PAD src0_sel:WORD_1 src1_sel:DWORD
	v_lshlrev_b16_sdwa v9, v34, v9 dst_sel:DWORD dst_unused:UNUSED_PAD src0_sel:DWORD src1_sel:WORD_1
	v_lshlrev_b16_e32 v49, 8, v49
	v_sub_i16 v53, v53, v55 clamp
	v_sub_i16 v9, v9, v49 clamp
	v_perm_b32 v9, v9, v53, s22
	v_lshl_or_b32 v9, v9, 16, v52
	v_dot4_i32_i8 v3, v2, v3, v46
	v_dot4_i32_i8 v4, v9, v4, v3
	v_lshlrev_b32_sdwa v3, v33, v50 dst_sel:DWORD dst_unused:UNUSED_PAD src0_sel:DWORD src1_sel:BYTE_2
	global_load_dword v3, v3, s[12:13]
	v_lshlrev_b32_sdwa v46, v33, v50 dst_sel:DWORD dst_unused:UNUSED_PAD src0_sel:DWORD src1_sel:BYTE_3
	global_load_dword v46, v46, s[12:13]
	v_bfe_u32 v49, v51, 21, 8
	v_bcnt_u32_b32 v50, v49, 0
	v_and_b32_e32 v50, 1, v50
	v_lshlrev_b32_e32 v50, 7, v50
	v_xor_b32_e32 v49, v50, v49
	v_mul_lo_u32 v49, v49, s17
	v_and_b32_e32 v50, 0x8040201, v49
	v_cmp_ne_u16_sdwa s[12:13], v50, v28 src0_sel:BYTE_3 src1_sel:DWORD
	v_cmp_ne_u16_sdwa s[20:21], v50, v28 src0_sel:BYTE_1 src1_sel:DWORD
	v_lshrrev_b32_e32 v52, 18, v49
	v_cndmask_b32_e64 v53, 0, -1, s[20:21]
	v_cndmask_b32_e64 v55, 0, -1, s[12:13]
	v_bfe_i32 v50, v49, 0, 1
	v_lshlrev_b16_e32 v53, 8, v53
	v_bfe_i32 v52, v52, 0, 1
	v_lshlrev_b16_e32 v55, 8, v55
	v_or_b32_sdwa v54, v50, v53 dst_sel:DWORD dst_unused:UNUSED_PAD src0_sel:BYTE_0 src1_sel:DWORD
	v_or_b32_sdwa v56, v52, v55 dst_sel:WORD_1 dst_unused:UNUSED_PAD src0_sel:BYTE_0 src1_sel:DWORD
	v_or_b32_sdwa v54, v54, v56 dst_sel:DWORD dst_unused:UNUSED_PAD src0_sel:WORD_0 src1_sel:DWORD
	v_lshlrev_b16_e32 v50, 8, v50
	v_lshlrev_b16_e32 v52, 8, v52
	s_waitcnt vmcnt(1)
	v_xor_b32_e32 v3, v3, v54
	v_and_b32_e32 v54, 0xffffff00, v3
	v_sub_i16 v53, v54, v53 clamp
	v_lshlrev_b16_e32 v54, 8, v3
	v_sub_i16 v50, v54, v50 clamp
	v_perm_b32 v50, v50, v53, s22
	v_and_b32_sdwa v53, v3, s19 dst_sel:DWORD dst_unused:UNUSED_PAD src0_sel:WORD_1 src1_sel:DWORD
	v_lshlrev_b16_sdwa v3, v34, v3 dst_sel:DWORD dst_unused:UNUSED_PAD src0_sel:DWORD src1_sel:WORD_1
	v_sub_i16 v53, v53, v55 clamp
	v_sub_i16 v3, v3, v52 clamp
	v_perm_b32 v3, v3, v53, s22
	v_lshl_or_b32 v3, v3, 16, v50
	v_and_b32_e32 v50, 0x80402010, v49
	v_cmp_ne_u16_sdwa s[12:13], v50, v28 src0_sel:BYTE_3 src1_sel:DWORD
	v_cmp_ne_u16_sdwa s[20:21], v50, v28 src0_sel:BYTE_1 src1_sel:DWORD
	v_lshrrev_b32_e32 v49, 22, v49
	v_lshrrev_b16_e32 v50, 4, v50
	v_cndmask_b32_e64 v52, 0, -1, s[20:21]
	v_cndmask_b32_e64 v54, 0, -1, s[12:13]
	v_bfe_i32 v50, v50, 0, 1
	v_lshlrev_b16_e32 v52, 8, v52
	v_bfe_i32 v49, v49, 0, 1
	v_lshlrev_b16_e32 v54, 8, v54
	v_or_b32_sdwa v53, v50, v52 dst_sel:DWORD dst_unused:UNUSED_PAD src0_sel:BYTE_0 src1_sel:DWORD
	v_or_b32_sdwa v55, v49, v54 dst_sel:WORD_1 dst_unused:UNUSED_PAD src0_sel:BYTE_0 src1_sel:DWORD
	v_or_b32_sdwa v53, v53, v55 dst_sel:DWORD dst_unused:UNUSED_PAD src0_sel:WORD_0 src1_sel:DWORD
	s_waitcnt vmcnt(0)
	v_xor_b32_e32 v46, v46, v53
	v_and_b32_e32 v53, 0xffffff00, v46
	v_sub_i16 v52, v53, v52 clamp
	v_lshlrev_b16_e32 v53, 8, v46
	v_lshlrev_b16_e32 v50, 8, v50
	v_sub_i16 v50, v53, v50 clamp
	v_perm_b32 v50, v50, v52, s22
	v_and_b32_sdwa v52, v46, s19 dst_sel:DWORD dst_unused:UNUSED_PAD src0_sel:WORD_1 src1_sel:DWORD
	v_lshlrev_b16_sdwa v46, v34, v46 dst_sel:DWORD dst_unused:UNUSED_PAD src0_sel:DWORD src1_sel:WORD_1
	v_lshlrev_b16_e32 v49, 8, v49
	v_sub_i16 v52, v52, v54 clamp
	v_sub_i16 v46, v46, v49 clamp
	v_perm_b32 v46, v46, v52, s22
	v_lshl_or_b32 v46, v46, 16, v50
	v_dot4_i32_i8 v4, v3, v5, v4
	v_dot4_i32_i8 v48, v46, v48, v4
	v_lshrrev_b32_e32 v5, 31, v48
	v_add_u32_e32 v5, v48, v5
	v_lshrrev_b32_e32 v4, 28, v51
	v_ashrrev_i32_e32 v5, 1, v5
	v_mad_u64_u32 v[48:49], s[12:13], v48, v4, v[5:6]
	v_lshrrev_b32_e32 v5, 31, v48
	v_add_u32_e32 v5, v48, v5
	v_ashrrev_i32_e32 v48, 1, v5
	global_load_ushort v5, v[17:18], off
	v_cvt_f32_i32_e32 v18, v48
	s_waitcnt vmcnt(0)
	v_cvt_f32_f16_e32 v5, v5
	v_mul_f32_e32 v17, v5, v47
	v_fmac_f32_e32 v25, v17, v18
	v_mad_u64_u32 v[17:18], s[12:13], v29, 36, v[10:11]
	global_load_dword v55, v[17:18], off offset:32
	global_load_dwordx4 v[47:50], v[17:18], off offset:16
	global_load_dwordx4 v[51:54], v[17:18], off
	v_add_u32_e32 v29, 0x80, v29
	s_waitcnt vmcnt(0)
	v_dot4_i32_i8 v17, v6, v52, 0
	v_dot4_i32_i8 v17, v35, v53, v17
	v_dot4_i32_i8 v17, v36, v54, v17
	v_dot4_i32_i8 v17, v37, v47, v17
	v_dot4_i32_i8 v17, v38, v48, v17
	v_dot4_i32_i8 v17, v39, v49, v17
	v_dot4_i32_i8 v17, v40, v50, v17
	v_dot4_i32_i8 v18, v42, v55, v17
	v_lshrrev_b32_e32 v17, 31, v18
	v_add_u32_e32 v17, v18, v17
	v_ashrrev_i32_e32 v17, 1, v17
	v_mad_u64_u32 v[17:18], s[12:13], v18, v41, v[17:18]
	v_cvt_f32_f16_e32 v51, v51
	v_lshrrev_b32_e32 v18, 31, v17
	v_add_u32_e32 v17, v17, v18
	v_ashrrev_i32_e32 v17, 1, v17
	v_cvt_f32_i32_e32 v17, v17
	v_mul_f32_e32 v18, v43, v51
	v_fmac_f32_e32 v24, v18, v17
	v_dot4_i32_i8 v17, v44, v52, 0
	v_dot4_i32_i8 v17, v45, v53, v17
	v_dot4_i32_i8 v17, v7, v54, v17
	v_dot4_i32_i8 v17, v8, v47, v17
	v_dot4_i32_i8 v17, v2, v48, v17
	v_dot4_i32_i8 v17, v9, v49, v17
	v_dot4_i32_i8 v17, v3, v50, v17
	v_dot4_i32_i8 v18, v46, v55, v17
	v_lshrrev_b32_e32 v17, 31, v18
	v_add_u32_e32 v17, v18, v17
	v_ashrrev_i32_e32 v17, 1, v17
	v_mad_u64_u32 v[17:18], s[12:13], v18, v4, v[17:18]
	v_lshrrev_b32_e32 v18, 31, v17
	v_add_u32_e32 v17, v17, v18
	v_ashrrev_i32_e32 v17, 1, v17
	v_cvt_f32_i32_e32 v17, v17
	v_mul_f32_e32 v18, v5, v51
	v_fmac_f32_e32 v23, v18, v17
	v_mad_u64_u32 v[17:18], s[12:13], v30, 36, v[10:11]
	global_load_dword v55, v[17:18], off offset:32
	global_load_dwordx4 v[47:50], v[17:18], off offset:16
	global_load_dwordx4 v[51:54], v[17:18], off
	v_add_u32_e32 v30, 0x80, v30
	s_waitcnt vmcnt(0)
	v_dot4_i32_i8 v17, v6, v52, 0
	v_dot4_i32_i8 v17, v35, v53, v17
	v_dot4_i32_i8 v17, v36, v54, v17
	v_dot4_i32_i8 v17, v37, v47, v17
	v_dot4_i32_i8 v17, v38, v48, v17
	v_dot4_i32_i8 v17, v39, v49, v17
	v_dot4_i32_i8 v17, v40, v50, v17
	v_dot4_i32_i8 v18, v42, v55, v17
	v_lshrrev_b32_e32 v17, 31, v18
	v_add_u32_e32 v17, v18, v17
	v_ashrrev_i32_e32 v17, 1, v17
	v_mad_u64_u32 v[17:18], s[12:13], v18, v41, v[17:18]
	v_cvt_f32_f16_e32 v51, v51
	v_lshrrev_b32_e32 v18, 31, v17
	v_add_u32_e32 v17, v17, v18
	v_ashrrev_i32_e32 v17, 1, v17
	v_cvt_f32_i32_e32 v17, v17
	v_mul_f32_e32 v18, v43, v51
	v_fmac_f32_e32 v22, v18, v17
	v_dot4_i32_i8 v17, v44, v52, 0
	v_dot4_i32_i8 v17, v45, v53, v17
	v_dot4_i32_i8 v17, v7, v54, v17
	v_dot4_i32_i8 v17, v8, v47, v17
	v_dot4_i32_i8 v17, v2, v48, v17
	v_dot4_i32_i8 v17, v9, v49, v17
	v_dot4_i32_i8 v17, v3, v50, v17
	v_dot4_i32_i8 v18, v46, v55, v17
	v_lshrrev_b32_e32 v17, 31, v18
	v_add_u32_e32 v17, v18, v17
	v_ashrrev_i32_e32 v17, 1, v17
	v_mad_u64_u32 v[17:18], s[12:13], v18, v4, v[17:18]
	v_lshrrev_b32_e32 v18, 31, v17
	v_add_u32_e32 v17, v17, v18
	v_ashrrev_i32_e32 v17, 1, v17
	v_cvt_f32_i32_e32 v17, v17
	;; [unrolled: 43-line block ×3, first 2 shown]
	v_mul_f32_e32 v3, v5, v51
	v_fmac_f32_e32 v19, v3, v2
	s_andn2_b64 exec, exec, s[0:1]
	s_cbranch_execnz .LBB199_2
; %bb.3:
	s_or_b64 exec, exec, s[0:1]
.LBB199_4:
	s_or_b64 exec, exec, s[10:11]
	v_cmp_eq_u32_e32 vcc, 0, v1
	v_cmp_ne_u32_e64 s[0:1], 0, v1
	v_lshlrev_b32_e32 v2, 2, v0
	s_and_saveexec_b64 s[10:11], s[0:1]
	s_cbranch_execz .LBB199_6
; %bb.5:
	v_lshl_or_b32 v1, v1, 11, v2
	v_add_u32_e32 v1, 0xfffff800, v1
	ds_write2st64_b32 v1, v26, v25 offset1:1
	ds_write2st64_b32 v1, v24, v23 offset0:2 offset1:3
	ds_write2st64_b32 v1, v22, v21 offset0:4 offset1:5
	;; [unrolled: 1-line block ×3, first 2 shown]
.LBB199_6:
	s_or_b64 exec, exec, s[10:11]
	s_waitcnt lgkmcnt(0)
	s_barrier
	s_and_saveexec_b64 s[0:1], vcc
	s_cbranch_execz .LBB199_15
; %bb.7:
	v_mbcnt_lo_u32_b32 v1, -1, 0
	v_mbcnt_hi_u32_b32 v7, -1, v1
	ds_read2st64_b32 v[5:6], v2 offset1:1
	v_and_b32_e32 v1, 64, v7
	v_add_u32_e32 v8, 64, v1
	v_xor_b32_e32 v1, 32, v7
	v_cmp_lt_i32_e32 vcc, v1, v8
	v_cndmask_b32_e32 v1, v7, v1, vcc
	v_lshlrev_b32_e32 v1, 2, v1
	s_waitcnt lgkmcnt(0)
	v_add_f32_e32 v10, v5, v26
	v_add_f32_e32 v6, v6, v25
	ds_bpermute_b32 v11, v1, v10
	ds_bpermute_b32 v12, v1, v6
	v_xor_b32_e32 v3, 16, v7
	v_cmp_lt_i32_e32 vcc, v3, v8
	v_cndmask_b32_e32 v3, v7, v3, vcc
	v_lshlrev_b32_e32 v3, 2, v3
	s_waitcnt lgkmcnt(1)
	v_add_f32_e32 v10, v10, v11
	s_waitcnt lgkmcnt(0)
	v_add_f32_e32 v6, v6, v12
	ds_bpermute_b32 v11, v3, v10
	ds_bpermute_b32 v12, v3, v6
	v_xor_b32_e32 v4, 8, v7
	v_cmp_lt_i32_e32 vcc, v4, v8
	v_cndmask_b32_e32 v4, v7, v4, vcc
	v_lshlrev_b32_e32 v4, 2, v4
	s_waitcnt lgkmcnt(1)
	v_add_f32_e32 v10, v10, v11
	s_waitcnt lgkmcnt(0)
	;; [unrolled: 10-line block ×3, first 2 shown]
	v_add_f32_e32 v12, v12, v13
	ds_bpermute_b32 v11, v5, v10
	ds_bpermute_b32 v13, v5, v12
	v_xor_b32_e32 v9, 2, v7
	v_cmp_lt_i32_e32 vcc, v9, v8
	v_cndmask_b32_e32 v9, v7, v9, vcc
	v_lshlrev_b32_e32 v6, 2, v9
	v_xor_b32_e32 v9, 1, v7
	v_cmp_lt_i32_e32 vcc, v9, v8
	s_waitcnt lgkmcnt(1)
	v_add_f32_e32 v8, v10, v11
	s_waitcnt lgkmcnt(0)
	v_add_f32_e32 v11, v12, v13
	ds_bpermute_b32 v10, v6, v8
	ds_bpermute_b32 v12, v6, v11
	s_load_dwordx2 s[0:1], s[4:5], 0x38
	v_cndmask_b32_e32 v7, v7, v9, vcc
	s_mul_i32 s4, s14, s7
	v_lshlrev_b32_e32 v9, 2, v7
	s_waitcnt lgkmcnt(0)
	v_add_f32_e32 v7, v8, v10
	v_add_f32_e32 v10, v11, v12
	s_mul_i32 s3, s18, s8
	s_add_i32 s4, s4, s6
	ds_bpermute_b32 v8, v9, v7
	ds_bpermute_b32 v11, v9, v10
	s_add_i32 s4, s4, s3
	s_mov_b32 s5, 0
	s_lshl_b64 s[4:5], s[4:5], 2
	s_add_u32 s4, s0, s4
	v_add_u32_e32 v12, s6, v0
	s_addc_u32 s5, s1, s5
	v_cmp_gt_u32_e32 vcc, 2, v0
	v_cmp_gt_u32_e64 s[0:1], s2, v12
	s_and_b64 s[0:1], vcc, s[0:1]
	s_waitcnt lgkmcnt(1)
	v_add_f32_e32 v7, v7, v8
	s_waitcnt lgkmcnt(0)
	v_add_f32_e32 v8, v10, v11
	s_and_saveexec_b64 s[6:7], s[0:1]
	s_cbranch_execz .LBB199_9
; %bb.8:
	v_cmp_eq_u32_e32 vcc, 1, v0
	v_cndmask_b32_e32 v10, v7, v8, vcc
	v_cmp_eq_u32_e32 vcc, 2, v0
	v_cndmask_b32_e32 v10, v10, v24, vcc
	;; [unrolled: 2-line block ×7, first 2 shown]
	global_store_dword v2, v10, s[4:5]
.LBB199_9:
	s_or_b64 exec, exec, s[6:7]
	ds_read2st64_b32 v[10:11], v2 offset0:2 offset1:3
	s_waitcnt lgkmcnt(0)
	v_add_f32_e32 v10, v10, v24
	v_add_f32_e32 v11, v11, v23
	ds_bpermute_b32 v12, v1, v10
	ds_bpermute_b32 v13, v1, v11
	s_waitcnt lgkmcnt(1)
	v_add_f32_e32 v10, v10, v12
	s_waitcnt lgkmcnt(0)
	v_add_f32_e32 v11, v11, v13
	ds_bpermute_b32 v12, v3, v10
	ds_bpermute_b32 v13, v3, v11
	s_waitcnt lgkmcnt(1)
	v_add_f32_e32 v10, v10, v12
	s_waitcnt lgkmcnt(0)
	;; [unrolled: 6-line block ×6, first 2 shown]
	v_add_f32_e32 v10, v12, v13
	s_and_saveexec_b64 s[6:7], s[0:1]
	s_cbranch_execz .LBB199_11
; %bb.10:
	v_add_u32_e32 v12, 2, v0
	v_cmp_eq_u32_e32 vcc, 1, v12
	v_cndmask_b32_e32 v13, v7, v8, vcc
	v_cmp_eq_u32_e32 vcc, 2, v12
	v_cndmask_b32_e32 v13, v13, v11, vcc
	;; [unrolled: 2-line block ×7, first 2 shown]
	v_add_u32_e32 v12, s2, v0
	v_mov_b32_e32 v13, 0
	v_lshlrev_b64 v[12:13], 2, v[12:13]
	v_mov_b32_e32 v15, s5
	v_add_co_u32_e32 v12, vcc, s4, v12
	v_addc_co_u32_e32 v13, vcc, v15, v13, vcc
	global_store_dword v[12:13], v14, off
.LBB199_11:
	s_or_b64 exec, exec, s[6:7]
	ds_read2st64_b32 v[12:13], v2 offset0:4 offset1:5
	s_waitcnt lgkmcnt(0)
	v_add_f32_e32 v12, v12, v22
	v_add_f32_e32 v13, v13, v21
	ds_bpermute_b32 v14, v1, v12
	ds_bpermute_b32 v15, v1, v13
	s_waitcnt lgkmcnt(1)
	v_add_f32_e32 v12, v12, v14
	s_waitcnt lgkmcnt(0)
	v_add_f32_e32 v13, v13, v15
	ds_bpermute_b32 v14, v3, v12
	ds_bpermute_b32 v15, v3, v13
	s_waitcnt lgkmcnt(1)
	v_add_f32_e32 v12, v12, v14
	s_waitcnt lgkmcnt(0)
	;; [unrolled: 6-line block ×6, first 2 shown]
	v_add_f32_e32 v12, v14, v15
	s_and_saveexec_b64 s[6:7], s[0:1]
	s_cbranch_execz .LBB199_13
; %bb.12:
	v_add_u32_e32 v14, 4, v0
	v_cmp_eq_u32_e32 vcc, 1, v14
	v_cndmask_b32_e32 v15, v7, v8, vcc
	v_cmp_eq_u32_e32 vcc, 2, v14
	v_cndmask_b32_e32 v15, v15, v11, vcc
	;; [unrolled: 2-line block ×7, first 2 shown]
	v_lshl_or_b32 v14, s2, 1, v0
	v_mov_b32_e32 v15, 0
	v_lshlrev_b64 v[14:15], 2, v[14:15]
	v_mov_b32_e32 v17, s5
	v_add_co_u32_e32 v14, vcc, s4, v14
	v_addc_co_u32_e32 v15, vcc, v17, v15, vcc
	global_store_dword v[14:15], v16, off
.LBB199_13:
	s_or_b64 exec, exec, s[6:7]
	ds_read2st64_b32 v[14:15], v2 offset0:6 offset1:7
	s_waitcnt lgkmcnt(0)
	v_add_f32_e32 v2, v14, v20
	v_add_f32_e32 v14, v15, v19
	ds_bpermute_b32 v15, v1, v2
	ds_bpermute_b32 v1, v1, v14
	s_waitcnt lgkmcnt(1)
	v_add_f32_e32 v2, v2, v15
	s_waitcnt lgkmcnt(0)
	v_add_f32_e32 v1, v14, v1
	ds_bpermute_b32 v14, v3, v2
	ds_bpermute_b32 v3, v3, v1
	s_waitcnt lgkmcnt(1)
	v_add_f32_e32 v2, v2, v14
	s_waitcnt lgkmcnt(0)
	;; [unrolled: 6-line block ×5, first 2 shown]
	v_add_f32_e32 v2, v3, v4
	ds_bpermute_b32 v3, v9, v1
	ds_bpermute_b32 v4, v9, v2
	s_and_b64 exec, exec, s[0:1]
	s_cbranch_execz .LBB199_15
; %bb.14:
	s_waitcnt lgkmcnt(1)
	v_add_f32_e32 v1, v1, v3
	v_add_u32_e32 v3, 6, v0
	v_cmp_eq_u32_e32 vcc, 1, v3
	s_waitcnt lgkmcnt(0)
	v_add_f32_e32 v2, v2, v4
	v_cndmask_b32_e32 v4, v7, v8, vcc
	v_cmp_eq_u32_e32 vcc, 2, v3
	v_cndmask_b32_e32 v4, v4, v11, vcc
	v_cmp_eq_u32_e32 vcc, 3, v3
	;; [unrolled: 2-line block ×5, first 2 shown]
	v_cndmask_b32_e32 v4, v4, v1, vcc
	v_mad_u64_u32 v[0:1], s[0:1], s2, 3, v[0:1]
	v_mov_b32_e32 v1, 0
	v_cmp_eq_u32_e32 vcc, 7, v3
	v_lshlrev_b64 v[0:1], 2, v[0:1]
	v_cndmask_b32_e32 v2, v4, v2, vcc
	v_mov_b32_e32 v3, s5
	v_add_co_u32_e32 v0, vcc, s4, v0
	v_addc_co_u32_e32 v1, vcc, v3, v1, vcc
	global_store_dword v[0:1], v2, off
.LBB199_15:
	s_endpgm
	.section	.rodata,"a",@progbits
	.p2align	6, 0x0
	.amdhsa_kernel _ZL13mul_mat_vec_qIL9ggml_type18ELi4ELb0ELb0EEvPKvS2_PKi31ggml_cuda_mm_fusion_args_devicePfj15HIP_vector_typeIjLj3EEjjjS8_jjjS8_jjjj
		.amdhsa_group_segment_fixed_size 2048
		.amdhsa_private_segment_fixed_size 0
		.amdhsa_kernarg_size 144
		.amdhsa_user_sgpr_count 6
		.amdhsa_user_sgpr_private_segment_buffer 1
		.amdhsa_user_sgpr_dispatch_ptr 0
		.amdhsa_user_sgpr_queue_ptr 0
		.amdhsa_user_sgpr_kernarg_segment_ptr 1
		.amdhsa_user_sgpr_dispatch_id 0
		.amdhsa_user_sgpr_flat_scratch_init 0
		.amdhsa_user_sgpr_private_segment_size 0
		.amdhsa_uses_dynamic_stack 0
		.amdhsa_system_sgpr_private_segment_wavefront_offset 0
		.amdhsa_system_sgpr_workgroup_id_x 1
		.amdhsa_system_sgpr_workgroup_id_y 1
		.amdhsa_system_sgpr_workgroup_id_z 1
		.amdhsa_system_sgpr_workgroup_info 0
		.amdhsa_system_vgpr_workitem_id 1
		.amdhsa_next_free_vgpr 58
		.amdhsa_next_free_sgpr 61
		.amdhsa_reserve_vcc 1
		.amdhsa_reserve_flat_scratch 0
		.amdhsa_float_round_mode_32 0
		.amdhsa_float_round_mode_16_64 0
		.amdhsa_float_denorm_mode_32 3
		.amdhsa_float_denorm_mode_16_64 3
		.amdhsa_dx10_clamp 1
		.amdhsa_ieee_mode 1
		.amdhsa_fp16_overflow 0
		.amdhsa_exception_fp_ieee_invalid_op 0
		.amdhsa_exception_fp_denorm_src 0
		.amdhsa_exception_fp_ieee_div_zero 0
		.amdhsa_exception_fp_ieee_overflow 0
		.amdhsa_exception_fp_ieee_underflow 0
		.amdhsa_exception_fp_ieee_inexact 0
		.amdhsa_exception_int_div_zero 0
	.end_amdhsa_kernel
	.section	.text._ZL13mul_mat_vec_qIL9ggml_type18ELi4ELb0ELb0EEvPKvS2_PKi31ggml_cuda_mm_fusion_args_devicePfj15HIP_vector_typeIjLj3EEjjjS8_jjjS8_jjjj,"axG",@progbits,_ZL13mul_mat_vec_qIL9ggml_type18ELi4ELb0ELb0EEvPKvS2_PKi31ggml_cuda_mm_fusion_args_devicePfj15HIP_vector_typeIjLj3EEjjjS8_jjjS8_jjjj,comdat
.Lfunc_end199:
	.size	_ZL13mul_mat_vec_qIL9ggml_type18ELi4ELb0ELb0EEvPKvS2_PKi31ggml_cuda_mm_fusion_args_devicePfj15HIP_vector_typeIjLj3EEjjjS8_jjjS8_jjjj, .Lfunc_end199-_ZL13mul_mat_vec_qIL9ggml_type18ELi4ELb0ELb0EEvPKvS2_PKi31ggml_cuda_mm_fusion_args_devicePfj15HIP_vector_typeIjLj3EEjjjS8_jjjS8_jjjj
                                        ; -- End function
	.set _ZL13mul_mat_vec_qIL9ggml_type18ELi4ELb0ELb0EEvPKvS2_PKi31ggml_cuda_mm_fusion_args_devicePfj15HIP_vector_typeIjLj3EEjjjS8_jjjS8_jjjj.num_vgpr, 58
	.set _ZL13mul_mat_vec_qIL9ggml_type18ELi4ELb0ELb0EEvPKvS2_PKi31ggml_cuda_mm_fusion_args_devicePfj15HIP_vector_typeIjLj3EEjjjS8_jjjS8_jjjj.num_agpr, 0
	.set _ZL13mul_mat_vec_qIL9ggml_type18ELi4ELb0ELb0EEvPKvS2_PKi31ggml_cuda_mm_fusion_args_devicePfj15HIP_vector_typeIjLj3EEjjjS8_jjjS8_jjjj.numbered_sgpr, 26
	.set _ZL13mul_mat_vec_qIL9ggml_type18ELi4ELb0ELb0EEvPKvS2_PKi31ggml_cuda_mm_fusion_args_devicePfj15HIP_vector_typeIjLj3EEjjjS8_jjjS8_jjjj.num_named_barrier, 0
	.set _ZL13mul_mat_vec_qIL9ggml_type18ELi4ELb0ELb0EEvPKvS2_PKi31ggml_cuda_mm_fusion_args_devicePfj15HIP_vector_typeIjLj3EEjjjS8_jjjS8_jjjj.private_seg_size, 0
	.set _ZL13mul_mat_vec_qIL9ggml_type18ELi4ELb0ELb0EEvPKvS2_PKi31ggml_cuda_mm_fusion_args_devicePfj15HIP_vector_typeIjLj3EEjjjS8_jjjS8_jjjj.uses_vcc, 1
	.set _ZL13mul_mat_vec_qIL9ggml_type18ELi4ELb0ELb0EEvPKvS2_PKi31ggml_cuda_mm_fusion_args_devicePfj15HIP_vector_typeIjLj3EEjjjS8_jjjS8_jjjj.uses_flat_scratch, 0
	.set _ZL13mul_mat_vec_qIL9ggml_type18ELi4ELb0ELb0EEvPKvS2_PKi31ggml_cuda_mm_fusion_args_devicePfj15HIP_vector_typeIjLj3EEjjjS8_jjjS8_jjjj.has_dyn_sized_stack, 0
	.set _ZL13mul_mat_vec_qIL9ggml_type18ELi4ELb0ELb0EEvPKvS2_PKi31ggml_cuda_mm_fusion_args_devicePfj15HIP_vector_typeIjLj3EEjjjS8_jjjS8_jjjj.has_recursion, 0
	.set _ZL13mul_mat_vec_qIL9ggml_type18ELi4ELb0ELb0EEvPKvS2_PKi31ggml_cuda_mm_fusion_args_devicePfj15HIP_vector_typeIjLj3EEjjjS8_jjjS8_jjjj.has_indirect_call, 0
	.section	.AMDGPU.csdata,"",@progbits
; Kernel info:
; codeLenInByte = 6828
; TotalNumSgprs: 30
; NumVgprs: 58
; ScratchSize: 0
; MemoryBound: 0
; FloatMode: 240
; IeeeMode: 1
; LDSByteSize: 2048 bytes/workgroup (compile time only)
; SGPRBlocks: 8
; VGPRBlocks: 14
; NumSGPRsForWavesPerEU: 65
; NumVGPRsForWavesPerEU: 58
; Occupancy: 4
; WaveLimiterHint : 0
; COMPUTE_PGM_RSRC2:SCRATCH_EN: 0
; COMPUTE_PGM_RSRC2:USER_SGPR: 6
; COMPUTE_PGM_RSRC2:TRAP_HANDLER: 0
; COMPUTE_PGM_RSRC2:TGID_X_EN: 1
; COMPUTE_PGM_RSRC2:TGID_Y_EN: 1
; COMPUTE_PGM_RSRC2:TGID_Z_EN: 1
; COMPUTE_PGM_RSRC2:TIDIG_COMP_CNT: 1
	.section	.text._ZL13mul_mat_vec_qIL9ggml_type18ELi5ELb0ELb0EEvPKvS2_PKi31ggml_cuda_mm_fusion_args_devicePfj15HIP_vector_typeIjLj3EEjjjS8_jjjS8_jjjj,"axG",@progbits,_ZL13mul_mat_vec_qIL9ggml_type18ELi5ELb0ELb0EEvPKvS2_PKi31ggml_cuda_mm_fusion_args_devicePfj15HIP_vector_typeIjLj3EEjjjS8_jjjS8_jjjj,comdat
	.globl	_ZL13mul_mat_vec_qIL9ggml_type18ELi5ELb0ELb0EEvPKvS2_PKi31ggml_cuda_mm_fusion_args_devicePfj15HIP_vector_typeIjLj3EEjjjS8_jjjS8_jjjj ; -- Begin function _ZL13mul_mat_vec_qIL9ggml_type18ELi5ELb0ELb0EEvPKvS2_PKi31ggml_cuda_mm_fusion_args_devicePfj15HIP_vector_typeIjLj3EEjjjS8_jjjS8_jjjj
	.p2align	8
	.type	_ZL13mul_mat_vec_qIL9ggml_type18ELi5ELb0ELb0EEvPKvS2_PKi31ggml_cuda_mm_fusion_args_devicePfj15HIP_vector_typeIjLj3EEjjjS8_jjjS8_jjjj,@function
_ZL13mul_mat_vec_qIL9ggml_type18ELi5ELb0ELb0EEvPKvS2_PKi31ggml_cuda_mm_fusion_args_devicePfj15HIP_vector_typeIjLj3EEjjjS8_jjjS8_jjjj: ; @_ZL13mul_mat_vec_qIL9ggml_type18ELi5ELb0ELb0EEvPKvS2_PKi31ggml_cuda_mm_fusion_args_devicePfj15HIP_vector_typeIjLj3EEjjjS8_jjjS8_jjjj
; %bb.0:
	s_load_dword s9, s[4:5], 0x40
	s_load_dwordx4 s[0:3], s[4:5], 0x50
	s_load_dword s25, s[4:5], 0x60
	s_load_dwordx4 s[12:15], s[4:5], 0x68
	;; [unrolled: 2-line block ×3, first 2 shown]
	v_lshl_or_b32 v2, v1, 6, v0
	s_waitcnt lgkmcnt(0)
	s_lshr_b32 s9, s9, 8
	v_lshrrev_b32_e32 v28, 3, v2
	v_mov_b32_e32 v18, 0
	s_lshl_b32 s6, s6, 1
	v_cmp_gt_u32_e32 vcc, s9, v28
	v_mov_b32_e32 v19, v18
	v_mov_b32_e32 v20, v18
	;; [unrolled: 1-line block ×9, first 2 shown]
	s_and_saveexec_b64 s[10:11], vcc
	s_cbranch_execz .LBB200_4
; %bb.1:
	s_mul_hi_u32 s3, s3, s7
	s_add_i32 s3, s7, s3
	s_load_dwordx4 s[20:23], s[4:5], 0x0
	s_lshr_b32 s3, s3, s25
	s_mul_i32 s3, s3, s12
	s_mul_hi_u32 s12, s15, s8
	s_add_i32 s12, s8, s12
	s_lshr_b32 s12, s12, s24
	s_mul_i32 s25, s17, s8
	s_mul_i32 s15, s12, s16
	;; [unrolled: 1-line block ×3, first 2 shown]
	s_mul_hi_u32 s12, s25, 36
	s_waitcnt lgkmcnt(0)
	s_add_u32 s16, s22, s16
	s_addc_u32 s17, s23, s12
	s_mul_i32 s12, s13, s7
	s_mul_hi_u32 s13, s12, 36
	s_mul_i32 s12, s12, 36
	s_add_u32 s16, s16, s12
	s_addc_u32 s17, s17, s13
	v_lshlrev_b32_e32 v2, 1, v0
	v_and_b32_e32 v6, 7, v0
	v_and_b32_e32 v4, 14, v2
	v_mad_u64_u32 v[10:11], s[16:17], v6, 36, s[16:17]
	v_mov_b32_e32 v2, s12
	s_movk_i32 s17, 0x120
	v_mov_b32_e32 v3, s13
	v_mad_u64_u32 v[2:3], s[12:13], v28, s17, v[2:3]
	s_add_i32 s26, s15, s3
	s_mul_i32 s16, s6, s0
	v_mad_u64_u32 v[2:3], s[12:13], s25, 36, v[2:3]
	s_add_i32 s24, s26, s16
	s_add_i32 s16, s6, 1
	v_mad_u64_u32 v[2:3], s[12:13], v6, 36, v[2:3]
	v_mov_b32_e32 v6, s23
	v_lshlrev_b32_e32 v5, 1, v4
	v_add_co_u32_e32 v2, vcc, s22, v2
	v_addc_co_u32_e32 v3, vcc, v6, v3, vcc
	s_mul_i32 s0, s0, s16
	v_add_co_u32_e32 v12, vcc, 16, v2
	v_mov_b32_e32 v14, s20
	v_mov_b32_e32 v29, 0
	s_lshl_b32 s3, s1, 1
	s_mul_i32 s15, s1, 3
	s_lshl_b32 s19, s1, 2
	s_add_i32 s0, s26, s0
	v_lshlrev_b32_e32 v30, 3, v28
	v_addc_co_u32_e32 v13, vcc, 0, v3, vcc
	s_mov_b64 s[12:13], 0
	s_movk_i32 s22, 0x62
	v_lshlrev_b32_e32 v31, 1, v5
	v_lshlrev_b32_e32 v32, 1, v4
	s_mov_b32 s23, 0x1010101
	s_movk_i32 s25, 0xff00
	s_mov_b32 s26, 0xc0c0105
	v_mov_b32_e32 v33, 2
	v_mov_b32_e32 v34, 8
	;; [unrolled: 1-line block ×13, first 2 shown]
.LBB200_2:                              ; =>This Inner Loop Header: Depth=1
	v_add_u32_e32 v16, s24, v28
	v_mad_i64_i32 v[16:17], s[16:17], v16, s22, v[14:15]
	global_load_dword v48, v[12:13], off offset:16
	global_load_dwordx4 v[2:5], v[12:13], off
	global_load_dwordx4 v[6:9], v[12:13], off offset:-16
	s_getpc_b64 s[16:17]
	s_add_u32 s16, s16, _ZL11iq3xxs_grid@rel32@lo+4
	s_addc_u32 s17, s17, _ZL11iq3xxs_grid@rel32@hi+12
	v_add_co_u32_e32 v35, vcc, v16, v31
	v_addc_co_u32_e32 v36, vcc, 0, v17, vcc
	global_load_dwordx2 v[39:40], v[35:36], off offset:2
	v_add_co_u32_e32 v35, vcc, v16, v32
	v_addc_co_u32_e32 v36, vcc, 0, v17, vcc
	global_load_dword v41, v[35:36], off offset:66
	s_waitcnt vmcnt(2)
	v_cvt_f32_f16_e32 v47, v6
	global_load_ushort v16, v[16:17], off
	s_waitcnt vmcnt(2)
	v_lshlrev_b32_sdwa v6, v33, v39 dst_sel:DWORD dst_unused:UNUSED_PAD src0_sel:DWORD src1_sel:BYTE_0
	global_load_dword v6, v6, s[16:17]
	v_lshlrev_b32_sdwa v35, v33, v39 dst_sel:DWORD dst_unused:UNUSED_PAD src0_sel:DWORD src1_sel:BYTE_1
	global_load_dword v35, v35, s[16:17]
	s_waitcnt vmcnt(3)
	v_and_b32_e32 v36, 0xff, v41
	v_bcnt_u32_b32 v37, v36, 0
	v_and_b32_e32 v37, 1, v37
	v_lshlrev_b32_e32 v37, 7, v37
	v_xor_b32_e32 v36, v37, v36
	v_mul_lo_u32 v36, v36, s23
	v_and_b32_e32 v37, 0x8040201, v36
	v_cmp_ne_u16_sdwa s[20:21], v37, v29 src0_sel:BYTE_3 src1_sel:DWORD
	v_cmp_ne_u16_sdwa s[28:29], v37, v29 src0_sel:BYTE_1 src1_sel:DWORD
	v_lshrrev_b32_e32 v38, 18, v36
	v_cndmask_b32_e64 v42, 0, -1, s[28:29]
	v_cndmask_b32_e64 v44, 0, -1, s[20:21]
	v_bfe_i32 v37, v36, 0, 1
	v_lshlrev_b16_e32 v42, 8, v42
	v_bfe_i32 v38, v38, 0, 1
	v_lshlrev_b16_e32 v44, 8, v44
	v_or_b32_sdwa v43, v37, v42 dst_sel:DWORD dst_unused:UNUSED_PAD src0_sel:BYTE_0 src1_sel:DWORD
	v_or_b32_sdwa v45, v38, v44 dst_sel:WORD_1 dst_unused:UNUSED_PAD src0_sel:BYTE_0 src1_sel:DWORD
	v_or_b32_sdwa v43, v43, v45 dst_sel:DWORD dst_unused:UNUSED_PAD src0_sel:WORD_0 src1_sel:DWORD
	v_lshlrev_b16_e32 v37, 8, v37
	v_lshlrev_b16_e32 v38, 8, v38
	s_waitcnt vmcnt(1)
	v_xor_b32_e32 v6, v6, v43
	v_and_b32_e32 v43, 0xffffff00, v6
	v_sub_i16 v42, v43, v42 clamp
	v_lshlrev_b16_e32 v43, 8, v6
	v_sub_i16 v37, v43, v37 clamp
	v_perm_b32 v37, v37, v42, s26
	v_and_b32_sdwa v42, v6, s25 dst_sel:DWORD dst_unused:UNUSED_PAD src0_sel:WORD_1 src1_sel:DWORD
	v_lshlrev_b16_sdwa v6, v34, v6 dst_sel:DWORD dst_unused:UNUSED_PAD src0_sel:DWORD src1_sel:WORD_1
	v_sub_i16 v42, v42, v44 clamp
	v_sub_i16 v6, v6, v38 clamp
	v_perm_b32 v6, v6, v42, s26
	v_lshl_or_b32 v6, v6, 16, v37
	v_and_b32_e32 v37, 0x80402010, v36
	v_cmp_ne_u16_sdwa s[20:21], v37, v29 src0_sel:BYTE_3 src1_sel:DWORD
	v_cmp_ne_u16_sdwa s[28:29], v37, v29 src0_sel:BYTE_1 src1_sel:DWORD
	v_lshrrev_b32_e32 v36, 22, v36
	v_lshrrev_b16_e32 v37, 4, v37
	v_cndmask_b32_e64 v38, 0, -1, s[28:29]
	v_cndmask_b32_e64 v43, 0, -1, s[20:21]
	v_bfe_i32 v37, v37, 0, 1
	v_lshlrev_b16_e32 v38, 8, v38
	v_bfe_i32 v36, v36, 0, 1
	v_lshlrev_b16_e32 v43, 8, v43
	v_or_b32_sdwa v42, v37, v38 dst_sel:DWORD dst_unused:UNUSED_PAD src0_sel:BYTE_0 src1_sel:DWORD
	v_or_b32_sdwa v44, v36, v43 dst_sel:WORD_1 dst_unused:UNUSED_PAD src0_sel:BYTE_0 src1_sel:DWORD
	v_or_b32_sdwa v42, v42, v44 dst_sel:DWORD dst_unused:UNUSED_PAD src0_sel:WORD_0 src1_sel:DWORD
	s_waitcnt vmcnt(0)
	v_xor_b32_e32 v35, v35, v42
	v_and_b32_e32 v42, 0xffffff00, v35
	v_sub_i16 v38, v42, v38 clamp
	v_lshlrev_b16_e32 v42, 8, v35
	v_lshlrev_b16_e32 v37, 8, v37
	v_sub_i16 v37, v42, v37 clamp
	v_perm_b32 v37, v37, v38, s26
	v_and_b32_sdwa v38, v35, s25 dst_sel:DWORD dst_unused:UNUSED_PAD src0_sel:WORD_1 src1_sel:DWORD
	v_lshlrev_b16_sdwa v35, v34, v35 dst_sel:DWORD dst_unused:UNUSED_PAD src0_sel:DWORD src1_sel:WORD_1
	v_lshlrev_b16_e32 v36, 8, v36
	v_sub_i16 v38, v38, v43 clamp
	v_sub_i16 v35, v35, v36 clamp
	v_perm_b32 v35, v35, v38, s26
	v_lshl_or_b32 v35, v35, 16, v37
	v_dot4_i32_i8 v36, v6, v7, 0
	v_dot4_i32_i8 v38, v35, v8, v36
	v_lshlrev_b32_sdwa v36, v33, v39 dst_sel:DWORD dst_unused:UNUSED_PAD src0_sel:DWORD src1_sel:BYTE_2
	global_load_dword v36, v36, s[16:17]
	v_lshlrev_b32_sdwa v37, v33, v39 dst_sel:DWORD dst_unused:UNUSED_PAD src0_sel:DWORD src1_sel:BYTE_3
	global_load_dword v37, v37, s[16:17]
	v_bfe_u32 v39, v41, 7, 8
	v_bcnt_u32_b32 v42, v39, 0
	v_and_b32_e32 v42, 1, v42
	v_lshlrev_b32_e32 v42, 7, v42
	v_xor_b32_e32 v39, v42, v39
	v_mul_lo_u32 v39, v39, s23
	v_and_b32_e32 v42, 0x8040201, v39
	v_cmp_ne_u16_sdwa s[20:21], v42, v29 src0_sel:BYTE_3 src1_sel:DWORD
	v_cmp_ne_u16_sdwa s[28:29], v42, v29 src0_sel:BYTE_1 src1_sel:DWORD
	v_lshrrev_b32_e32 v43, 18, v39
	v_cndmask_b32_e64 v44, 0, -1, s[28:29]
	v_cndmask_b32_e64 v46, 0, -1, s[20:21]
	v_bfe_i32 v42, v39, 0, 1
	v_lshlrev_b16_e32 v44, 8, v44
	v_bfe_i32 v43, v43, 0, 1
	v_lshlrev_b16_e32 v46, 8, v46
	v_or_b32_sdwa v45, v42, v44 dst_sel:DWORD dst_unused:UNUSED_PAD src0_sel:BYTE_0 src1_sel:DWORD
	v_or_b32_sdwa v49, v43, v46 dst_sel:WORD_1 dst_unused:UNUSED_PAD src0_sel:BYTE_0 src1_sel:DWORD
	v_or_b32_sdwa v45, v45, v49 dst_sel:DWORD dst_unused:UNUSED_PAD src0_sel:WORD_0 src1_sel:DWORD
	v_lshlrev_b16_e32 v42, 8, v42
	v_lshlrev_b16_e32 v43, 8, v43
	s_waitcnt vmcnt(1)
	v_xor_b32_e32 v36, v36, v45
	v_and_b32_e32 v45, 0xffffff00, v36
	v_sub_i16 v44, v45, v44 clamp
	v_lshlrev_b16_e32 v45, 8, v36
	v_sub_i16 v42, v45, v42 clamp
	v_perm_b32 v42, v42, v44, s26
	v_and_b32_sdwa v44, v36, s25 dst_sel:DWORD dst_unused:UNUSED_PAD src0_sel:WORD_1 src1_sel:DWORD
	v_lshlrev_b16_sdwa v36, v34, v36 dst_sel:DWORD dst_unused:UNUSED_PAD src0_sel:DWORD src1_sel:WORD_1
	v_sub_i16 v44, v44, v46 clamp
	v_sub_i16 v36, v36, v43 clamp
	v_perm_b32 v36, v36, v44, s26
	v_lshl_or_b32 v36, v36, 16, v42
	v_and_b32_e32 v42, 0x80402010, v39
	v_cmp_ne_u16_sdwa s[20:21], v42, v29 src0_sel:BYTE_3 src1_sel:DWORD
	v_cmp_ne_u16_sdwa s[28:29], v42, v29 src0_sel:BYTE_1 src1_sel:DWORD
	v_lshrrev_b32_e32 v39, 22, v39
	v_lshrrev_b16_e32 v42, 4, v42
	v_cndmask_b32_e64 v43, 0, -1, s[28:29]
	v_cndmask_b32_e64 v45, 0, -1, s[20:21]
	v_bfe_i32 v42, v42, 0, 1
	v_lshlrev_b16_e32 v43, 8, v43
	v_bfe_i32 v39, v39, 0, 1
	v_lshlrev_b16_e32 v45, 8, v45
	v_or_b32_sdwa v44, v42, v43 dst_sel:DWORD dst_unused:UNUSED_PAD src0_sel:BYTE_0 src1_sel:DWORD
	v_or_b32_sdwa v46, v39, v45 dst_sel:WORD_1 dst_unused:UNUSED_PAD src0_sel:BYTE_0 src1_sel:DWORD
	v_or_b32_sdwa v44, v44, v46 dst_sel:DWORD dst_unused:UNUSED_PAD src0_sel:WORD_0 src1_sel:DWORD
	s_waitcnt vmcnt(0)
	v_xor_b32_e32 v37, v37, v44
	v_and_b32_e32 v44, 0xffffff00, v37
	v_sub_i16 v43, v44, v43 clamp
	v_lshlrev_b16_e32 v44, 8, v37
	v_lshlrev_b16_e32 v42, 8, v42
	v_sub_i16 v42, v44, v42 clamp
	v_perm_b32 v42, v42, v43, s26
	v_and_b32_sdwa v43, v37, s25 dst_sel:DWORD dst_unused:UNUSED_PAD src0_sel:WORD_1 src1_sel:DWORD
	v_lshlrev_b16_sdwa v37, v34, v37 dst_sel:DWORD dst_unused:UNUSED_PAD src0_sel:DWORD src1_sel:WORD_1
	v_lshlrev_b16_e32 v39, 8, v39
	v_sub_i16 v43, v43, v45 clamp
	v_sub_i16 v37, v37, v39 clamp
	v_perm_b32 v37, v37, v43, s26
	v_lshl_or_b32 v37, v37, 16, v42
	v_dot4_i32_i8 v38, v36, v9, v38
	v_dot4_i32_i8 v42, v37, v2, v38
	v_lshlrev_b32_sdwa v38, v33, v40 dst_sel:DWORD dst_unused:UNUSED_PAD src0_sel:DWORD src1_sel:BYTE_0
	global_load_dword v38, v38, s[16:17]
	v_lshlrev_b32_sdwa v39, v33, v40 dst_sel:DWORD dst_unused:UNUSED_PAD src0_sel:DWORD src1_sel:BYTE_1
	global_load_dword v39, v39, s[16:17]
	v_bfe_u32 v43, v41, 14, 8
	v_bcnt_u32_b32 v44, v43, 0
	v_and_b32_e32 v44, 1, v44
	v_lshlrev_b32_e32 v44, 7, v44
	v_xor_b32_e32 v43, v44, v43
	v_mul_lo_u32 v43, v43, s23
	v_and_b32_e32 v44, 0x8040201, v43
	v_cmp_ne_u16_sdwa s[20:21], v44, v29 src0_sel:BYTE_3 src1_sel:DWORD
	v_cmp_ne_u16_sdwa s[28:29], v44, v29 src0_sel:BYTE_1 src1_sel:DWORD
	v_lshrrev_b32_e32 v45, 18, v43
	v_cndmask_b32_e64 v46, 0, -1, s[28:29]
	v_cndmask_b32_e64 v50, 0, -1, s[20:21]
	v_bfe_i32 v44, v43, 0, 1
	v_lshlrev_b16_e32 v46, 8, v46
	v_bfe_i32 v45, v45, 0, 1
	v_lshlrev_b16_e32 v50, 8, v50
	v_or_b32_sdwa v49, v44, v46 dst_sel:DWORD dst_unused:UNUSED_PAD src0_sel:BYTE_0 src1_sel:DWORD
	v_or_b32_sdwa v51, v45, v50 dst_sel:WORD_1 dst_unused:UNUSED_PAD src0_sel:BYTE_0 src1_sel:DWORD
	v_or_b32_sdwa v49, v49, v51 dst_sel:DWORD dst_unused:UNUSED_PAD src0_sel:WORD_0 src1_sel:DWORD
	v_lshlrev_b16_e32 v44, 8, v44
	v_lshlrev_b16_e32 v45, 8, v45
	s_waitcnt vmcnt(1)
	v_xor_b32_e32 v38, v38, v49
	v_and_b32_e32 v49, 0xffffff00, v38
	v_sub_i16 v46, v49, v46 clamp
	v_lshlrev_b16_e32 v49, 8, v38
	v_sub_i16 v44, v49, v44 clamp
	v_perm_b32 v44, v44, v46, s26
	v_and_b32_sdwa v46, v38, s25 dst_sel:DWORD dst_unused:UNUSED_PAD src0_sel:WORD_1 src1_sel:DWORD
	v_lshlrev_b16_sdwa v38, v34, v38 dst_sel:DWORD dst_unused:UNUSED_PAD src0_sel:DWORD src1_sel:WORD_1
	v_sub_i16 v46, v46, v50 clamp
	v_sub_i16 v38, v38, v45 clamp
	v_perm_b32 v38, v38, v46, s26
	v_lshl_or_b32 v38, v38, 16, v44
	v_and_b32_e32 v44, 0x80402010, v43
	v_cmp_ne_u16_sdwa s[20:21], v44, v29 src0_sel:BYTE_3 src1_sel:DWORD
	v_cmp_ne_u16_sdwa s[28:29], v44, v29 src0_sel:BYTE_1 src1_sel:DWORD
	v_lshrrev_b32_e32 v43, 22, v43
	v_lshrrev_b16_e32 v44, 4, v44
	v_cndmask_b32_e64 v45, 0, -1, s[28:29]
	v_cndmask_b32_e64 v49, 0, -1, s[20:21]
	v_bfe_i32 v44, v44, 0, 1
	v_lshlrev_b16_e32 v45, 8, v45
	v_bfe_i32 v43, v43, 0, 1
	v_lshlrev_b16_e32 v49, 8, v49
	v_or_b32_sdwa v46, v44, v45 dst_sel:DWORD dst_unused:UNUSED_PAD src0_sel:BYTE_0 src1_sel:DWORD
	v_or_b32_sdwa v50, v43, v49 dst_sel:WORD_1 dst_unused:UNUSED_PAD src0_sel:BYTE_0 src1_sel:DWORD
	v_or_b32_sdwa v46, v46, v50 dst_sel:DWORD dst_unused:UNUSED_PAD src0_sel:WORD_0 src1_sel:DWORD
	s_waitcnt vmcnt(0)
	v_xor_b32_e32 v39, v39, v46
	v_and_b32_e32 v46, 0xffffff00, v39
	v_sub_i16 v45, v46, v45 clamp
	v_lshlrev_b16_e32 v46, 8, v39
	v_lshlrev_b16_e32 v44, 8, v44
	v_sub_i16 v44, v46, v44 clamp
	v_perm_b32 v44, v44, v45, s26
	v_and_b32_sdwa v45, v39, s25 dst_sel:DWORD dst_unused:UNUSED_PAD src0_sel:WORD_1 src1_sel:DWORD
	v_lshlrev_b16_sdwa v39, v34, v39 dst_sel:DWORD dst_unused:UNUSED_PAD src0_sel:DWORD src1_sel:WORD_1
	v_lshlrev_b16_e32 v43, 8, v43
	v_sub_i16 v45, v45, v49 clamp
	v_sub_i16 v39, v39, v43 clamp
	v_perm_b32 v39, v39, v45, s26
	v_lshl_or_b32 v39, v39, 16, v44
	v_dot4_i32_i8 v42, v38, v3, v42
	v_dot4_i32_i8 v43, v39, v4, v42
	v_lshlrev_b32_sdwa v42, v33, v40 dst_sel:DWORD dst_unused:UNUSED_PAD src0_sel:DWORD src1_sel:BYTE_2
	global_load_dword v42, v42, s[16:17]
	v_lshlrev_b32_sdwa v40, v33, v40 dst_sel:DWORD dst_unused:UNUSED_PAD src0_sel:DWORD src1_sel:BYTE_3
	global_load_dword v44, v40, s[16:17]
	v_bfe_u32 v40, v41, 21, 8
	v_bcnt_u32_b32 v45, v40, 0
	v_and_b32_e32 v45, 1, v45
	v_lshlrev_b32_e32 v45, 7, v45
	v_xor_b32_e32 v40, v45, v40
	v_mul_lo_u32 v45, v40, s23
	v_lshrrev_b32_e32 v41, 28, v41
	v_and_b32_e32 v40, 0x8040201, v45
	v_cmp_ne_u16_sdwa s[20:21], v40, v29 src0_sel:BYTE_3 src1_sel:DWORD
	v_cmp_ne_u16_sdwa s[28:29], v40, v29 src0_sel:BYTE_1 src1_sel:DWORD
	v_lshrrev_b32_e32 v46, 18, v45
	v_cndmask_b32_e64 v49, 0, -1, s[28:29]
	v_cndmask_b32_e64 v51, 0, -1, s[20:21]
	v_bfe_i32 v40, v45, 0, 1
	v_lshlrev_b16_e32 v49, 8, v49
	v_bfe_i32 v46, v46, 0, 1
	v_lshlrev_b16_e32 v51, 8, v51
	v_or_b32_sdwa v50, v40, v49 dst_sel:DWORD dst_unused:UNUSED_PAD src0_sel:BYTE_0 src1_sel:DWORD
	v_or_b32_sdwa v52, v46, v51 dst_sel:WORD_1 dst_unused:UNUSED_PAD src0_sel:BYTE_0 src1_sel:DWORD
	v_or_b32_sdwa v50, v50, v52 dst_sel:DWORD dst_unused:UNUSED_PAD src0_sel:WORD_0 src1_sel:DWORD
	v_lshlrev_b16_e32 v40, 8, v40
	v_lshlrev_b16_e32 v46, 8, v46
	s_waitcnt vmcnt(1)
	v_xor_b32_e32 v42, v42, v50
	v_and_b32_e32 v50, 0xffffff00, v42
	v_sub_i16 v49, v50, v49 clamp
	v_lshlrev_b16_e32 v50, 8, v42
	v_sub_i16 v40, v50, v40 clamp
	v_perm_b32 v40, v40, v49, s26
	v_and_b32_sdwa v49, v42, s25 dst_sel:DWORD dst_unused:UNUSED_PAD src0_sel:WORD_1 src1_sel:DWORD
	v_lshlrev_b16_sdwa v42, v34, v42 dst_sel:DWORD dst_unused:UNUSED_PAD src0_sel:DWORD src1_sel:WORD_1
	v_sub_i16 v49, v49, v51 clamp
	v_sub_i16 v42, v42, v46 clamp
	v_perm_b32 v42, v42, v49, s26
	v_lshl_or_b32 v40, v42, 16, v40
	v_and_b32_e32 v42, 0x80402010, v45
	v_cmp_ne_u16_sdwa s[20:21], v42, v29 src0_sel:BYTE_3 src1_sel:DWORD
	v_cmp_ne_u16_sdwa s[28:29], v42, v29 src0_sel:BYTE_1 src1_sel:DWORD
	v_lshrrev_b32_e32 v45, 22, v45
	v_lshrrev_b16_e32 v42, 4, v42
	v_cndmask_b32_e64 v46, 0, -1, s[28:29]
	v_cndmask_b32_e64 v50, 0, -1, s[20:21]
	v_bfe_i32 v42, v42, 0, 1
	v_lshlrev_b16_e32 v46, 8, v46
	v_bfe_i32 v45, v45, 0, 1
	v_lshlrev_b16_e32 v50, 8, v50
	v_or_b32_sdwa v49, v42, v46 dst_sel:DWORD dst_unused:UNUSED_PAD src0_sel:BYTE_0 src1_sel:DWORD
	v_or_b32_sdwa v51, v45, v50 dst_sel:WORD_1 dst_unused:UNUSED_PAD src0_sel:BYTE_0 src1_sel:DWORD
	v_or_b32_sdwa v49, v49, v51 dst_sel:DWORD dst_unused:UNUSED_PAD src0_sel:WORD_0 src1_sel:DWORD
	s_waitcnt vmcnt(0)
	v_xor_b32_e32 v44, v44, v49
	v_and_b32_e32 v49, 0xffffff00, v44
	v_sub_i16 v46, v49, v46 clamp
	v_lshlrev_b16_e32 v49, 8, v44
	v_lshlrev_b16_e32 v42, 8, v42
	v_sub_i16 v42, v49, v42 clamp
	v_perm_b32 v42, v42, v46, s26
	v_and_b32_sdwa v46, v44, s25 dst_sel:DWORD dst_unused:UNUSED_PAD src0_sel:WORD_1 src1_sel:DWORD
	v_lshlrev_b16_sdwa v44, v34, v44 dst_sel:DWORD dst_unused:UNUSED_PAD src0_sel:DWORD src1_sel:WORD_1
	v_lshlrev_b16_e32 v45, 8, v45
	v_sub_i16 v46, v46, v50 clamp
	v_sub_i16 v44, v44, v45 clamp
	v_perm_b32 v44, v44, v46, s26
	v_lshl_or_b32 v42, v44, 16, v42
	v_dot4_i32_i8 v43, v40, v5, v43
	v_dot4_i32_i8 v44, v42, v48, v43
	v_lshrrev_b32_e32 v43, 31, v44
	v_add_u32_e32 v43, v44, v43
	v_ashrrev_i32_e32 v43, 1, v43
	v_mad_u64_u32 v[43:44], s[20:21], v44, v41, v[43:44]
	v_lshrrev_b32_e32 v44, 31, v43
	v_add_u32_e32 v43, v43, v44
	v_ashrrev_i32_e32 v44, 1, v43
	v_cvt_f32_f16_e32 v43, v16
	v_cvt_f32_i32_e32 v17, v44
	v_mul_f32_e32 v16, v43, v47
	v_fmac_f32_e32 v27, v16, v17
	v_add_u32_e32 v16, s0, v28
	v_mad_i64_i32 v[16:17], s[20:21], v16, s22, v[14:15]
	v_add_u32_e32 v28, 8, v28
	v_add_co_u32_e32 v44, vcc, v16, v31
	v_addc_co_u32_e32 v45, vcc, 0, v17, vcc
	global_load_dwordx2 v[49:50], v[44:45], off offset:2
	v_add_co_u32_e32 v44, vcc, v16, v32
	v_addc_co_u32_e32 v45, vcc, 0, v17, vcc
	global_load_dword v51, v[44:45], off offset:66
	v_add_co_u32_e32 v12, vcc, 0x900, v12
	v_addc_co_u32_e32 v13, vcc, 0, v13, vcc
	v_cmp_le_u32_e32 vcc, s9, v28
	s_or_b64 s[12:13], vcc, s[12:13]
	s_waitcnt vmcnt(1)
	v_lshlrev_b32_sdwa v44, v33, v49 dst_sel:DWORD dst_unused:UNUSED_PAD src0_sel:DWORD src1_sel:BYTE_0
	global_load_dword v44, v44, s[16:17]
	v_lshlrev_b32_sdwa v45, v33, v49 dst_sel:DWORD dst_unused:UNUSED_PAD src0_sel:DWORD src1_sel:BYTE_1
	global_load_dword v45, v45, s[16:17]
	s_waitcnt vmcnt(2)
	v_and_b32_e32 v46, 0xff, v51
	v_bcnt_u32_b32 v52, v46, 0
	v_and_b32_e32 v52, 1, v52
	v_lshlrev_b32_e32 v52, 7, v52
	v_xor_b32_e32 v46, v52, v46
	v_mul_lo_u32 v46, v46, s23
	v_and_b32_e32 v52, 0x8040201, v46
	v_cmp_ne_u16_sdwa s[20:21], v52, v29 src0_sel:BYTE_3 src1_sel:DWORD
	v_cmp_ne_u16_sdwa s[28:29], v52, v29 src0_sel:BYTE_1 src1_sel:DWORD
	v_lshrrev_b32_e32 v53, 18, v46
	v_cndmask_b32_e64 v54, 0, -1, s[28:29]
	v_cndmask_b32_e64 v56, 0, -1, s[20:21]
	v_bfe_i32 v52, v46, 0, 1
	v_lshlrev_b16_e32 v54, 8, v54
	v_bfe_i32 v53, v53, 0, 1
	v_lshlrev_b16_e32 v56, 8, v56
	v_or_b32_sdwa v55, v52, v54 dst_sel:DWORD dst_unused:UNUSED_PAD src0_sel:BYTE_0 src1_sel:DWORD
	v_or_b32_sdwa v57, v53, v56 dst_sel:WORD_1 dst_unused:UNUSED_PAD src0_sel:BYTE_0 src1_sel:DWORD
	v_or_b32_sdwa v55, v55, v57 dst_sel:DWORD dst_unused:UNUSED_PAD src0_sel:WORD_0 src1_sel:DWORD
	v_lshlrev_b16_e32 v52, 8, v52
	v_lshlrev_b16_e32 v53, 8, v53
	s_waitcnt vmcnt(1)
	v_xor_b32_e32 v44, v44, v55
	v_and_b32_e32 v55, 0xffffff00, v44
	v_sub_i16 v54, v55, v54 clamp
	v_lshlrev_b16_e32 v55, 8, v44
	v_sub_i16 v52, v55, v52 clamp
	v_perm_b32 v52, v52, v54, s26
	v_and_b32_sdwa v54, v44, s25 dst_sel:DWORD dst_unused:UNUSED_PAD src0_sel:WORD_1 src1_sel:DWORD
	v_lshlrev_b16_sdwa v44, v34, v44 dst_sel:DWORD dst_unused:UNUSED_PAD src0_sel:DWORD src1_sel:WORD_1
	v_sub_i16 v54, v54, v56 clamp
	v_sub_i16 v44, v44, v53 clamp
	v_perm_b32 v44, v44, v54, s26
	v_lshl_or_b32 v44, v44, 16, v52
	v_and_b32_e32 v52, 0x80402010, v46
	v_cmp_ne_u16_sdwa s[20:21], v52, v29 src0_sel:BYTE_3 src1_sel:DWORD
	v_cmp_ne_u16_sdwa s[28:29], v52, v29 src0_sel:BYTE_1 src1_sel:DWORD
	v_lshrrev_b32_e32 v46, 22, v46
	v_lshrrev_b16_e32 v52, 4, v52
	v_cndmask_b32_e64 v53, 0, -1, s[28:29]
	v_cndmask_b32_e64 v55, 0, -1, s[20:21]
	v_bfe_i32 v52, v52, 0, 1
	v_lshlrev_b16_e32 v53, 8, v53
	v_bfe_i32 v46, v46, 0, 1
	v_lshlrev_b16_e32 v55, 8, v55
	v_or_b32_sdwa v54, v52, v53 dst_sel:DWORD dst_unused:UNUSED_PAD src0_sel:BYTE_0 src1_sel:DWORD
	v_or_b32_sdwa v56, v46, v55 dst_sel:WORD_1 dst_unused:UNUSED_PAD src0_sel:BYTE_0 src1_sel:DWORD
	v_or_b32_sdwa v54, v54, v56 dst_sel:DWORD dst_unused:UNUSED_PAD src0_sel:WORD_0 src1_sel:DWORD
	s_waitcnt vmcnt(0)
	v_xor_b32_e32 v45, v45, v54
	v_and_b32_e32 v54, 0xffffff00, v45
	v_sub_i16 v53, v54, v53 clamp
	v_lshlrev_b16_e32 v54, 8, v45
	v_lshlrev_b16_e32 v52, 8, v52
	v_sub_i16 v52, v54, v52 clamp
	v_perm_b32 v52, v52, v53, s26
	v_and_b32_sdwa v53, v45, s25 dst_sel:DWORD dst_unused:UNUSED_PAD src0_sel:WORD_1 src1_sel:DWORD
	v_lshlrev_b16_sdwa v45, v34, v45 dst_sel:DWORD dst_unused:UNUSED_PAD src0_sel:DWORD src1_sel:WORD_1
	v_lshlrev_b16_e32 v46, 8, v46
	v_sub_i16 v53, v53, v55 clamp
	v_sub_i16 v45, v45, v46 clamp
	v_perm_b32 v45, v45, v53, s26
	v_lshl_or_b32 v45, v45, 16, v52
	v_dot4_i32_i8 v7, v44, v7, 0
	v_dot4_i32_i8 v46, v45, v8, v7
	v_lshlrev_b32_sdwa v7, v33, v49 dst_sel:DWORD dst_unused:UNUSED_PAD src0_sel:DWORD src1_sel:BYTE_2
	global_load_dword v7, v7, s[16:17]
	v_lshlrev_b32_sdwa v8, v33, v49 dst_sel:DWORD dst_unused:UNUSED_PAD src0_sel:DWORD src1_sel:BYTE_3
	global_load_dword v8, v8, s[16:17]
	v_bfe_u32 v49, v51, 7, 8
	v_bcnt_u32_b32 v52, v49, 0
	v_and_b32_e32 v52, 1, v52
	v_lshlrev_b32_e32 v52, 7, v52
	v_xor_b32_e32 v49, v52, v49
	v_mul_lo_u32 v49, v49, s23
	v_and_b32_e32 v52, 0x8040201, v49
	v_cmp_ne_u16_sdwa s[20:21], v52, v29 src0_sel:BYTE_3 src1_sel:DWORD
	v_cmp_ne_u16_sdwa s[28:29], v52, v29 src0_sel:BYTE_1 src1_sel:DWORD
	v_lshrrev_b32_e32 v53, 18, v49
	v_cndmask_b32_e64 v54, 0, -1, s[28:29]
	v_cndmask_b32_e64 v56, 0, -1, s[20:21]
	v_bfe_i32 v52, v49, 0, 1
	v_lshlrev_b16_e32 v54, 8, v54
	v_bfe_i32 v53, v53, 0, 1
	v_lshlrev_b16_e32 v56, 8, v56
	v_or_b32_sdwa v55, v52, v54 dst_sel:DWORD dst_unused:UNUSED_PAD src0_sel:BYTE_0 src1_sel:DWORD
	v_or_b32_sdwa v57, v53, v56 dst_sel:WORD_1 dst_unused:UNUSED_PAD src0_sel:BYTE_0 src1_sel:DWORD
	v_or_b32_sdwa v55, v55, v57 dst_sel:DWORD dst_unused:UNUSED_PAD src0_sel:WORD_0 src1_sel:DWORD
	v_lshlrev_b16_e32 v52, 8, v52
	v_lshlrev_b16_e32 v53, 8, v53
	s_waitcnt vmcnt(1)
	v_xor_b32_e32 v7, v7, v55
	v_and_b32_e32 v55, 0xffffff00, v7
	v_sub_i16 v54, v55, v54 clamp
	v_lshlrev_b16_e32 v55, 8, v7
	v_sub_i16 v52, v55, v52 clamp
	v_perm_b32 v52, v52, v54, s26
	v_and_b32_sdwa v54, v7, s25 dst_sel:DWORD dst_unused:UNUSED_PAD src0_sel:WORD_1 src1_sel:DWORD
	v_lshlrev_b16_sdwa v7, v34, v7 dst_sel:DWORD dst_unused:UNUSED_PAD src0_sel:DWORD src1_sel:WORD_1
	v_sub_i16 v54, v54, v56 clamp
	v_sub_i16 v7, v7, v53 clamp
	v_perm_b32 v7, v7, v54, s26
	v_lshl_or_b32 v7, v7, 16, v52
	v_and_b32_e32 v52, 0x80402010, v49
	v_cmp_ne_u16_sdwa s[20:21], v52, v29 src0_sel:BYTE_3 src1_sel:DWORD
	v_cmp_ne_u16_sdwa s[28:29], v52, v29 src0_sel:BYTE_1 src1_sel:DWORD
	v_lshrrev_b32_e32 v49, 22, v49
	v_lshrrev_b16_e32 v52, 4, v52
	v_cndmask_b32_e64 v53, 0, -1, s[28:29]
	v_cndmask_b32_e64 v55, 0, -1, s[20:21]
	v_bfe_i32 v52, v52, 0, 1
	v_lshlrev_b16_e32 v53, 8, v53
	v_bfe_i32 v49, v49, 0, 1
	v_lshlrev_b16_e32 v55, 8, v55
	v_or_b32_sdwa v54, v52, v53 dst_sel:DWORD dst_unused:UNUSED_PAD src0_sel:BYTE_0 src1_sel:DWORD
	v_or_b32_sdwa v56, v49, v55 dst_sel:WORD_1 dst_unused:UNUSED_PAD src0_sel:BYTE_0 src1_sel:DWORD
	v_or_b32_sdwa v54, v54, v56 dst_sel:DWORD dst_unused:UNUSED_PAD src0_sel:WORD_0 src1_sel:DWORD
	s_waitcnt vmcnt(0)
	v_xor_b32_e32 v8, v8, v54
	v_and_b32_e32 v54, 0xffffff00, v8
	v_sub_i16 v53, v54, v53 clamp
	v_lshlrev_b16_e32 v54, 8, v8
	v_lshlrev_b16_e32 v52, 8, v52
	v_sub_i16 v52, v54, v52 clamp
	v_perm_b32 v52, v52, v53, s26
	v_and_b32_sdwa v53, v8, s25 dst_sel:DWORD dst_unused:UNUSED_PAD src0_sel:WORD_1 src1_sel:DWORD
	v_lshlrev_b16_sdwa v8, v34, v8 dst_sel:DWORD dst_unused:UNUSED_PAD src0_sel:DWORD src1_sel:WORD_1
	v_lshlrev_b16_e32 v49, 8, v49
	v_sub_i16 v53, v53, v55 clamp
	v_sub_i16 v8, v8, v49 clamp
	v_perm_b32 v8, v8, v53, s26
	v_lshl_or_b32 v8, v8, 16, v52
	v_dot4_i32_i8 v9, v7, v9, v46
	v_dot4_i32_i8 v46, v8, v2, v9
	v_lshlrev_b32_sdwa v2, v33, v50 dst_sel:DWORD dst_unused:UNUSED_PAD src0_sel:DWORD src1_sel:BYTE_0
	global_load_dword v2, v2, s[16:17]
	v_lshlrev_b32_sdwa v9, v33, v50 dst_sel:DWORD dst_unused:UNUSED_PAD src0_sel:DWORD src1_sel:BYTE_1
	global_load_dword v9, v9, s[16:17]
	v_bfe_u32 v49, v51, 14, 8
	v_bcnt_u32_b32 v52, v49, 0
	v_and_b32_e32 v52, 1, v52
	v_lshlrev_b32_e32 v52, 7, v52
	v_xor_b32_e32 v49, v52, v49
	v_mul_lo_u32 v49, v49, s23
	v_and_b32_e32 v52, 0x8040201, v49
	v_cmp_ne_u16_sdwa s[20:21], v52, v29 src0_sel:BYTE_3 src1_sel:DWORD
	v_cmp_ne_u16_sdwa s[28:29], v52, v29 src0_sel:BYTE_1 src1_sel:DWORD
	v_lshrrev_b32_e32 v53, 18, v49
	v_cndmask_b32_e64 v54, 0, -1, s[28:29]
	v_cndmask_b32_e64 v56, 0, -1, s[20:21]
	v_bfe_i32 v52, v49, 0, 1
	v_lshlrev_b16_e32 v54, 8, v54
	v_bfe_i32 v53, v53, 0, 1
	v_lshlrev_b16_e32 v56, 8, v56
	v_or_b32_sdwa v55, v52, v54 dst_sel:DWORD dst_unused:UNUSED_PAD src0_sel:BYTE_0 src1_sel:DWORD
	v_or_b32_sdwa v57, v53, v56 dst_sel:WORD_1 dst_unused:UNUSED_PAD src0_sel:BYTE_0 src1_sel:DWORD
	v_or_b32_sdwa v55, v55, v57 dst_sel:DWORD dst_unused:UNUSED_PAD src0_sel:WORD_0 src1_sel:DWORD
	v_lshlrev_b16_e32 v52, 8, v52
	v_lshlrev_b16_e32 v53, 8, v53
	s_waitcnt vmcnt(1)
	v_xor_b32_e32 v2, v2, v55
	v_and_b32_e32 v55, 0xffffff00, v2
	v_sub_i16 v54, v55, v54 clamp
	v_lshlrev_b16_e32 v55, 8, v2
	v_sub_i16 v52, v55, v52 clamp
	v_perm_b32 v52, v52, v54, s26
	v_and_b32_sdwa v54, v2, s25 dst_sel:DWORD dst_unused:UNUSED_PAD src0_sel:WORD_1 src1_sel:DWORD
	v_lshlrev_b16_sdwa v2, v34, v2 dst_sel:DWORD dst_unused:UNUSED_PAD src0_sel:DWORD src1_sel:WORD_1
	v_sub_i16 v54, v54, v56 clamp
	v_sub_i16 v2, v2, v53 clamp
	v_perm_b32 v2, v2, v54, s26
	v_lshl_or_b32 v2, v2, 16, v52
	v_and_b32_e32 v52, 0x80402010, v49
	v_cmp_ne_u16_sdwa s[20:21], v52, v29 src0_sel:BYTE_3 src1_sel:DWORD
	v_cmp_ne_u16_sdwa s[28:29], v52, v29 src0_sel:BYTE_1 src1_sel:DWORD
	v_lshrrev_b32_e32 v49, 22, v49
	v_lshrrev_b16_e32 v52, 4, v52
	v_cndmask_b32_e64 v53, 0, -1, s[28:29]
	v_cndmask_b32_e64 v55, 0, -1, s[20:21]
	v_bfe_i32 v52, v52, 0, 1
	v_lshlrev_b16_e32 v53, 8, v53
	v_bfe_i32 v49, v49, 0, 1
	v_lshlrev_b16_e32 v55, 8, v55
	v_or_b32_sdwa v54, v52, v53 dst_sel:DWORD dst_unused:UNUSED_PAD src0_sel:BYTE_0 src1_sel:DWORD
	v_or_b32_sdwa v56, v49, v55 dst_sel:WORD_1 dst_unused:UNUSED_PAD src0_sel:BYTE_0 src1_sel:DWORD
	v_or_b32_sdwa v54, v54, v56 dst_sel:DWORD dst_unused:UNUSED_PAD src0_sel:WORD_0 src1_sel:DWORD
	s_waitcnt vmcnt(0)
	v_xor_b32_e32 v9, v9, v54
	v_and_b32_e32 v54, 0xffffff00, v9
	v_sub_i16 v53, v54, v53 clamp
	v_lshlrev_b16_e32 v54, 8, v9
	v_lshlrev_b16_e32 v52, 8, v52
	v_sub_i16 v52, v54, v52 clamp
	v_perm_b32 v52, v52, v53, s26
	v_and_b32_sdwa v53, v9, s25 dst_sel:DWORD dst_unused:UNUSED_PAD src0_sel:WORD_1 src1_sel:DWORD
	v_lshlrev_b16_sdwa v9, v34, v9 dst_sel:DWORD dst_unused:UNUSED_PAD src0_sel:DWORD src1_sel:WORD_1
	v_lshlrev_b16_e32 v49, 8, v49
	v_sub_i16 v53, v53, v55 clamp
	v_sub_i16 v9, v9, v49 clamp
	v_perm_b32 v9, v9, v53, s26
	v_lshl_or_b32 v9, v9, 16, v52
	v_dot4_i32_i8 v3, v2, v3, v46
	v_dot4_i32_i8 v4, v9, v4, v3
	v_lshlrev_b32_sdwa v3, v33, v50 dst_sel:DWORD dst_unused:UNUSED_PAD src0_sel:DWORD src1_sel:BYTE_2
	global_load_dword v3, v3, s[16:17]
	v_lshlrev_b32_sdwa v46, v33, v50 dst_sel:DWORD dst_unused:UNUSED_PAD src0_sel:DWORD src1_sel:BYTE_3
	global_load_dword v46, v46, s[16:17]
	v_bfe_u32 v49, v51, 21, 8
	v_bcnt_u32_b32 v50, v49, 0
	v_and_b32_e32 v50, 1, v50
	v_lshlrev_b32_e32 v50, 7, v50
	v_xor_b32_e32 v49, v50, v49
	v_mul_lo_u32 v49, v49, s23
	v_and_b32_e32 v50, 0x8040201, v49
	v_cmp_ne_u16_sdwa s[16:17], v50, v29 src0_sel:BYTE_3 src1_sel:DWORD
	v_cmp_ne_u16_sdwa s[20:21], v50, v29 src0_sel:BYTE_1 src1_sel:DWORD
	v_lshrrev_b32_e32 v52, 18, v49
	v_cndmask_b32_e64 v53, 0, -1, s[20:21]
	v_cndmask_b32_e64 v55, 0, -1, s[16:17]
	v_bfe_i32 v50, v49, 0, 1
	v_lshlrev_b16_e32 v53, 8, v53
	v_bfe_i32 v52, v52, 0, 1
	v_lshlrev_b16_e32 v55, 8, v55
	v_or_b32_sdwa v54, v50, v53 dst_sel:DWORD dst_unused:UNUSED_PAD src0_sel:BYTE_0 src1_sel:DWORD
	v_or_b32_sdwa v56, v52, v55 dst_sel:WORD_1 dst_unused:UNUSED_PAD src0_sel:BYTE_0 src1_sel:DWORD
	v_or_b32_sdwa v54, v54, v56 dst_sel:DWORD dst_unused:UNUSED_PAD src0_sel:WORD_0 src1_sel:DWORD
	v_lshlrev_b16_e32 v50, 8, v50
	v_lshlrev_b16_e32 v52, 8, v52
	s_waitcnt vmcnt(1)
	v_xor_b32_e32 v3, v3, v54
	v_and_b32_e32 v54, 0xffffff00, v3
	v_sub_i16 v53, v54, v53 clamp
	v_lshlrev_b16_e32 v54, 8, v3
	v_sub_i16 v50, v54, v50 clamp
	v_perm_b32 v50, v50, v53, s26
	v_and_b32_sdwa v53, v3, s25 dst_sel:DWORD dst_unused:UNUSED_PAD src0_sel:WORD_1 src1_sel:DWORD
	v_lshlrev_b16_sdwa v3, v34, v3 dst_sel:DWORD dst_unused:UNUSED_PAD src0_sel:DWORD src1_sel:WORD_1
	v_sub_i16 v53, v53, v55 clamp
	v_sub_i16 v3, v3, v52 clamp
	v_perm_b32 v3, v3, v53, s26
	v_lshl_or_b32 v3, v3, 16, v50
	v_and_b32_e32 v50, 0x80402010, v49
	v_cmp_ne_u16_sdwa s[16:17], v50, v29 src0_sel:BYTE_3 src1_sel:DWORD
	v_cmp_ne_u16_sdwa s[20:21], v50, v29 src0_sel:BYTE_1 src1_sel:DWORD
	v_lshrrev_b32_e32 v49, 22, v49
	v_lshrrev_b16_e32 v50, 4, v50
	v_cndmask_b32_e64 v52, 0, -1, s[20:21]
	v_cndmask_b32_e64 v54, 0, -1, s[16:17]
	v_bfe_i32 v50, v50, 0, 1
	v_lshlrev_b16_e32 v52, 8, v52
	v_bfe_i32 v49, v49, 0, 1
	v_lshlrev_b16_e32 v54, 8, v54
	v_or_b32_sdwa v53, v50, v52 dst_sel:DWORD dst_unused:UNUSED_PAD src0_sel:BYTE_0 src1_sel:DWORD
	v_or_b32_sdwa v55, v49, v54 dst_sel:WORD_1 dst_unused:UNUSED_PAD src0_sel:BYTE_0 src1_sel:DWORD
	v_or_b32_sdwa v53, v53, v55 dst_sel:DWORD dst_unused:UNUSED_PAD src0_sel:WORD_0 src1_sel:DWORD
	s_waitcnt vmcnt(0)
	v_xor_b32_e32 v46, v46, v53
	v_and_b32_e32 v53, 0xffffff00, v46
	v_sub_i16 v52, v53, v52 clamp
	v_lshlrev_b16_e32 v53, 8, v46
	v_lshlrev_b16_e32 v50, 8, v50
	v_sub_i16 v50, v53, v50 clamp
	v_perm_b32 v50, v50, v52, s26
	v_and_b32_sdwa v52, v46, s25 dst_sel:DWORD dst_unused:UNUSED_PAD src0_sel:WORD_1 src1_sel:DWORD
	v_lshlrev_b16_sdwa v46, v34, v46 dst_sel:DWORD dst_unused:UNUSED_PAD src0_sel:DWORD src1_sel:WORD_1
	v_lshlrev_b16_e32 v49, 8, v49
	v_sub_i16 v52, v52, v54 clamp
	v_sub_i16 v46, v46, v49 clamp
	v_perm_b32 v46, v46, v52, s26
	v_lshl_or_b32 v46, v46, 16, v50
	v_dot4_i32_i8 v4, v3, v5, v4
	v_dot4_i32_i8 v48, v46, v48, v4
	v_lshrrev_b32_e32 v5, 31, v48
	v_add_u32_e32 v5, v48, v5
	v_lshrrev_b32_e32 v4, 28, v51
	v_ashrrev_i32_e32 v5, 1, v5
	v_mad_u64_u32 v[48:49], s[16:17], v48, v4, v[5:6]
	v_lshrrev_b32_e32 v5, 31, v48
	v_add_u32_e32 v5, v48, v5
	v_ashrrev_i32_e32 v48, 1, v5
	global_load_ushort v5, v[16:17], off
	v_cvt_f32_i32_e32 v17, v48
	s_waitcnt vmcnt(0)
	v_cvt_f32_f16_e32 v5, v5
	v_mul_f32_e32 v16, v5, v47
	v_fmac_f32_e32 v26, v16, v17
	v_add_u32_e32 v16, s1, v30
	v_mad_u64_u32 v[16:17], s[16:17], v16, 36, v[10:11]
	global_load_dword v55, v[16:17], off offset:32
	global_load_dwordx4 v[47:50], v[16:17], off offset:16
	global_load_dwordx4 v[51:54], v[16:17], off
	s_waitcnt vmcnt(0)
	v_dot4_i32_i8 v16, v6, v52, 0
	v_dot4_i32_i8 v16, v35, v53, v16
	v_dot4_i32_i8 v16, v36, v54, v16
	v_dot4_i32_i8 v16, v37, v47, v16
	v_dot4_i32_i8 v16, v38, v48, v16
	v_dot4_i32_i8 v16, v39, v49, v16
	v_dot4_i32_i8 v16, v40, v50, v16
	v_dot4_i32_i8 v17, v42, v55, v16
	v_lshrrev_b32_e32 v16, 31, v17
	v_add_u32_e32 v16, v17, v16
	v_ashrrev_i32_e32 v16, 1, v16
	v_mad_u64_u32 v[16:17], s[16:17], v17, v41, v[16:17]
	v_cvt_f32_f16_e32 v51, v51
	v_lshrrev_b32_e32 v17, 31, v16
	v_add_u32_e32 v16, v16, v17
	v_ashrrev_i32_e32 v16, 1, v16
	v_cvt_f32_i32_e32 v16, v16
	v_mul_f32_e32 v17, v43, v51
	v_fmac_f32_e32 v25, v17, v16
	v_dot4_i32_i8 v16, v44, v52, 0
	v_dot4_i32_i8 v16, v45, v53, v16
	v_dot4_i32_i8 v16, v7, v54, v16
	v_dot4_i32_i8 v16, v8, v47, v16
	v_dot4_i32_i8 v16, v2, v48, v16
	v_dot4_i32_i8 v16, v9, v49, v16
	v_dot4_i32_i8 v16, v3, v50, v16
	v_dot4_i32_i8 v17, v46, v55, v16
	v_lshrrev_b32_e32 v16, 31, v17
	v_add_u32_e32 v16, v17, v16
	v_ashrrev_i32_e32 v16, 1, v16
	v_mad_u64_u32 v[16:17], s[16:17], v17, v4, v[16:17]
	v_lshrrev_b32_e32 v17, 31, v16
	v_add_u32_e32 v16, v16, v17
	v_ashrrev_i32_e32 v16, 1, v16
	v_cvt_f32_i32_e32 v16, v16
	v_mul_f32_e32 v17, v5, v51
	v_fmac_f32_e32 v24, v17, v16
	v_add_u32_e32 v16, s3, v30
	v_mad_u64_u32 v[16:17], s[16:17], v16, 36, v[10:11]
	global_load_dword v55, v[16:17], off offset:32
	global_load_dwordx4 v[47:50], v[16:17], off offset:16
	global_load_dwordx4 v[51:54], v[16:17], off
	s_waitcnt vmcnt(0)
	v_dot4_i32_i8 v16, v6, v52, 0
	v_dot4_i32_i8 v16, v35, v53, v16
	v_dot4_i32_i8 v16, v36, v54, v16
	v_dot4_i32_i8 v16, v37, v47, v16
	v_dot4_i32_i8 v16, v38, v48, v16
	v_dot4_i32_i8 v16, v39, v49, v16
	v_dot4_i32_i8 v16, v40, v50, v16
	v_dot4_i32_i8 v17, v42, v55, v16
	v_lshrrev_b32_e32 v16, 31, v17
	v_add_u32_e32 v16, v17, v16
	v_ashrrev_i32_e32 v16, 1, v16
	v_mad_u64_u32 v[16:17], s[16:17], v17, v41, v[16:17]
	v_cvt_f32_f16_e32 v51, v51
	v_lshrrev_b32_e32 v17, 31, v16
	v_add_u32_e32 v16, v16, v17
	v_ashrrev_i32_e32 v16, 1, v16
	v_cvt_f32_i32_e32 v16, v16
	v_mul_f32_e32 v17, v43, v51
	v_fmac_f32_e32 v23, v17, v16
	v_dot4_i32_i8 v16, v44, v52, 0
	v_dot4_i32_i8 v16, v45, v53, v16
	v_dot4_i32_i8 v16, v7, v54, v16
	v_dot4_i32_i8 v16, v8, v47, v16
	v_dot4_i32_i8 v16, v2, v48, v16
	v_dot4_i32_i8 v16, v9, v49, v16
	v_dot4_i32_i8 v16, v3, v50, v16
	v_dot4_i32_i8 v17, v46, v55, v16
	v_lshrrev_b32_e32 v16, 31, v17
	v_add_u32_e32 v16, v17, v16
	v_ashrrev_i32_e32 v16, 1, v16
	v_mad_u64_u32 v[16:17], s[16:17], v17, v4, v[16:17]
	v_lshrrev_b32_e32 v17, 31, v16
	v_add_u32_e32 v16, v16, v17
	v_ashrrev_i32_e32 v16, 1, v16
	v_cvt_f32_i32_e32 v16, v16
	;; [unrolled: 43-line block ×3, first 2 shown]
	v_mul_f32_e32 v17, v5, v51
	v_fmac_f32_e32 v20, v17, v16
	v_add_u32_e32 v16, s19, v30
	v_mad_u64_u32 v[16:17], s[16:17], v16, 36, v[10:11]
	global_load_dword v55, v[16:17], off offset:32
	global_load_dwordx4 v[47:50], v[16:17], off offset:16
	global_load_dwordx4 v[51:54], v[16:17], off
	v_add_u32_e32 v30, 64, v30
	s_waitcnt vmcnt(0)
	v_dot4_i32_i8 v6, v6, v52, 0
	v_dot4_i32_i8 v6, v35, v53, v6
	;; [unrolled: 1-line block ×8, first 2 shown]
	v_lshrrev_b32_e32 v6, 31, v16
	v_add_u32_e32 v6, v16, v6
	v_ashrrev_i32_e32 v6, 1, v6
	v_mad_u64_u32 v[16:17], s[16:17], v16, v41, v[6:7]
	v_cvt_f32_f16_e32 v51, v51
	v_lshrrev_b32_e32 v6, 31, v16
	v_add_u32_e32 v6, v16, v6
	v_ashrrev_i32_e32 v6, 1, v6
	v_cvt_f32_i32_e32 v6, v6
	v_mul_f32_e32 v16, v43, v51
	v_fmac_f32_e32 v19, v16, v6
	v_dot4_i32_i8 v6, v44, v52, 0
	v_dot4_i32_i8 v6, v45, v53, v6
	;; [unrolled: 1-line block ×8, first 2 shown]
	v_lshrrev_b32_e32 v2, 31, v3
	v_add_u32_e32 v2, v3, v2
	v_ashrrev_i32_e32 v2, 1, v2
	v_mad_u64_u32 v[2:3], s[16:17], v3, v4, v[2:3]
	v_lshrrev_b32_e32 v3, 31, v2
	v_add_u32_e32 v2, v2, v3
	v_ashrrev_i32_e32 v2, 1, v2
	v_cvt_f32_i32_e32 v2, v2
	v_mul_f32_e32 v3, v5, v51
	v_fmac_f32_e32 v18, v3, v2
	s_andn2_b64 exec, exec, s[12:13]
	s_cbranch_execnz .LBB200_2
; %bb.3:
	s_or_b64 exec, exec, s[12:13]
.LBB200_4:
	s_or_b64 exec, exec, s[10:11]
	s_mov_b32 s1, 0
	v_cmp_eq_u32_e32 vcc, 0, v1
	; wave barrier
	s_and_saveexec_b64 s[10:11], vcc
	s_cbranch_execz .LBB200_15
; %bb.5:
	v_mbcnt_lo_u32_b32 v1, -1, 0
	v_mbcnt_hi_u32_b32 v6, -1, v1
	v_and_b32_e32 v1, 64, v6
	v_add_u32_e32 v7, 64, v1
	v_xor_b32_e32 v1, 32, v6
	v_cmp_lt_i32_e32 vcc, v1, v7
	v_cndmask_b32_e32 v1, v6, v1, vcc
	v_lshlrev_b32_e32 v1, 2, v1
	ds_bpermute_b32 v5, v1, v27
	ds_bpermute_b32 v8, v1, v26
	v_xor_b32_e32 v2, 16, v6
	v_cmp_lt_i32_e32 vcc, v2, v7
	v_cndmask_b32_e32 v2, v6, v2, vcc
	v_lshlrev_b32_e32 v2, 2, v2
	s_waitcnt lgkmcnt(1)
	v_add_f32_e32 v5, v27, v5
	s_waitcnt lgkmcnt(0)
	v_add_f32_e32 v8, v26, v8
	ds_bpermute_b32 v10, v2, v5
	ds_bpermute_b32 v11, v2, v8
	v_xor_b32_e32 v3, 8, v6
	v_cmp_lt_i32_e32 vcc, v3, v7
	v_cndmask_b32_e32 v3, v6, v3, vcc
	v_lshlrev_b32_e32 v3, 2, v3
	s_waitcnt lgkmcnt(1)
	v_add_f32_e32 v10, v5, v10
	s_waitcnt lgkmcnt(0)
	v_add_f32_e32 v8, v8, v11
	;; [unrolled: 10-line block ×3, first 2 shown]
	ds_bpermute_b32 v12, v4, v10
	ds_bpermute_b32 v11, v4, v8
	v_xor_b32_e32 v9, 2, v6
	v_cmp_lt_i32_e32 vcc, v9, v7
	v_cndmask_b32_e32 v9, v6, v9, vcc
	v_lshlrev_b32_e32 v5, 2, v9
	v_xor_b32_e32 v9, 1, v6
	v_cmp_lt_i32_e32 vcc, v9, v7
	s_waitcnt lgkmcnt(1)
	v_add_f32_e32 v7, v10, v12
	s_waitcnt lgkmcnt(0)
	v_add_f32_e32 v10, v8, v11
	v_cndmask_b32_e32 v6, v6, v9, vcc
	ds_bpermute_b32 v9, v5, v7
	ds_bpermute_b32 v11, v5, v10
	s_load_dwordx2 s[4:5], s[4:5], 0x38
	s_mul_i32 s3, s14, s7
	v_lshlrev_b32_e32 v8, 2, v6
	s_waitcnt lgkmcnt(0)
	v_add_f32_e32 v6, v7, v9
	v_add_f32_e32 v9, v10, v11
	s_mul_i32 s0, s18, s8
	s_add_i32 s3, s3, s6
	ds_bpermute_b32 v7, v8, v6
	ds_bpermute_b32 v10, v8, v9
	s_add_i32 s0, s3, s0
	s_lshl_b64 s[0:1], s[0:1], 2
	s_add_u32 s4, s4, s0
	v_add_u32_e32 v11, s6, v0
	s_addc_u32 s5, s5, s1
	v_cmp_gt_u32_e32 vcc, 2, v0
	v_cmp_gt_u32_e64 s[0:1], s2, v11
	s_and_b64 s[0:1], vcc, s[0:1]
	s_waitcnt lgkmcnt(1)
	v_add_f32_e32 v6, v6, v7
	s_waitcnt lgkmcnt(0)
	v_add_f32_e32 v7, v9, v10
	s_and_saveexec_b64 s[6:7], s[0:1]
	s_cbranch_execz .LBB200_7
; %bb.6:
	v_cmp_eq_u32_e32 vcc, 1, v0
	v_cndmask_b32_e32 v9, v6, v7, vcc
	v_cmp_eq_u32_e32 vcc, 2, v0
	v_cndmask_b32_e32 v9, v9, v25, vcc
	;; [unrolled: 2-line block ×9, first 2 shown]
	v_lshlrev_b32_e32 v10, 2, v0
	global_store_dword v10, v9, s[4:5]
.LBB200_7:
	s_or_b64 exec, exec, s[6:7]
	ds_bpermute_b32 v9, v1, v25
	ds_bpermute_b32 v10, v1, v24
	s_waitcnt lgkmcnt(1)
	v_add_f32_e32 v9, v25, v9
	s_waitcnt lgkmcnt(0)
	v_add_f32_e32 v10, v24, v10
	ds_bpermute_b32 v11, v2, v9
	ds_bpermute_b32 v12, v2, v10
	s_waitcnt lgkmcnt(1)
	v_add_f32_e32 v9, v9, v11
	s_waitcnt lgkmcnt(0)
	v_add_f32_e32 v10, v10, v12
	;; [unrolled: 6-line block ×6, first 2 shown]
	s_and_saveexec_b64 s[6:7], s[0:1]
	s_cbranch_execz .LBB200_9
; %bb.8:
	v_add_u32_e32 v11, 2, v0
	v_cmp_eq_u32_e32 vcc, 1, v11
	v_cndmask_b32_e32 v12, v6, v7, vcc
	v_cmp_eq_u32_e32 vcc, 2, v11
	v_cndmask_b32_e32 v12, v12, v10, vcc
	;; [unrolled: 2-line block ×9, first 2 shown]
	v_add_u32_e32 v11, s2, v0
	v_mov_b32_e32 v12, 0
	v_lshlrev_b64 v[11:12], 2, v[11:12]
	v_mov_b32_e32 v14, s5
	v_add_co_u32_e32 v11, vcc, s4, v11
	v_addc_co_u32_e32 v12, vcc, v14, v12, vcc
	global_store_dword v[11:12], v13, off
.LBB200_9:
	s_or_b64 exec, exec, s[6:7]
	ds_bpermute_b32 v11, v1, v23
	ds_bpermute_b32 v12, v1, v22
	s_waitcnt lgkmcnt(1)
	v_add_f32_e32 v11, v23, v11
	s_waitcnt lgkmcnt(0)
	v_add_f32_e32 v12, v22, v12
	ds_bpermute_b32 v13, v2, v11
	ds_bpermute_b32 v14, v2, v12
	s_waitcnt lgkmcnt(1)
	v_add_f32_e32 v11, v11, v13
	s_waitcnt lgkmcnt(0)
	v_add_f32_e32 v12, v12, v14
	;; [unrolled: 6-line block ×6, first 2 shown]
	s_and_saveexec_b64 s[6:7], s[0:1]
	s_cbranch_execz .LBB200_11
; %bb.10:
	v_add_u32_e32 v13, 4, v0
	v_cmp_eq_u32_e32 vcc, 1, v13
	v_cndmask_b32_e32 v14, v6, v7, vcc
	v_cmp_eq_u32_e32 vcc, 2, v13
	v_cndmask_b32_e32 v14, v14, v10, vcc
	;; [unrolled: 2-line block ×9, first 2 shown]
	v_lshl_or_b32 v13, s2, 1, v0
	v_mov_b32_e32 v14, 0
	v_lshlrev_b64 v[13:14], 2, v[13:14]
	v_mov_b32_e32 v16, s5
	v_add_co_u32_e32 v13, vcc, s4, v13
	v_addc_co_u32_e32 v14, vcc, v16, v14, vcc
	global_store_dword v[13:14], v15, off
.LBB200_11:
	s_or_b64 exec, exec, s[6:7]
	ds_bpermute_b32 v13, v1, v21
	ds_bpermute_b32 v14, v1, v20
	s_waitcnt lgkmcnt(1)
	v_add_f32_e32 v13, v21, v13
	s_waitcnt lgkmcnt(0)
	v_add_f32_e32 v14, v20, v14
	ds_bpermute_b32 v15, v2, v13
	ds_bpermute_b32 v16, v2, v14
	s_waitcnt lgkmcnt(1)
	v_add_f32_e32 v13, v13, v15
	s_waitcnt lgkmcnt(0)
	v_add_f32_e32 v14, v14, v16
	;; [unrolled: 6-line block ×6, first 2 shown]
	s_and_saveexec_b64 s[6:7], s[0:1]
	s_cbranch_execz .LBB200_13
; %bb.12:
	v_add_u32_e32 v17, 6, v0
	v_cmp_eq_u32_e32 vcc, 1, v17
	v_cndmask_b32_e32 v15, v6, v7, vcc
	v_cmp_eq_u32_e32 vcc, 2, v17
	v_cndmask_b32_e32 v15, v15, v10, vcc
	;; [unrolled: 2-line block ×8, first 2 shown]
	v_mad_u64_u32 v[15:16], s[8:9], s2, 3, v[0:1]
	v_mov_b32_e32 v16, 0
	v_cmp_eq_u32_e32 vcc, 9, v17
	v_lshlrev_b64 v[15:16], 2, v[15:16]
	v_cndmask_b32_e32 v17, v20, v18, vcc
	v_mov_b32_e32 v20, s5
	v_add_co_u32_e32 v15, vcc, s4, v15
	v_addc_co_u32_e32 v16, vcc, v20, v16, vcc
	global_store_dword v[15:16], v17, off
.LBB200_13:
	s_or_b64 exec, exec, s[6:7]
	ds_bpermute_b32 v15, v1, v19
	ds_bpermute_b32 v1, v1, v18
	s_waitcnt lgkmcnt(1)
	v_add_f32_e32 v15, v19, v15
	s_waitcnt lgkmcnt(0)
	v_add_f32_e32 v1, v18, v1
	ds_bpermute_b32 v16, v2, v15
	ds_bpermute_b32 v2, v2, v1
	s_waitcnt lgkmcnt(1)
	v_add_f32_e32 v15, v15, v16
	s_waitcnt lgkmcnt(0)
	v_add_f32_e32 v1, v1, v2
	;; [unrolled: 6-line block ×5, first 2 shown]
	ds_bpermute_b32 v3, v8, v1
	ds_bpermute_b32 v4, v8, v2
	s_and_b64 exec, exec, s[0:1]
	s_cbranch_execz .LBB200_15
; %bb.14:
	s_waitcnt lgkmcnt(1)
	v_add_f32_e32 v1, v1, v3
	v_add_u32_e32 v3, 8, v0
	v_cmp_eq_u32_e32 vcc, 1, v3
	s_waitcnt lgkmcnt(0)
	v_add_f32_e32 v2, v2, v4
	v_cndmask_b32_e32 v4, v6, v7, vcc
	v_cmp_eq_u32_e32 vcc, 2, v3
	v_cndmask_b32_e32 v4, v4, v10, vcc
	v_cmp_eq_u32_e32 vcc, 3, v3
	;; [unrolled: 2-line block ×8, first 2 shown]
	v_cndmask_b32_e32 v2, v1, v2, vcc
	v_lshl_or_b32 v0, s2, 2, v0
	v_mov_b32_e32 v1, 0
	v_lshlrev_b64 v[0:1], 2, v[0:1]
	v_mov_b32_e32 v3, s5
	v_add_co_u32_e32 v0, vcc, s4, v0
	v_addc_co_u32_e32 v1, vcc, v3, v1, vcc
	global_store_dword v[0:1], v2, off
.LBB200_15:
	s_endpgm
	.section	.rodata,"a",@progbits
	.p2align	6, 0x0
	.amdhsa_kernel _ZL13mul_mat_vec_qIL9ggml_type18ELi5ELb0ELb0EEvPKvS2_PKi31ggml_cuda_mm_fusion_args_devicePfj15HIP_vector_typeIjLj3EEjjjS8_jjjS8_jjjj
		.amdhsa_group_segment_fixed_size 0
		.amdhsa_private_segment_fixed_size 0
		.amdhsa_kernarg_size 144
		.amdhsa_user_sgpr_count 6
		.amdhsa_user_sgpr_private_segment_buffer 1
		.amdhsa_user_sgpr_dispatch_ptr 0
		.amdhsa_user_sgpr_queue_ptr 0
		.amdhsa_user_sgpr_kernarg_segment_ptr 1
		.amdhsa_user_sgpr_dispatch_id 0
		.amdhsa_user_sgpr_flat_scratch_init 0
		.amdhsa_user_sgpr_private_segment_size 0
		.amdhsa_uses_dynamic_stack 0
		.amdhsa_system_sgpr_private_segment_wavefront_offset 0
		.amdhsa_system_sgpr_workgroup_id_x 1
		.amdhsa_system_sgpr_workgroup_id_y 1
		.amdhsa_system_sgpr_workgroup_id_z 1
		.amdhsa_system_sgpr_workgroup_info 0
		.amdhsa_system_vgpr_workitem_id 1
		.amdhsa_next_free_vgpr 58
		.amdhsa_next_free_sgpr 30
		.amdhsa_reserve_vcc 1
		.amdhsa_reserve_flat_scratch 0
		.amdhsa_float_round_mode_32 0
		.amdhsa_float_round_mode_16_64 0
		.amdhsa_float_denorm_mode_32 3
		.amdhsa_float_denorm_mode_16_64 3
		.amdhsa_dx10_clamp 1
		.amdhsa_ieee_mode 1
		.amdhsa_fp16_overflow 0
		.amdhsa_exception_fp_ieee_invalid_op 0
		.amdhsa_exception_fp_denorm_src 0
		.amdhsa_exception_fp_ieee_div_zero 0
		.amdhsa_exception_fp_ieee_overflow 0
		.amdhsa_exception_fp_ieee_underflow 0
		.amdhsa_exception_fp_ieee_inexact 0
		.amdhsa_exception_int_div_zero 0
	.end_amdhsa_kernel
	.section	.text._ZL13mul_mat_vec_qIL9ggml_type18ELi5ELb0ELb0EEvPKvS2_PKi31ggml_cuda_mm_fusion_args_devicePfj15HIP_vector_typeIjLj3EEjjjS8_jjjS8_jjjj,"axG",@progbits,_ZL13mul_mat_vec_qIL9ggml_type18ELi5ELb0ELb0EEvPKvS2_PKi31ggml_cuda_mm_fusion_args_devicePfj15HIP_vector_typeIjLj3EEjjjS8_jjjS8_jjjj,comdat
.Lfunc_end200:
	.size	_ZL13mul_mat_vec_qIL9ggml_type18ELi5ELb0ELb0EEvPKvS2_PKi31ggml_cuda_mm_fusion_args_devicePfj15HIP_vector_typeIjLj3EEjjjS8_jjjS8_jjjj, .Lfunc_end200-_ZL13mul_mat_vec_qIL9ggml_type18ELi5ELb0ELb0EEvPKvS2_PKi31ggml_cuda_mm_fusion_args_devicePfj15HIP_vector_typeIjLj3EEjjjS8_jjjS8_jjjj
                                        ; -- End function
	.set _ZL13mul_mat_vec_qIL9ggml_type18ELi5ELb0ELb0EEvPKvS2_PKi31ggml_cuda_mm_fusion_args_devicePfj15HIP_vector_typeIjLj3EEjjjS8_jjjS8_jjjj.num_vgpr, 58
	.set _ZL13mul_mat_vec_qIL9ggml_type18ELi5ELb0ELb0EEvPKvS2_PKi31ggml_cuda_mm_fusion_args_devicePfj15HIP_vector_typeIjLj3EEjjjS8_jjjS8_jjjj.num_agpr, 0
	.set _ZL13mul_mat_vec_qIL9ggml_type18ELi5ELb0ELb0EEvPKvS2_PKi31ggml_cuda_mm_fusion_args_devicePfj15HIP_vector_typeIjLj3EEjjjS8_jjjS8_jjjj.numbered_sgpr, 30
	.set _ZL13mul_mat_vec_qIL9ggml_type18ELi5ELb0ELb0EEvPKvS2_PKi31ggml_cuda_mm_fusion_args_devicePfj15HIP_vector_typeIjLj3EEjjjS8_jjjS8_jjjj.num_named_barrier, 0
	.set _ZL13mul_mat_vec_qIL9ggml_type18ELi5ELb0ELb0EEvPKvS2_PKi31ggml_cuda_mm_fusion_args_devicePfj15HIP_vector_typeIjLj3EEjjjS8_jjjS8_jjjj.private_seg_size, 0
	.set _ZL13mul_mat_vec_qIL9ggml_type18ELi5ELb0ELb0EEvPKvS2_PKi31ggml_cuda_mm_fusion_args_devicePfj15HIP_vector_typeIjLj3EEjjjS8_jjjS8_jjjj.uses_vcc, 1
	.set _ZL13mul_mat_vec_qIL9ggml_type18ELi5ELb0ELb0EEvPKvS2_PKi31ggml_cuda_mm_fusion_args_devicePfj15HIP_vector_typeIjLj3EEjjjS8_jjjS8_jjjj.uses_flat_scratch, 0
	.set _ZL13mul_mat_vec_qIL9ggml_type18ELi5ELb0ELb0EEvPKvS2_PKi31ggml_cuda_mm_fusion_args_devicePfj15HIP_vector_typeIjLj3EEjjjS8_jjjS8_jjjj.has_dyn_sized_stack, 0
	.set _ZL13mul_mat_vec_qIL9ggml_type18ELi5ELb0ELb0EEvPKvS2_PKi31ggml_cuda_mm_fusion_args_devicePfj15HIP_vector_typeIjLj3EEjjjS8_jjjS8_jjjj.has_recursion, 0
	.set _ZL13mul_mat_vec_qIL9ggml_type18ELi5ELb0ELb0EEvPKvS2_PKi31ggml_cuda_mm_fusion_args_devicePfj15HIP_vector_typeIjLj3EEjjjS8_jjjS8_jjjj.has_indirect_call, 0
	.section	.AMDGPU.csdata,"",@progbits
; Kernel info:
; codeLenInByte = 7316
; TotalNumSgprs: 34
; NumVgprs: 58
; ScratchSize: 0
; MemoryBound: 0
; FloatMode: 240
; IeeeMode: 1
; LDSByteSize: 0 bytes/workgroup (compile time only)
; SGPRBlocks: 4
; VGPRBlocks: 14
; NumSGPRsForWavesPerEU: 34
; NumVGPRsForWavesPerEU: 58
; Occupancy: 4
; WaveLimiterHint : 0
; COMPUTE_PGM_RSRC2:SCRATCH_EN: 0
; COMPUTE_PGM_RSRC2:USER_SGPR: 6
; COMPUTE_PGM_RSRC2:TRAP_HANDLER: 0
; COMPUTE_PGM_RSRC2:TGID_X_EN: 1
; COMPUTE_PGM_RSRC2:TGID_Y_EN: 1
; COMPUTE_PGM_RSRC2:TGID_Z_EN: 1
; COMPUTE_PGM_RSRC2:TIDIG_COMP_CNT: 1
	.section	.text._ZL13mul_mat_vec_qIL9ggml_type18ELi6ELb0ELb0EEvPKvS2_PKi31ggml_cuda_mm_fusion_args_devicePfj15HIP_vector_typeIjLj3EEjjjS8_jjjS8_jjjj,"axG",@progbits,_ZL13mul_mat_vec_qIL9ggml_type18ELi6ELb0ELb0EEvPKvS2_PKi31ggml_cuda_mm_fusion_args_devicePfj15HIP_vector_typeIjLj3EEjjjS8_jjjS8_jjjj,comdat
	.globl	_ZL13mul_mat_vec_qIL9ggml_type18ELi6ELb0ELb0EEvPKvS2_PKi31ggml_cuda_mm_fusion_args_devicePfj15HIP_vector_typeIjLj3EEjjjS8_jjjS8_jjjj ; -- Begin function _ZL13mul_mat_vec_qIL9ggml_type18ELi6ELb0ELb0EEvPKvS2_PKi31ggml_cuda_mm_fusion_args_devicePfj15HIP_vector_typeIjLj3EEjjjS8_jjjS8_jjjj
	.p2align	8
	.type	_ZL13mul_mat_vec_qIL9ggml_type18ELi6ELb0ELb0EEvPKvS2_PKi31ggml_cuda_mm_fusion_args_devicePfj15HIP_vector_typeIjLj3EEjjjS8_jjjS8_jjjj,@function
_ZL13mul_mat_vec_qIL9ggml_type18ELi6ELb0ELb0EEvPKvS2_PKi31ggml_cuda_mm_fusion_args_devicePfj15HIP_vector_typeIjLj3EEjjjS8_jjjS8_jjjj: ; @_ZL13mul_mat_vec_qIL9ggml_type18ELi6ELb0ELb0EEvPKvS2_PKi31ggml_cuda_mm_fusion_args_devicePfj15HIP_vector_typeIjLj3EEjjjS8_jjjS8_jjjj
; %bb.0:
	s_load_dword s9, s[4:5], 0x40
	s_load_dwordx4 s[0:3], s[4:5], 0x50
	s_load_dword s25, s[4:5], 0x60
	s_load_dwordx4 s[12:15], s[4:5], 0x68
	;; [unrolled: 2-line block ×3, first 2 shown]
	v_lshl_or_b32 v2, v1, 6, v0
	s_waitcnt lgkmcnt(0)
	s_lshr_b32 s9, s9, 8
	v_lshrrev_b32_e32 v30, 3, v2
	v_mov_b32_e32 v18, 0
	s_lshl_b32 s6, s6, 1
	v_cmp_gt_u32_e32 vcc, s9, v30
	v_mov_b32_e32 v19, v18
	v_mov_b32_e32 v20, v18
	v_mov_b32_e32 v21, v18
	v_mov_b32_e32 v22, v18
	v_mov_b32_e32 v23, v18
	v_mov_b32_e32 v24, v18
	v_mov_b32_e32 v25, v18
	v_mov_b32_e32 v26, v18
	v_mov_b32_e32 v27, v18
	v_mov_b32_e32 v28, v18
	v_mov_b32_e32 v29, v18
	s_and_saveexec_b64 s[10:11], vcc
	s_cbranch_execz .LBB201_4
; %bb.1:
	s_mul_hi_u32 s3, s3, s7
	s_add_i32 s3, s7, s3
	s_load_dwordx4 s[20:23], s[4:5], 0x0
	s_lshr_b32 s3, s3, s25
	s_mul_i32 s3, s3, s12
	s_mul_hi_u32 s12, s15, s8
	s_add_i32 s12, s8, s12
	s_lshr_b32 s12, s12, s24
	s_mul_i32 s26, s17, s8
	s_mul_i32 s15, s12, s16
	;; [unrolled: 1-line block ×3, first 2 shown]
	s_mul_hi_u32 s12, s26, 36
	s_waitcnt lgkmcnt(0)
	s_add_u32 s16, s22, s16
	s_addc_u32 s17, s23, s12
	s_mul_i32 s12, s13, s7
	s_mul_hi_u32 s13, s12, 36
	s_mul_i32 s12, s12, 36
	s_add_u32 s16, s16, s12
	s_addc_u32 s17, s17, s13
	v_lshlrev_b32_e32 v2, 1, v0
	v_and_b32_e32 v6, 7, v0
	v_and_b32_e32 v4, 14, v2
	v_mad_u64_u32 v[10:11], s[16:17], v6, 36, s[16:17]
	v_mov_b32_e32 v2, s12
	s_movk_i32 s17, 0x120
	v_mov_b32_e32 v3, s13
	v_mad_u64_u32 v[2:3], s[12:13], v30, s17, v[2:3]
	s_add_i32 s27, s15, s3
	s_mul_i32 s16, s6, s0
	v_mad_u64_u32 v[2:3], s[12:13], s26, 36, v[2:3]
	s_add_i32 s25, s27, s16
	s_add_i32 s16, s6, 1
	v_mad_u64_u32 v[2:3], s[12:13], v6, 36, v[2:3]
	v_mov_b32_e32 v6, s23
	v_lshlrev_b32_e32 v5, 1, v4
	v_add_co_u32_e32 v2, vcc, s22, v2
	v_addc_co_u32_e32 v3, vcc, v6, v3, vcc
	s_mul_i32 s0, s0, s16
	v_add_co_u32_e32 v12, vcc, 16, v2
	v_mov_b32_e32 v14, s20
	v_mov_b32_e32 v31, 0
	s_lshl_b32 s3, s1, 1
	s_mul_i32 s15, s1, 3
	s_lshl_b32 s19, s1, 2
	s_mul_i32 s24, s1, 5
	s_add_i32 s0, s27, s0
	v_lshlrev_b32_e32 v32, 3, v30
	v_addc_co_u32_e32 v13, vcc, 0, v3, vcc
	s_mov_b64 s[12:13], 0
	s_movk_i32 s22, 0x62
	v_lshlrev_b32_e32 v33, 1, v5
	v_lshlrev_b32_e32 v34, 1, v4
	s_mov_b32 s23, 0x1010101
	s_movk_i32 s26, 0xff00
	s_mov_b32 s27, 0xc0c0105
	v_mov_b32_e32 v35, 2
	v_mov_b32_e32 v36, 8
	;; [unrolled: 1-line block ×15, first 2 shown]
.LBB201_2:                              ; =>This Inner Loop Header: Depth=1
	v_add_u32_e32 v16, s25, v30
	v_mad_i64_i32 v[16:17], s[16:17], v16, s22, v[14:15]
	global_load_dword v50, v[12:13], off offset:16
	global_load_dwordx4 v[2:5], v[12:13], off
	global_load_dwordx4 v[6:9], v[12:13], off offset:-16
	s_getpc_b64 s[16:17]
	s_add_u32 s16, s16, _ZL11iq3xxs_grid@rel32@lo+4
	s_addc_u32 s17, s17, _ZL11iq3xxs_grid@rel32@hi+12
	v_add_co_u32_e32 v37, vcc, v16, v33
	v_addc_co_u32_e32 v38, vcc, 0, v17, vcc
	global_load_dwordx2 v[41:42], v[37:38], off offset:2
	v_add_co_u32_e32 v37, vcc, v16, v34
	v_addc_co_u32_e32 v38, vcc, 0, v17, vcc
	global_load_dword v43, v[37:38], off offset:66
	s_waitcnt vmcnt(2)
	v_cvt_f32_f16_e32 v49, v6
	global_load_ushort v16, v[16:17], off
	s_waitcnt vmcnt(2)
	v_lshlrev_b32_sdwa v6, v35, v41 dst_sel:DWORD dst_unused:UNUSED_PAD src0_sel:DWORD src1_sel:BYTE_0
	global_load_dword v6, v6, s[16:17]
	v_lshlrev_b32_sdwa v37, v35, v41 dst_sel:DWORD dst_unused:UNUSED_PAD src0_sel:DWORD src1_sel:BYTE_1
	global_load_dword v37, v37, s[16:17]
	s_waitcnt vmcnt(3)
	v_and_b32_e32 v38, 0xff, v43
	v_bcnt_u32_b32 v39, v38, 0
	v_and_b32_e32 v39, 1, v39
	v_lshlrev_b32_e32 v39, 7, v39
	v_xor_b32_e32 v38, v39, v38
	v_mul_lo_u32 v38, v38, s23
	v_and_b32_e32 v39, 0x8040201, v38
	v_cmp_ne_u16_sdwa s[20:21], v39, v31 src0_sel:BYTE_3 src1_sel:DWORD
	v_cmp_ne_u16_sdwa s[28:29], v39, v31 src0_sel:BYTE_1 src1_sel:DWORD
	v_lshrrev_b32_e32 v40, 18, v38
	v_cndmask_b32_e64 v44, 0, -1, s[28:29]
	v_cndmask_b32_e64 v46, 0, -1, s[20:21]
	v_bfe_i32 v39, v38, 0, 1
	v_lshlrev_b16_e32 v44, 8, v44
	v_bfe_i32 v40, v40, 0, 1
	v_lshlrev_b16_e32 v46, 8, v46
	v_or_b32_sdwa v45, v39, v44 dst_sel:DWORD dst_unused:UNUSED_PAD src0_sel:BYTE_0 src1_sel:DWORD
	v_or_b32_sdwa v47, v40, v46 dst_sel:WORD_1 dst_unused:UNUSED_PAD src0_sel:BYTE_0 src1_sel:DWORD
	v_or_b32_sdwa v45, v45, v47 dst_sel:DWORD dst_unused:UNUSED_PAD src0_sel:WORD_0 src1_sel:DWORD
	v_lshlrev_b16_e32 v39, 8, v39
	v_lshlrev_b16_e32 v40, 8, v40
	s_waitcnt vmcnt(1)
	v_xor_b32_e32 v6, v6, v45
	v_and_b32_e32 v45, 0xffffff00, v6
	v_sub_i16 v44, v45, v44 clamp
	v_lshlrev_b16_e32 v45, 8, v6
	v_sub_i16 v39, v45, v39 clamp
	v_perm_b32 v39, v39, v44, s27
	v_and_b32_sdwa v44, v6, s26 dst_sel:DWORD dst_unused:UNUSED_PAD src0_sel:WORD_1 src1_sel:DWORD
	v_lshlrev_b16_sdwa v6, v36, v6 dst_sel:DWORD dst_unused:UNUSED_PAD src0_sel:DWORD src1_sel:WORD_1
	v_sub_i16 v44, v44, v46 clamp
	v_sub_i16 v6, v6, v40 clamp
	v_perm_b32 v6, v6, v44, s27
	v_lshl_or_b32 v6, v6, 16, v39
	v_and_b32_e32 v39, 0x80402010, v38
	v_cmp_ne_u16_sdwa s[20:21], v39, v31 src0_sel:BYTE_3 src1_sel:DWORD
	v_cmp_ne_u16_sdwa s[28:29], v39, v31 src0_sel:BYTE_1 src1_sel:DWORD
	v_lshrrev_b32_e32 v38, 22, v38
	v_lshrrev_b16_e32 v39, 4, v39
	v_cndmask_b32_e64 v40, 0, -1, s[28:29]
	v_cndmask_b32_e64 v45, 0, -1, s[20:21]
	v_bfe_i32 v39, v39, 0, 1
	v_lshlrev_b16_e32 v40, 8, v40
	v_bfe_i32 v38, v38, 0, 1
	v_lshlrev_b16_e32 v45, 8, v45
	v_or_b32_sdwa v44, v39, v40 dst_sel:DWORD dst_unused:UNUSED_PAD src0_sel:BYTE_0 src1_sel:DWORD
	v_or_b32_sdwa v46, v38, v45 dst_sel:WORD_1 dst_unused:UNUSED_PAD src0_sel:BYTE_0 src1_sel:DWORD
	v_or_b32_sdwa v44, v44, v46 dst_sel:DWORD dst_unused:UNUSED_PAD src0_sel:WORD_0 src1_sel:DWORD
	s_waitcnt vmcnt(0)
	v_xor_b32_e32 v37, v37, v44
	v_and_b32_e32 v44, 0xffffff00, v37
	v_sub_i16 v40, v44, v40 clamp
	v_lshlrev_b16_e32 v44, 8, v37
	v_lshlrev_b16_e32 v39, 8, v39
	v_sub_i16 v39, v44, v39 clamp
	v_perm_b32 v39, v39, v40, s27
	v_and_b32_sdwa v40, v37, s26 dst_sel:DWORD dst_unused:UNUSED_PAD src0_sel:WORD_1 src1_sel:DWORD
	v_lshlrev_b16_sdwa v37, v36, v37 dst_sel:DWORD dst_unused:UNUSED_PAD src0_sel:DWORD src1_sel:WORD_1
	v_lshlrev_b16_e32 v38, 8, v38
	v_sub_i16 v40, v40, v45 clamp
	v_sub_i16 v37, v37, v38 clamp
	v_perm_b32 v37, v37, v40, s27
	v_lshl_or_b32 v37, v37, 16, v39
	v_dot4_i32_i8 v38, v6, v7, 0
	v_dot4_i32_i8 v40, v37, v8, v38
	v_lshlrev_b32_sdwa v38, v35, v41 dst_sel:DWORD dst_unused:UNUSED_PAD src0_sel:DWORD src1_sel:BYTE_2
	global_load_dword v38, v38, s[16:17]
	v_lshlrev_b32_sdwa v39, v35, v41 dst_sel:DWORD dst_unused:UNUSED_PAD src0_sel:DWORD src1_sel:BYTE_3
	global_load_dword v39, v39, s[16:17]
	v_bfe_u32 v41, v43, 7, 8
	v_bcnt_u32_b32 v44, v41, 0
	v_and_b32_e32 v44, 1, v44
	v_lshlrev_b32_e32 v44, 7, v44
	v_xor_b32_e32 v41, v44, v41
	v_mul_lo_u32 v41, v41, s23
	v_and_b32_e32 v44, 0x8040201, v41
	v_cmp_ne_u16_sdwa s[20:21], v44, v31 src0_sel:BYTE_3 src1_sel:DWORD
	v_cmp_ne_u16_sdwa s[28:29], v44, v31 src0_sel:BYTE_1 src1_sel:DWORD
	v_lshrrev_b32_e32 v45, 18, v41
	v_cndmask_b32_e64 v46, 0, -1, s[28:29]
	v_cndmask_b32_e64 v48, 0, -1, s[20:21]
	v_bfe_i32 v44, v41, 0, 1
	v_lshlrev_b16_e32 v46, 8, v46
	v_bfe_i32 v45, v45, 0, 1
	v_lshlrev_b16_e32 v48, 8, v48
	v_or_b32_sdwa v47, v44, v46 dst_sel:DWORD dst_unused:UNUSED_PAD src0_sel:BYTE_0 src1_sel:DWORD
	v_or_b32_sdwa v51, v45, v48 dst_sel:WORD_1 dst_unused:UNUSED_PAD src0_sel:BYTE_0 src1_sel:DWORD
	v_or_b32_sdwa v47, v47, v51 dst_sel:DWORD dst_unused:UNUSED_PAD src0_sel:WORD_0 src1_sel:DWORD
	v_lshlrev_b16_e32 v44, 8, v44
	v_lshlrev_b16_e32 v45, 8, v45
	s_waitcnt vmcnt(1)
	v_xor_b32_e32 v38, v38, v47
	v_and_b32_e32 v47, 0xffffff00, v38
	v_sub_i16 v46, v47, v46 clamp
	v_lshlrev_b16_e32 v47, 8, v38
	v_sub_i16 v44, v47, v44 clamp
	v_perm_b32 v44, v44, v46, s27
	v_and_b32_sdwa v46, v38, s26 dst_sel:DWORD dst_unused:UNUSED_PAD src0_sel:WORD_1 src1_sel:DWORD
	v_lshlrev_b16_sdwa v38, v36, v38 dst_sel:DWORD dst_unused:UNUSED_PAD src0_sel:DWORD src1_sel:WORD_1
	v_sub_i16 v46, v46, v48 clamp
	v_sub_i16 v38, v38, v45 clamp
	v_perm_b32 v38, v38, v46, s27
	v_lshl_or_b32 v38, v38, 16, v44
	v_and_b32_e32 v44, 0x80402010, v41
	v_cmp_ne_u16_sdwa s[20:21], v44, v31 src0_sel:BYTE_3 src1_sel:DWORD
	v_cmp_ne_u16_sdwa s[28:29], v44, v31 src0_sel:BYTE_1 src1_sel:DWORD
	v_lshrrev_b32_e32 v41, 22, v41
	v_lshrrev_b16_e32 v44, 4, v44
	v_cndmask_b32_e64 v45, 0, -1, s[28:29]
	v_cndmask_b32_e64 v47, 0, -1, s[20:21]
	v_bfe_i32 v44, v44, 0, 1
	v_lshlrev_b16_e32 v45, 8, v45
	v_bfe_i32 v41, v41, 0, 1
	v_lshlrev_b16_e32 v47, 8, v47
	v_or_b32_sdwa v46, v44, v45 dst_sel:DWORD dst_unused:UNUSED_PAD src0_sel:BYTE_0 src1_sel:DWORD
	v_or_b32_sdwa v48, v41, v47 dst_sel:WORD_1 dst_unused:UNUSED_PAD src0_sel:BYTE_0 src1_sel:DWORD
	v_or_b32_sdwa v46, v46, v48 dst_sel:DWORD dst_unused:UNUSED_PAD src0_sel:WORD_0 src1_sel:DWORD
	s_waitcnt vmcnt(0)
	v_xor_b32_e32 v39, v39, v46
	v_and_b32_e32 v46, 0xffffff00, v39
	v_sub_i16 v45, v46, v45 clamp
	v_lshlrev_b16_e32 v46, 8, v39
	v_lshlrev_b16_e32 v44, 8, v44
	v_sub_i16 v44, v46, v44 clamp
	v_perm_b32 v44, v44, v45, s27
	v_and_b32_sdwa v45, v39, s26 dst_sel:DWORD dst_unused:UNUSED_PAD src0_sel:WORD_1 src1_sel:DWORD
	v_lshlrev_b16_sdwa v39, v36, v39 dst_sel:DWORD dst_unused:UNUSED_PAD src0_sel:DWORD src1_sel:WORD_1
	v_lshlrev_b16_e32 v41, 8, v41
	v_sub_i16 v45, v45, v47 clamp
	v_sub_i16 v39, v39, v41 clamp
	v_perm_b32 v39, v39, v45, s27
	v_lshl_or_b32 v39, v39, 16, v44
	v_dot4_i32_i8 v40, v38, v9, v40
	v_dot4_i32_i8 v44, v39, v2, v40
	v_lshlrev_b32_sdwa v40, v35, v42 dst_sel:DWORD dst_unused:UNUSED_PAD src0_sel:DWORD src1_sel:BYTE_0
	global_load_dword v40, v40, s[16:17]
	v_lshlrev_b32_sdwa v41, v35, v42 dst_sel:DWORD dst_unused:UNUSED_PAD src0_sel:DWORD src1_sel:BYTE_1
	global_load_dword v41, v41, s[16:17]
	v_bfe_u32 v45, v43, 14, 8
	v_bcnt_u32_b32 v46, v45, 0
	v_and_b32_e32 v46, 1, v46
	v_lshlrev_b32_e32 v46, 7, v46
	v_xor_b32_e32 v45, v46, v45
	v_mul_lo_u32 v45, v45, s23
	v_and_b32_e32 v46, 0x8040201, v45
	v_cmp_ne_u16_sdwa s[20:21], v46, v31 src0_sel:BYTE_3 src1_sel:DWORD
	v_cmp_ne_u16_sdwa s[28:29], v46, v31 src0_sel:BYTE_1 src1_sel:DWORD
	v_lshrrev_b32_e32 v47, 18, v45
	v_cndmask_b32_e64 v48, 0, -1, s[28:29]
	v_cndmask_b32_e64 v52, 0, -1, s[20:21]
	v_bfe_i32 v46, v45, 0, 1
	v_lshlrev_b16_e32 v48, 8, v48
	v_bfe_i32 v47, v47, 0, 1
	v_lshlrev_b16_e32 v52, 8, v52
	v_or_b32_sdwa v51, v46, v48 dst_sel:DWORD dst_unused:UNUSED_PAD src0_sel:BYTE_0 src1_sel:DWORD
	v_or_b32_sdwa v53, v47, v52 dst_sel:WORD_1 dst_unused:UNUSED_PAD src0_sel:BYTE_0 src1_sel:DWORD
	v_or_b32_sdwa v51, v51, v53 dst_sel:DWORD dst_unused:UNUSED_PAD src0_sel:WORD_0 src1_sel:DWORD
	v_lshlrev_b16_e32 v46, 8, v46
	v_lshlrev_b16_e32 v47, 8, v47
	s_waitcnt vmcnt(1)
	v_xor_b32_e32 v40, v40, v51
	v_and_b32_e32 v51, 0xffffff00, v40
	v_sub_i16 v48, v51, v48 clamp
	v_lshlrev_b16_e32 v51, 8, v40
	v_sub_i16 v46, v51, v46 clamp
	v_perm_b32 v46, v46, v48, s27
	v_and_b32_sdwa v48, v40, s26 dst_sel:DWORD dst_unused:UNUSED_PAD src0_sel:WORD_1 src1_sel:DWORD
	v_lshlrev_b16_sdwa v40, v36, v40 dst_sel:DWORD dst_unused:UNUSED_PAD src0_sel:DWORD src1_sel:WORD_1
	v_sub_i16 v48, v48, v52 clamp
	v_sub_i16 v40, v40, v47 clamp
	v_perm_b32 v40, v40, v48, s27
	v_lshl_or_b32 v40, v40, 16, v46
	v_and_b32_e32 v46, 0x80402010, v45
	v_cmp_ne_u16_sdwa s[20:21], v46, v31 src0_sel:BYTE_3 src1_sel:DWORD
	v_cmp_ne_u16_sdwa s[28:29], v46, v31 src0_sel:BYTE_1 src1_sel:DWORD
	v_lshrrev_b32_e32 v45, 22, v45
	v_lshrrev_b16_e32 v46, 4, v46
	v_cndmask_b32_e64 v47, 0, -1, s[28:29]
	v_cndmask_b32_e64 v51, 0, -1, s[20:21]
	v_bfe_i32 v46, v46, 0, 1
	v_lshlrev_b16_e32 v47, 8, v47
	v_bfe_i32 v45, v45, 0, 1
	v_lshlrev_b16_e32 v51, 8, v51
	v_or_b32_sdwa v48, v46, v47 dst_sel:DWORD dst_unused:UNUSED_PAD src0_sel:BYTE_0 src1_sel:DWORD
	v_or_b32_sdwa v52, v45, v51 dst_sel:WORD_1 dst_unused:UNUSED_PAD src0_sel:BYTE_0 src1_sel:DWORD
	v_or_b32_sdwa v48, v48, v52 dst_sel:DWORD dst_unused:UNUSED_PAD src0_sel:WORD_0 src1_sel:DWORD
	s_waitcnt vmcnt(0)
	v_xor_b32_e32 v41, v41, v48
	v_and_b32_e32 v48, 0xffffff00, v41
	v_sub_i16 v47, v48, v47 clamp
	v_lshlrev_b16_e32 v48, 8, v41
	v_lshlrev_b16_e32 v46, 8, v46
	v_sub_i16 v46, v48, v46 clamp
	v_perm_b32 v46, v46, v47, s27
	v_and_b32_sdwa v47, v41, s26 dst_sel:DWORD dst_unused:UNUSED_PAD src0_sel:WORD_1 src1_sel:DWORD
	v_lshlrev_b16_sdwa v41, v36, v41 dst_sel:DWORD dst_unused:UNUSED_PAD src0_sel:DWORD src1_sel:WORD_1
	v_lshlrev_b16_e32 v45, 8, v45
	v_sub_i16 v47, v47, v51 clamp
	v_sub_i16 v41, v41, v45 clamp
	v_perm_b32 v41, v41, v47, s27
	v_lshl_or_b32 v41, v41, 16, v46
	v_dot4_i32_i8 v44, v40, v3, v44
	v_dot4_i32_i8 v45, v41, v4, v44
	v_lshlrev_b32_sdwa v44, v35, v42 dst_sel:DWORD dst_unused:UNUSED_PAD src0_sel:DWORD src1_sel:BYTE_2
	global_load_dword v44, v44, s[16:17]
	v_lshlrev_b32_sdwa v42, v35, v42 dst_sel:DWORD dst_unused:UNUSED_PAD src0_sel:DWORD src1_sel:BYTE_3
	global_load_dword v46, v42, s[16:17]
	v_bfe_u32 v42, v43, 21, 8
	v_bcnt_u32_b32 v47, v42, 0
	v_and_b32_e32 v47, 1, v47
	v_lshlrev_b32_e32 v47, 7, v47
	v_xor_b32_e32 v42, v47, v42
	v_mul_lo_u32 v47, v42, s23
	v_lshrrev_b32_e32 v43, 28, v43
	v_and_b32_e32 v42, 0x8040201, v47
	v_cmp_ne_u16_sdwa s[20:21], v42, v31 src0_sel:BYTE_3 src1_sel:DWORD
	v_cmp_ne_u16_sdwa s[28:29], v42, v31 src0_sel:BYTE_1 src1_sel:DWORD
	v_lshrrev_b32_e32 v48, 18, v47
	v_cndmask_b32_e64 v51, 0, -1, s[28:29]
	v_cndmask_b32_e64 v53, 0, -1, s[20:21]
	v_bfe_i32 v42, v47, 0, 1
	v_lshlrev_b16_e32 v51, 8, v51
	v_bfe_i32 v48, v48, 0, 1
	v_lshlrev_b16_e32 v53, 8, v53
	v_or_b32_sdwa v52, v42, v51 dst_sel:DWORD dst_unused:UNUSED_PAD src0_sel:BYTE_0 src1_sel:DWORD
	v_or_b32_sdwa v54, v48, v53 dst_sel:WORD_1 dst_unused:UNUSED_PAD src0_sel:BYTE_0 src1_sel:DWORD
	v_or_b32_sdwa v52, v52, v54 dst_sel:DWORD dst_unused:UNUSED_PAD src0_sel:WORD_0 src1_sel:DWORD
	v_lshlrev_b16_e32 v42, 8, v42
	v_lshlrev_b16_e32 v48, 8, v48
	s_waitcnt vmcnt(1)
	v_xor_b32_e32 v44, v44, v52
	v_and_b32_e32 v52, 0xffffff00, v44
	v_sub_i16 v51, v52, v51 clamp
	v_lshlrev_b16_e32 v52, 8, v44
	v_sub_i16 v42, v52, v42 clamp
	v_perm_b32 v42, v42, v51, s27
	v_and_b32_sdwa v51, v44, s26 dst_sel:DWORD dst_unused:UNUSED_PAD src0_sel:WORD_1 src1_sel:DWORD
	v_lshlrev_b16_sdwa v44, v36, v44 dst_sel:DWORD dst_unused:UNUSED_PAD src0_sel:DWORD src1_sel:WORD_1
	v_sub_i16 v51, v51, v53 clamp
	v_sub_i16 v44, v44, v48 clamp
	v_perm_b32 v44, v44, v51, s27
	v_lshl_or_b32 v42, v44, 16, v42
	v_and_b32_e32 v44, 0x80402010, v47
	v_cmp_ne_u16_sdwa s[20:21], v44, v31 src0_sel:BYTE_3 src1_sel:DWORD
	v_cmp_ne_u16_sdwa s[28:29], v44, v31 src0_sel:BYTE_1 src1_sel:DWORD
	v_lshrrev_b32_e32 v47, 22, v47
	v_lshrrev_b16_e32 v44, 4, v44
	v_cndmask_b32_e64 v48, 0, -1, s[28:29]
	v_cndmask_b32_e64 v52, 0, -1, s[20:21]
	v_bfe_i32 v44, v44, 0, 1
	v_lshlrev_b16_e32 v48, 8, v48
	v_bfe_i32 v47, v47, 0, 1
	v_lshlrev_b16_e32 v52, 8, v52
	v_or_b32_sdwa v51, v44, v48 dst_sel:DWORD dst_unused:UNUSED_PAD src0_sel:BYTE_0 src1_sel:DWORD
	v_or_b32_sdwa v53, v47, v52 dst_sel:WORD_1 dst_unused:UNUSED_PAD src0_sel:BYTE_0 src1_sel:DWORD
	v_or_b32_sdwa v51, v51, v53 dst_sel:DWORD dst_unused:UNUSED_PAD src0_sel:WORD_0 src1_sel:DWORD
	s_waitcnt vmcnt(0)
	v_xor_b32_e32 v46, v46, v51
	v_and_b32_e32 v51, 0xffffff00, v46
	v_sub_i16 v48, v51, v48 clamp
	v_lshlrev_b16_e32 v51, 8, v46
	v_lshlrev_b16_e32 v44, 8, v44
	v_sub_i16 v44, v51, v44 clamp
	v_perm_b32 v44, v44, v48, s27
	v_and_b32_sdwa v48, v46, s26 dst_sel:DWORD dst_unused:UNUSED_PAD src0_sel:WORD_1 src1_sel:DWORD
	v_lshlrev_b16_sdwa v46, v36, v46 dst_sel:DWORD dst_unused:UNUSED_PAD src0_sel:DWORD src1_sel:WORD_1
	v_lshlrev_b16_e32 v47, 8, v47
	v_sub_i16 v48, v48, v52 clamp
	v_sub_i16 v46, v46, v47 clamp
	v_perm_b32 v46, v46, v48, s27
	v_lshl_or_b32 v44, v46, 16, v44
	v_dot4_i32_i8 v45, v42, v5, v45
	v_dot4_i32_i8 v46, v44, v50, v45
	v_lshrrev_b32_e32 v45, 31, v46
	v_add_u32_e32 v45, v46, v45
	v_ashrrev_i32_e32 v45, 1, v45
	v_mad_u64_u32 v[45:46], s[20:21], v46, v43, v[45:46]
	v_lshrrev_b32_e32 v46, 31, v45
	v_add_u32_e32 v45, v45, v46
	v_ashrrev_i32_e32 v46, 1, v45
	v_cvt_f32_f16_e32 v45, v16
	v_cvt_f32_i32_e32 v17, v46
	v_mul_f32_e32 v16, v45, v49
	v_fmac_f32_e32 v29, v16, v17
	v_add_u32_e32 v16, s0, v30
	v_mad_i64_i32 v[16:17], s[20:21], v16, s22, v[14:15]
	v_add_u32_e32 v30, 8, v30
	v_add_co_u32_e32 v46, vcc, v16, v33
	v_addc_co_u32_e32 v47, vcc, 0, v17, vcc
	global_load_dwordx2 v[51:52], v[46:47], off offset:2
	v_add_co_u32_e32 v46, vcc, v16, v34
	v_addc_co_u32_e32 v47, vcc, 0, v17, vcc
	global_load_dword v53, v[46:47], off offset:66
	v_add_co_u32_e32 v12, vcc, 0x900, v12
	v_addc_co_u32_e32 v13, vcc, 0, v13, vcc
	v_cmp_le_u32_e32 vcc, s9, v30
	s_or_b64 s[12:13], vcc, s[12:13]
	s_waitcnt vmcnt(1)
	v_lshlrev_b32_sdwa v46, v35, v51 dst_sel:DWORD dst_unused:UNUSED_PAD src0_sel:DWORD src1_sel:BYTE_0
	global_load_dword v46, v46, s[16:17]
	v_lshlrev_b32_sdwa v47, v35, v51 dst_sel:DWORD dst_unused:UNUSED_PAD src0_sel:DWORD src1_sel:BYTE_1
	global_load_dword v47, v47, s[16:17]
	s_waitcnt vmcnt(2)
	v_and_b32_e32 v48, 0xff, v53
	v_bcnt_u32_b32 v54, v48, 0
	v_and_b32_e32 v54, 1, v54
	v_lshlrev_b32_e32 v54, 7, v54
	v_xor_b32_e32 v48, v54, v48
	v_mul_lo_u32 v48, v48, s23
	v_and_b32_e32 v54, 0x8040201, v48
	v_cmp_ne_u16_sdwa s[20:21], v54, v31 src0_sel:BYTE_3 src1_sel:DWORD
	v_cmp_ne_u16_sdwa s[28:29], v54, v31 src0_sel:BYTE_1 src1_sel:DWORD
	v_lshrrev_b32_e32 v55, 18, v48
	v_cndmask_b32_e64 v56, 0, -1, s[28:29]
	v_cndmask_b32_e64 v58, 0, -1, s[20:21]
	v_bfe_i32 v54, v48, 0, 1
	v_lshlrev_b16_e32 v56, 8, v56
	v_bfe_i32 v55, v55, 0, 1
	v_lshlrev_b16_e32 v58, 8, v58
	v_or_b32_sdwa v57, v54, v56 dst_sel:DWORD dst_unused:UNUSED_PAD src0_sel:BYTE_0 src1_sel:DWORD
	v_or_b32_sdwa v59, v55, v58 dst_sel:WORD_1 dst_unused:UNUSED_PAD src0_sel:BYTE_0 src1_sel:DWORD
	v_or_b32_sdwa v57, v57, v59 dst_sel:DWORD dst_unused:UNUSED_PAD src0_sel:WORD_0 src1_sel:DWORD
	v_lshlrev_b16_e32 v54, 8, v54
	v_lshlrev_b16_e32 v55, 8, v55
	s_waitcnt vmcnt(1)
	v_xor_b32_e32 v46, v46, v57
	v_and_b32_e32 v57, 0xffffff00, v46
	v_sub_i16 v56, v57, v56 clamp
	v_lshlrev_b16_e32 v57, 8, v46
	v_sub_i16 v54, v57, v54 clamp
	v_perm_b32 v54, v54, v56, s27
	v_and_b32_sdwa v56, v46, s26 dst_sel:DWORD dst_unused:UNUSED_PAD src0_sel:WORD_1 src1_sel:DWORD
	v_lshlrev_b16_sdwa v46, v36, v46 dst_sel:DWORD dst_unused:UNUSED_PAD src0_sel:DWORD src1_sel:WORD_1
	v_sub_i16 v56, v56, v58 clamp
	v_sub_i16 v46, v46, v55 clamp
	v_perm_b32 v46, v46, v56, s27
	v_lshl_or_b32 v46, v46, 16, v54
	v_and_b32_e32 v54, 0x80402010, v48
	v_cmp_ne_u16_sdwa s[20:21], v54, v31 src0_sel:BYTE_3 src1_sel:DWORD
	v_cmp_ne_u16_sdwa s[28:29], v54, v31 src0_sel:BYTE_1 src1_sel:DWORD
	v_lshrrev_b32_e32 v48, 22, v48
	v_lshrrev_b16_e32 v54, 4, v54
	v_cndmask_b32_e64 v55, 0, -1, s[28:29]
	v_cndmask_b32_e64 v57, 0, -1, s[20:21]
	v_bfe_i32 v54, v54, 0, 1
	v_lshlrev_b16_e32 v55, 8, v55
	v_bfe_i32 v48, v48, 0, 1
	v_lshlrev_b16_e32 v57, 8, v57
	v_or_b32_sdwa v56, v54, v55 dst_sel:DWORD dst_unused:UNUSED_PAD src0_sel:BYTE_0 src1_sel:DWORD
	v_or_b32_sdwa v58, v48, v57 dst_sel:WORD_1 dst_unused:UNUSED_PAD src0_sel:BYTE_0 src1_sel:DWORD
	v_or_b32_sdwa v56, v56, v58 dst_sel:DWORD dst_unused:UNUSED_PAD src0_sel:WORD_0 src1_sel:DWORD
	s_waitcnt vmcnt(0)
	v_xor_b32_e32 v47, v47, v56
	v_and_b32_e32 v56, 0xffffff00, v47
	v_sub_i16 v55, v56, v55 clamp
	v_lshlrev_b16_e32 v56, 8, v47
	v_lshlrev_b16_e32 v54, 8, v54
	v_sub_i16 v54, v56, v54 clamp
	v_perm_b32 v54, v54, v55, s27
	v_and_b32_sdwa v55, v47, s26 dst_sel:DWORD dst_unused:UNUSED_PAD src0_sel:WORD_1 src1_sel:DWORD
	v_lshlrev_b16_sdwa v47, v36, v47 dst_sel:DWORD dst_unused:UNUSED_PAD src0_sel:DWORD src1_sel:WORD_1
	v_lshlrev_b16_e32 v48, 8, v48
	v_sub_i16 v55, v55, v57 clamp
	v_sub_i16 v47, v47, v48 clamp
	v_perm_b32 v47, v47, v55, s27
	v_lshl_or_b32 v47, v47, 16, v54
	v_dot4_i32_i8 v7, v46, v7, 0
	v_dot4_i32_i8 v48, v47, v8, v7
	v_lshlrev_b32_sdwa v7, v35, v51 dst_sel:DWORD dst_unused:UNUSED_PAD src0_sel:DWORD src1_sel:BYTE_2
	global_load_dword v7, v7, s[16:17]
	v_lshlrev_b32_sdwa v8, v35, v51 dst_sel:DWORD dst_unused:UNUSED_PAD src0_sel:DWORD src1_sel:BYTE_3
	global_load_dword v8, v8, s[16:17]
	v_bfe_u32 v51, v53, 7, 8
	v_bcnt_u32_b32 v54, v51, 0
	v_and_b32_e32 v54, 1, v54
	v_lshlrev_b32_e32 v54, 7, v54
	v_xor_b32_e32 v51, v54, v51
	v_mul_lo_u32 v51, v51, s23
	v_and_b32_e32 v54, 0x8040201, v51
	v_cmp_ne_u16_sdwa s[20:21], v54, v31 src0_sel:BYTE_3 src1_sel:DWORD
	v_cmp_ne_u16_sdwa s[28:29], v54, v31 src0_sel:BYTE_1 src1_sel:DWORD
	v_lshrrev_b32_e32 v55, 18, v51
	v_cndmask_b32_e64 v56, 0, -1, s[28:29]
	v_cndmask_b32_e64 v58, 0, -1, s[20:21]
	v_bfe_i32 v54, v51, 0, 1
	v_lshlrev_b16_e32 v56, 8, v56
	v_bfe_i32 v55, v55, 0, 1
	v_lshlrev_b16_e32 v58, 8, v58
	v_or_b32_sdwa v57, v54, v56 dst_sel:DWORD dst_unused:UNUSED_PAD src0_sel:BYTE_0 src1_sel:DWORD
	v_or_b32_sdwa v59, v55, v58 dst_sel:WORD_1 dst_unused:UNUSED_PAD src0_sel:BYTE_0 src1_sel:DWORD
	v_or_b32_sdwa v57, v57, v59 dst_sel:DWORD dst_unused:UNUSED_PAD src0_sel:WORD_0 src1_sel:DWORD
	v_lshlrev_b16_e32 v54, 8, v54
	v_lshlrev_b16_e32 v55, 8, v55
	s_waitcnt vmcnt(1)
	v_xor_b32_e32 v7, v7, v57
	v_and_b32_e32 v57, 0xffffff00, v7
	v_sub_i16 v56, v57, v56 clamp
	v_lshlrev_b16_e32 v57, 8, v7
	v_sub_i16 v54, v57, v54 clamp
	v_perm_b32 v54, v54, v56, s27
	v_and_b32_sdwa v56, v7, s26 dst_sel:DWORD dst_unused:UNUSED_PAD src0_sel:WORD_1 src1_sel:DWORD
	v_lshlrev_b16_sdwa v7, v36, v7 dst_sel:DWORD dst_unused:UNUSED_PAD src0_sel:DWORD src1_sel:WORD_1
	v_sub_i16 v56, v56, v58 clamp
	v_sub_i16 v7, v7, v55 clamp
	v_perm_b32 v7, v7, v56, s27
	v_lshl_or_b32 v7, v7, 16, v54
	v_and_b32_e32 v54, 0x80402010, v51
	v_cmp_ne_u16_sdwa s[20:21], v54, v31 src0_sel:BYTE_3 src1_sel:DWORD
	v_cmp_ne_u16_sdwa s[28:29], v54, v31 src0_sel:BYTE_1 src1_sel:DWORD
	v_lshrrev_b32_e32 v51, 22, v51
	v_lshrrev_b16_e32 v54, 4, v54
	v_cndmask_b32_e64 v55, 0, -1, s[28:29]
	v_cndmask_b32_e64 v57, 0, -1, s[20:21]
	v_bfe_i32 v54, v54, 0, 1
	v_lshlrev_b16_e32 v55, 8, v55
	v_bfe_i32 v51, v51, 0, 1
	v_lshlrev_b16_e32 v57, 8, v57
	v_or_b32_sdwa v56, v54, v55 dst_sel:DWORD dst_unused:UNUSED_PAD src0_sel:BYTE_0 src1_sel:DWORD
	v_or_b32_sdwa v58, v51, v57 dst_sel:WORD_1 dst_unused:UNUSED_PAD src0_sel:BYTE_0 src1_sel:DWORD
	v_or_b32_sdwa v56, v56, v58 dst_sel:DWORD dst_unused:UNUSED_PAD src0_sel:WORD_0 src1_sel:DWORD
	s_waitcnt vmcnt(0)
	v_xor_b32_e32 v8, v8, v56
	v_and_b32_e32 v56, 0xffffff00, v8
	v_sub_i16 v55, v56, v55 clamp
	v_lshlrev_b16_e32 v56, 8, v8
	v_lshlrev_b16_e32 v54, 8, v54
	v_sub_i16 v54, v56, v54 clamp
	v_perm_b32 v54, v54, v55, s27
	v_and_b32_sdwa v55, v8, s26 dst_sel:DWORD dst_unused:UNUSED_PAD src0_sel:WORD_1 src1_sel:DWORD
	v_lshlrev_b16_sdwa v8, v36, v8 dst_sel:DWORD dst_unused:UNUSED_PAD src0_sel:DWORD src1_sel:WORD_1
	v_lshlrev_b16_e32 v51, 8, v51
	v_sub_i16 v55, v55, v57 clamp
	v_sub_i16 v8, v8, v51 clamp
	v_perm_b32 v8, v8, v55, s27
	v_lshl_or_b32 v8, v8, 16, v54
	v_dot4_i32_i8 v9, v7, v9, v48
	v_dot4_i32_i8 v48, v8, v2, v9
	v_lshlrev_b32_sdwa v2, v35, v52 dst_sel:DWORD dst_unused:UNUSED_PAD src0_sel:DWORD src1_sel:BYTE_0
	global_load_dword v2, v2, s[16:17]
	v_lshlrev_b32_sdwa v9, v35, v52 dst_sel:DWORD dst_unused:UNUSED_PAD src0_sel:DWORD src1_sel:BYTE_1
	global_load_dword v9, v9, s[16:17]
	v_bfe_u32 v51, v53, 14, 8
	v_bcnt_u32_b32 v54, v51, 0
	v_and_b32_e32 v54, 1, v54
	v_lshlrev_b32_e32 v54, 7, v54
	v_xor_b32_e32 v51, v54, v51
	v_mul_lo_u32 v51, v51, s23
	v_and_b32_e32 v54, 0x8040201, v51
	v_cmp_ne_u16_sdwa s[20:21], v54, v31 src0_sel:BYTE_3 src1_sel:DWORD
	v_cmp_ne_u16_sdwa s[28:29], v54, v31 src0_sel:BYTE_1 src1_sel:DWORD
	v_lshrrev_b32_e32 v55, 18, v51
	v_cndmask_b32_e64 v56, 0, -1, s[28:29]
	v_cndmask_b32_e64 v58, 0, -1, s[20:21]
	v_bfe_i32 v54, v51, 0, 1
	v_lshlrev_b16_e32 v56, 8, v56
	v_bfe_i32 v55, v55, 0, 1
	v_lshlrev_b16_e32 v58, 8, v58
	v_or_b32_sdwa v57, v54, v56 dst_sel:DWORD dst_unused:UNUSED_PAD src0_sel:BYTE_0 src1_sel:DWORD
	v_or_b32_sdwa v59, v55, v58 dst_sel:WORD_1 dst_unused:UNUSED_PAD src0_sel:BYTE_0 src1_sel:DWORD
	v_or_b32_sdwa v57, v57, v59 dst_sel:DWORD dst_unused:UNUSED_PAD src0_sel:WORD_0 src1_sel:DWORD
	v_lshlrev_b16_e32 v54, 8, v54
	v_lshlrev_b16_e32 v55, 8, v55
	s_waitcnt vmcnt(1)
	v_xor_b32_e32 v2, v2, v57
	v_and_b32_e32 v57, 0xffffff00, v2
	v_sub_i16 v56, v57, v56 clamp
	v_lshlrev_b16_e32 v57, 8, v2
	v_sub_i16 v54, v57, v54 clamp
	v_perm_b32 v54, v54, v56, s27
	v_and_b32_sdwa v56, v2, s26 dst_sel:DWORD dst_unused:UNUSED_PAD src0_sel:WORD_1 src1_sel:DWORD
	v_lshlrev_b16_sdwa v2, v36, v2 dst_sel:DWORD dst_unused:UNUSED_PAD src0_sel:DWORD src1_sel:WORD_1
	v_sub_i16 v56, v56, v58 clamp
	v_sub_i16 v2, v2, v55 clamp
	v_perm_b32 v2, v2, v56, s27
	v_lshl_or_b32 v2, v2, 16, v54
	v_and_b32_e32 v54, 0x80402010, v51
	v_cmp_ne_u16_sdwa s[20:21], v54, v31 src0_sel:BYTE_3 src1_sel:DWORD
	v_cmp_ne_u16_sdwa s[28:29], v54, v31 src0_sel:BYTE_1 src1_sel:DWORD
	v_lshrrev_b32_e32 v51, 22, v51
	v_lshrrev_b16_e32 v54, 4, v54
	v_cndmask_b32_e64 v55, 0, -1, s[28:29]
	v_cndmask_b32_e64 v57, 0, -1, s[20:21]
	v_bfe_i32 v54, v54, 0, 1
	v_lshlrev_b16_e32 v55, 8, v55
	v_bfe_i32 v51, v51, 0, 1
	v_lshlrev_b16_e32 v57, 8, v57
	v_or_b32_sdwa v56, v54, v55 dst_sel:DWORD dst_unused:UNUSED_PAD src0_sel:BYTE_0 src1_sel:DWORD
	v_or_b32_sdwa v58, v51, v57 dst_sel:WORD_1 dst_unused:UNUSED_PAD src0_sel:BYTE_0 src1_sel:DWORD
	v_or_b32_sdwa v56, v56, v58 dst_sel:DWORD dst_unused:UNUSED_PAD src0_sel:WORD_0 src1_sel:DWORD
	s_waitcnt vmcnt(0)
	v_xor_b32_e32 v9, v9, v56
	v_and_b32_e32 v56, 0xffffff00, v9
	v_sub_i16 v55, v56, v55 clamp
	v_lshlrev_b16_e32 v56, 8, v9
	v_lshlrev_b16_e32 v54, 8, v54
	v_sub_i16 v54, v56, v54 clamp
	v_perm_b32 v54, v54, v55, s27
	v_and_b32_sdwa v55, v9, s26 dst_sel:DWORD dst_unused:UNUSED_PAD src0_sel:WORD_1 src1_sel:DWORD
	v_lshlrev_b16_sdwa v9, v36, v9 dst_sel:DWORD dst_unused:UNUSED_PAD src0_sel:DWORD src1_sel:WORD_1
	v_lshlrev_b16_e32 v51, 8, v51
	v_sub_i16 v55, v55, v57 clamp
	v_sub_i16 v9, v9, v51 clamp
	v_perm_b32 v9, v9, v55, s27
	v_lshl_or_b32 v9, v9, 16, v54
	v_dot4_i32_i8 v3, v2, v3, v48
	v_dot4_i32_i8 v4, v9, v4, v3
	v_lshlrev_b32_sdwa v3, v35, v52 dst_sel:DWORD dst_unused:UNUSED_PAD src0_sel:DWORD src1_sel:BYTE_2
	global_load_dword v3, v3, s[16:17]
	v_lshlrev_b32_sdwa v48, v35, v52 dst_sel:DWORD dst_unused:UNUSED_PAD src0_sel:DWORD src1_sel:BYTE_3
	global_load_dword v48, v48, s[16:17]
	v_bfe_u32 v51, v53, 21, 8
	v_bcnt_u32_b32 v52, v51, 0
	v_and_b32_e32 v52, 1, v52
	v_lshlrev_b32_e32 v52, 7, v52
	v_xor_b32_e32 v51, v52, v51
	v_mul_lo_u32 v51, v51, s23
	v_and_b32_e32 v52, 0x8040201, v51
	v_cmp_ne_u16_sdwa s[16:17], v52, v31 src0_sel:BYTE_3 src1_sel:DWORD
	v_cmp_ne_u16_sdwa s[20:21], v52, v31 src0_sel:BYTE_1 src1_sel:DWORD
	v_lshrrev_b32_e32 v54, 18, v51
	v_cndmask_b32_e64 v55, 0, -1, s[20:21]
	v_cndmask_b32_e64 v57, 0, -1, s[16:17]
	v_bfe_i32 v52, v51, 0, 1
	v_lshlrev_b16_e32 v55, 8, v55
	v_bfe_i32 v54, v54, 0, 1
	v_lshlrev_b16_e32 v57, 8, v57
	v_or_b32_sdwa v56, v52, v55 dst_sel:DWORD dst_unused:UNUSED_PAD src0_sel:BYTE_0 src1_sel:DWORD
	v_or_b32_sdwa v58, v54, v57 dst_sel:WORD_1 dst_unused:UNUSED_PAD src0_sel:BYTE_0 src1_sel:DWORD
	v_or_b32_sdwa v56, v56, v58 dst_sel:DWORD dst_unused:UNUSED_PAD src0_sel:WORD_0 src1_sel:DWORD
	v_lshlrev_b16_e32 v52, 8, v52
	v_lshlrev_b16_e32 v54, 8, v54
	s_waitcnt vmcnt(1)
	v_xor_b32_e32 v3, v3, v56
	v_and_b32_e32 v56, 0xffffff00, v3
	v_sub_i16 v55, v56, v55 clamp
	v_lshlrev_b16_e32 v56, 8, v3
	v_sub_i16 v52, v56, v52 clamp
	v_perm_b32 v52, v52, v55, s27
	v_and_b32_sdwa v55, v3, s26 dst_sel:DWORD dst_unused:UNUSED_PAD src0_sel:WORD_1 src1_sel:DWORD
	v_lshlrev_b16_sdwa v3, v36, v3 dst_sel:DWORD dst_unused:UNUSED_PAD src0_sel:DWORD src1_sel:WORD_1
	v_sub_i16 v55, v55, v57 clamp
	v_sub_i16 v3, v3, v54 clamp
	v_perm_b32 v3, v3, v55, s27
	v_lshl_or_b32 v3, v3, 16, v52
	v_and_b32_e32 v52, 0x80402010, v51
	v_cmp_ne_u16_sdwa s[16:17], v52, v31 src0_sel:BYTE_3 src1_sel:DWORD
	v_cmp_ne_u16_sdwa s[20:21], v52, v31 src0_sel:BYTE_1 src1_sel:DWORD
	v_lshrrev_b32_e32 v51, 22, v51
	v_lshrrev_b16_e32 v52, 4, v52
	v_cndmask_b32_e64 v54, 0, -1, s[20:21]
	v_cndmask_b32_e64 v56, 0, -1, s[16:17]
	v_bfe_i32 v52, v52, 0, 1
	v_lshlrev_b16_e32 v54, 8, v54
	v_bfe_i32 v51, v51, 0, 1
	v_lshlrev_b16_e32 v56, 8, v56
	v_or_b32_sdwa v55, v52, v54 dst_sel:DWORD dst_unused:UNUSED_PAD src0_sel:BYTE_0 src1_sel:DWORD
	v_or_b32_sdwa v57, v51, v56 dst_sel:WORD_1 dst_unused:UNUSED_PAD src0_sel:BYTE_0 src1_sel:DWORD
	v_or_b32_sdwa v55, v55, v57 dst_sel:DWORD dst_unused:UNUSED_PAD src0_sel:WORD_0 src1_sel:DWORD
	s_waitcnt vmcnt(0)
	v_xor_b32_e32 v48, v48, v55
	v_and_b32_e32 v55, 0xffffff00, v48
	v_sub_i16 v54, v55, v54 clamp
	v_lshlrev_b16_e32 v55, 8, v48
	v_lshlrev_b16_e32 v52, 8, v52
	v_sub_i16 v52, v55, v52 clamp
	v_perm_b32 v52, v52, v54, s27
	v_and_b32_sdwa v54, v48, s26 dst_sel:DWORD dst_unused:UNUSED_PAD src0_sel:WORD_1 src1_sel:DWORD
	v_lshlrev_b16_sdwa v48, v36, v48 dst_sel:DWORD dst_unused:UNUSED_PAD src0_sel:DWORD src1_sel:WORD_1
	v_lshlrev_b16_e32 v51, 8, v51
	v_sub_i16 v54, v54, v56 clamp
	v_sub_i16 v48, v48, v51 clamp
	v_perm_b32 v48, v48, v54, s27
	v_lshl_or_b32 v48, v48, 16, v52
	v_dot4_i32_i8 v4, v3, v5, v4
	v_dot4_i32_i8 v50, v48, v50, v4
	v_lshrrev_b32_e32 v5, 31, v50
	v_add_u32_e32 v5, v50, v5
	v_lshrrev_b32_e32 v4, 28, v53
	v_ashrrev_i32_e32 v5, 1, v5
	v_mad_u64_u32 v[50:51], s[16:17], v50, v4, v[5:6]
	v_lshrrev_b32_e32 v5, 31, v50
	v_add_u32_e32 v5, v50, v5
	v_ashrrev_i32_e32 v50, 1, v5
	global_load_ushort v5, v[16:17], off
	v_cvt_f32_i32_e32 v17, v50
	s_waitcnt vmcnt(0)
	v_cvt_f32_f16_e32 v5, v5
	v_mul_f32_e32 v16, v5, v49
	v_fmac_f32_e32 v28, v16, v17
	v_add_u32_e32 v16, s1, v32
	v_mad_u64_u32 v[16:17], s[16:17], v16, 36, v[10:11]
	global_load_dword v57, v[16:17], off offset:32
	global_load_dwordx4 v[49:52], v[16:17], off offset:16
	global_load_dwordx4 v[53:56], v[16:17], off
	s_waitcnt vmcnt(0)
	v_dot4_i32_i8 v16, v6, v54, 0
	v_dot4_i32_i8 v16, v37, v55, v16
	v_dot4_i32_i8 v16, v38, v56, v16
	v_dot4_i32_i8 v16, v39, v49, v16
	v_dot4_i32_i8 v16, v40, v50, v16
	v_dot4_i32_i8 v16, v41, v51, v16
	v_dot4_i32_i8 v16, v42, v52, v16
	v_dot4_i32_i8 v17, v44, v57, v16
	v_lshrrev_b32_e32 v16, 31, v17
	v_add_u32_e32 v16, v17, v16
	v_ashrrev_i32_e32 v16, 1, v16
	v_mad_u64_u32 v[16:17], s[16:17], v17, v43, v[16:17]
	v_cvt_f32_f16_e32 v53, v53
	v_lshrrev_b32_e32 v17, 31, v16
	v_add_u32_e32 v16, v16, v17
	v_ashrrev_i32_e32 v16, 1, v16
	v_cvt_f32_i32_e32 v16, v16
	v_mul_f32_e32 v17, v45, v53
	v_fmac_f32_e32 v27, v17, v16
	v_dot4_i32_i8 v16, v46, v54, 0
	v_dot4_i32_i8 v16, v47, v55, v16
	v_dot4_i32_i8 v16, v7, v56, v16
	v_dot4_i32_i8 v16, v8, v49, v16
	v_dot4_i32_i8 v16, v2, v50, v16
	v_dot4_i32_i8 v16, v9, v51, v16
	v_dot4_i32_i8 v16, v3, v52, v16
	v_dot4_i32_i8 v17, v48, v57, v16
	v_lshrrev_b32_e32 v16, 31, v17
	v_add_u32_e32 v16, v17, v16
	v_ashrrev_i32_e32 v16, 1, v16
	v_mad_u64_u32 v[16:17], s[16:17], v17, v4, v[16:17]
	v_lshrrev_b32_e32 v17, 31, v16
	v_add_u32_e32 v16, v16, v17
	v_ashrrev_i32_e32 v16, 1, v16
	v_cvt_f32_i32_e32 v16, v16
	v_mul_f32_e32 v17, v5, v53
	v_fmac_f32_e32 v26, v17, v16
	v_add_u32_e32 v16, s3, v32
	v_mad_u64_u32 v[16:17], s[16:17], v16, 36, v[10:11]
	global_load_dword v57, v[16:17], off offset:32
	global_load_dwordx4 v[49:52], v[16:17], off offset:16
	global_load_dwordx4 v[53:56], v[16:17], off
	s_waitcnt vmcnt(0)
	v_dot4_i32_i8 v16, v6, v54, 0
	v_dot4_i32_i8 v16, v37, v55, v16
	v_dot4_i32_i8 v16, v38, v56, v16
	v_dot4_i32_i8 v16, v39, v49, v16
	v_dot4_i32_i8 v16, v40, v50, v16
	v_dot4_i32_i8 v16, v41, v51, v16
	v_dot4_i32_i8 v16, v42, v52, v16
	v_dot4_i32_i8 v17, v44, v57, v16
	v_lshrrev_b32_e32 v16, 31, v17
	v_add_u32_e32 v16, v17, v16
	v_ashrrev_i32_e32 v16, 1, v16
	v_mad_u64_u32 v[16:17], s[16:17], v17, v43, v[16:17]
	v_cvt_f32_f16_e32 v53, v53
	v_lshrrev_b32_e32 v17, 31, v16
	v_add_u32_e32 v16, v16, v17
	v_ashrrev_i32_e32 v16, 1, v16
	v_cvt_f32_i32_e32 v16, v16
	v_mul_f32_e32 v17, v45, v53
	v_fmac_f32_e32 v25, v17, v16
	v_dot4_i32_i8 v16, v46, v54, 0
	v_dot4_i32_i8 v16, v47, v55, v16
	v_dot4_i32_i8 v16, v7, v56, v16
	v_dot4_i32_i8 v16, v8, v49, v16
	v_dot4_i32_i8 v16, v2, v50, v16
	v_dot4_i32_i8 v16, v9, v51, v16
	v_dot4_i32_i8 v16, v3, v52, v16
	v_dot4_i32_i8 v17, v48, v57, v16
	v_lshrrev_b32_e32 v16, 31, v17
	v_add_u32_e32 v16, v17, v16
	v_ashrrev_i32_e32 v16, 1, v16
	v_mad_u64_u32 v[16:17], s[16:17], v17, v4, v[16:17]
	v_lshrrev_b32_e32 v17, 31, v16
	v_add_u32_e32 v16, v16, v17
	v_ashrrev_i32_e32 v16, 1, v16
	v_cvt_f32_i32_e32 v16, v16
	;; [unrolled: 43-line block ×4, first 2 shown]
	v_mul_f32_e32 v17, v5, v53
	v_fmac_f32_e32 v20, v17, v16
	v_add_u32_e32 v16, s24, v32
	v_mad_u64_u32 v[16:17], s[16:17], v16, 36, v[10:11]
	global_load_dword v57, v[16:17], off offset:32
	global_load_dwordx4 v[49:52], v[16:17], off offset:16
	global_load_dwordx4 v[53:56], v[16:17], off
	v_add_u32_e32 v32, 64, v32
	s_waitcnt vmcnt(0)
	v_dot4_i32_i8 v6, v6, v54, 0
	v_dot4_i32_i8 v6, v37, v55, v6
	;; [unrolled: 1-line block ×8, first 2 shown]
	v_lshrrev_b32_e32 v6, 31, v16
	v_add_u32_e32 v6, v16, v6
	v_ashrrev_i32_e32 v6, 1, v6
	v_mad_u64_u32 v[16:17], s[16:17], v16, v43, v[6:7]
	v_cvt_f32_f16_e32 v53, v53
	v_lshrrev_b32_e32 v6, 31, v16
	v_add_u32_e32 v6, v16, v6
	v_ashrrev_i32_e32 v6, 1, v6
	v_cvt_f32_i32_e32 v6, v6
	v_mul_f32_e32 v16, v45, v53
	v_fmac_f32_e32 v19, v16, v6
	v_dot4_i32_i8 v6, v46, v54, 0
	v_dot4_i32_i8 v6, v47, v55, v6
	;; [unrolled: 1-line block ×8, first 2 shown]
	v_lshrrev_b32_e32 v2, 31, v3
	v_add_u32_e32 v2, v3, v2
	v_ashrrev_i32_e32 v2, 1, v2
	v_mad_u64_u32 v[2:3], s[16:17], v3, v4, v[2:3]
	v_lshrrev_b32_e32 v3, 31, v2
	v_add_u32_e32 v2, v2, v3
	v_ashrrev_i32_e32 v2, 1, v2
	v_cvt_f32_i32_e32 v2, v2
	v_mul_f32_e32 v3, v5, v53
	v_fmac_f32_e32 v18, v3, v2
	s_andn2_b64 exec, exec, s[12:13]
	s_cbranch_execnz .LBB201_2
; %bb.3:
	s_or_b64 exec, exec, s[12:13]
.LBB201_4:
	s_or_b64 exec, exec, s[10:11]
	s_mov_b32 s1, 0
	v_cmp_eq_u32_e32 vcc, 0, v1
	; wave barrier
	s_and_saveexec_b64 s[10:11], vcc
	s_cbranch_execz .LBB201_17
; %bb.5:
	v_mbcnt_lo_u32_b32 v1, -1, 0
	v_mbcnt_hi_u32_b32 v6, -1, v1
	v_and_b32_e32 v1, 64, v6
	v_add_u32_e32 v7, 64, v1
	v_xor_b32_e32 v1, 32, v6
	v_cmp_lt_i32_e32 vcc, v1, v7
	v_cndmask_b32_e32 v1, v6, v1, vcc
	v_lshlrev_b32_e32 v1, 2, v1
	ds_bpermute_b32 v5, v1, v29
	ds_bpermute_b32 v8, v1, v28
	v_xor_b32_e32 v2, 16, v6
	v_cmp_lt_i32_e32 vcc, v2, v7
	v_cndmask_b32_e32 v2, v6, v2, vcc
	v_lshlrev_b32_e32 v2, 2, v2
	s_waitcnt lgkmcnt(1)
	v_add_f32_e32 v5, v29, v5
	s_waitcnt lgkmcnt(0)
	v_add_f32_e32 v8, v28, v8
	ds_bpermute_b32 v10, v2, v5
	ds_bpermute_b32 v11, v2, v8
	v_xor_b32_e32 v3, 8, v6
	v_cmp_lt_i32_e32 vcc, v3, v7
	v_cndmask_b32_e32 v3, v6, v3, vcc
	v_lshlrev_b32_e32 v3, 2, v3
	s_waitcnt lgkmcnt(1)
	v_add_f32_e32 v10, v5, v10
	s_waitcnt lgkmcnt(0)
	v_add_f32_e32 v8, v8, v11
	;; [unrolled: 10-line block ×3, first 2 shown]
	ds_bpermute_b32 v12, v4, v10
	ds_bpermute_b32 v11, v4, v8
	v_xor_b32_e32 v9, 2, v6
	v_cmp_lt_i32_e32 vcc, v9, v7
	v_cndmask_b32_e32 v9, v6, v9, vcc
	v_lshlrev_b32_e32 v5, 2, v9
	v_xor_b32_e32 v9, 1, v6
	v_cmp_lt_i32_e32 vcc, v9, v7
	s_waitcnt lgkmcnt(1)
	v_add_f32_e32 v7, v10, v12
	s_waitcnt lgkmcnt(0)
	v_add_f32_e32 v10, v8, v11
	v_cndmask_b32_e32 v6, v6, v9, vcc
	ds_bpermute_b32 v9, v5, v7
	ds_bpermute_b32 v11, v5, v10
	s_load_dwordx2 s[4:5], s[4:5], 0x38
	s_mul_i32 s3, s14, s7
	v_lshlrev_b32_e32 v8, 2, v6
	s_waitcnt lgkmcnt(0)
	v_add_f32_e32 v6, v7, v9
	v_add_f32_e32 v9, v10, v11
	s_mul_i32 s0, s18, s8
	s_add_i32 s3, s3, s6
	ds_bpermute_b32 v7, v8, v6
	ds_bpermute_b32 v10, v8, v9
	s_add_i32 s0, s3, s0
	s_lshl_b64 s[0:1], s[0:1], 2
	s_add_u32 s4, s4, s0
	v_add_u32_e32 v11, s6, v0
	s_addc_u32 s5, s5, s1
	v_cmp_gt_u32_e32 vcc, 2, v0
	v_cmp_gt_u32_e64 s[0:1], s2, v11
	s_and_b64 s[0:1], vcc, s[0:1]
	s_waitcnt lgkmcnt(1)
	v_add_f32_e32 v6, v6, v7
	s_waitcnt lgkmcnt(0)
	v_add_f32_e32 v7, v9, v10
	s_and_saveexec_b64 s[6:7], s[0:1]
	s_cbranch_execz .LBB201_7
; %bb.6:
	v_cmp_eq_u32_e32 vcc, 1, v0
	v_cndmask_b32_e32 v9, v6, v7, vcc
	v_cmp_eq_u32_e32 vcc, 2, v0
	v_cndmask_b32_e32 v9, v9, v27, vcc
	;; [unrolled: 2-line block ×11, first 2 shown]
	v_lshlrev_b32_e32 v10, 2, v0
	global_store_dword v10, v9, s[4:5]
.LBB201_7:
	s_or_b64 exec, exec, s[6:7]
	ds_bpermute_b32 v9, v1, v27
	ds_bpermute_b32 v10, v1, v26
	s_waitcnt lgkmcnt(1)
	v_add_f32_e32 v9, v27, v9
	s_waitcnt lgkmcnt(0)
	v_add_f32_e32 v10, v26, v10
	ds_bpermute_b32 v11, v2, v9
	ds_bpermute_b32 v12, v2, v10
	s_waitcnt lgkmcnt(1)
	v_add_f32_e32 v9, v9, v11
	s_waitcnt lgkmcnt(0)
	v_add_f32_e32 v10, v10, v12
	;; [unrolled: 6-line block ×6, first 2 shown]
	s_and_saveexec_b64 s[6:7], s[0:1]
	s_cbranch_execz .LBB201_9
; %bb.8:
	v_add_u32_e32 v11, 2, v0
	v_cmp_eq_u32_e32 vcc, 1, v11
	v_cndmask_b32_e32 v12, v6, v7, vcc
	v_cmp_eq_u32_e32 vcc, 2, v11
	v_cndmask_b32_e32 v12, v12, v10, vcc
	;; [unrolled: 2-line block ×11, first 2 shown]
	v_add_u32_e32 v11, s2, v0
	v_mov_b32_e32 v12, 0
	v_lshlrev_b64 v[11:12], 2, v[11:12]
	v_mov_b32_e32 v14, s5
	v_add_co_u32_e32 v11, vcc, s4, v11
	v_addc_co_u32_e32 v12, vcc, v14, v12, vcc
	global_store_dword v[11:12], v13, off
.LBB201_9:
	s_or_b64 exec, exec, s[6:7]
	ds_bpermute_b32 v11, v1, v25
	ds_bpermute_b32 v12, v1, v24
	s_waitcnt lgkmcnt(1)
	v_add_f32_e32 v11, v25, v11
	s_waitcnt lgkmcnt(0)
	v_add_f32_e32 v12, v24, v12
	ds_bpermute_b32 v13, v2, v11
	ds_bpermute_b32 v14, v2, v12
	s_waitcnt lgkmcnt(1)
	v_add_f32_e32 v11, v11, v13
	s_waitcnt lgkmcnt(0)
	v_add_f32_e32 v12, v12, v14
	ds_bpermute_b32 v13, v3, v11
	ds_bpermute_b32 v14, v3, v12
	s_waitcnt lgkmcnt(1)
	v_add_f32_e32 v11, v11, v13
	s_waitcnt lgkmcnt(0)
	v_add_f32_e32 v12, v12, v14
	ds_bpermute_b32 v13, v4, v11
	ds_bpermute_b32 v14, v4, v12
	s_waitcnt lgkmcnt(1)
	v_add_f32_e32 v11, v11, v13
	s_waitcnt lgkmcnt(0)
	v_add_f32_e32 v12, v12, v14
	ds_bpermute_b32 v13, v5, v11
	ds_bpermute_b32 v14, v5, v12
	s_waitcnt lgkmcnt(1)
	v_add_f32_e32 v11, v11, v13
	s_waitcnt lgkmcnt(0)
	v_add_f32_e32 v13, v12, v14
	ds_bpermute_b32 v12, v8, v11
	ds_bpermute_b32 v14, v8, v13
	s_waitcnt lgkmcnt(1)
	v_add_f32_e32 v12, v11, v12
	s_waitcnt lgkmcnt(0)
	v_add_f32_e32 v11, v13, v14
	s_and_saveexec_b64 s[6:7], s[0:1]
	s_cbranch_execz .LBB201_11
; %bb.10:
	v_add_u32_e32 v13, 4, v0
	v_cmp_eq_u32_e32 vcc, 1, v13
	v_cndmask_b32_e32 v14, v6, v7, vcc
	v_cmp_eq_u32_e32 vcc, 2, v13
	v_cndmask_b32_e32 v14, v14, v10, vcc
	;; [unrolled: 2-line block ×11, first 2 shown]
	v_lshl_or_b32 v13, s2, 1, v0
	v_mov_b32_e32 v14, 0
	v_lshlrev_b64 v[13:14], 2, v[13:14]
	v_mov_b32_e32 v16, s5
	v_add_co_u32_e32 v13, vcc, s4, v13
	v_addc_co_u32_e32 v14, vcc, v16, v14, vcc
	global_store_dword v[13:14], v15, off
.LBB201_11:
	s_or_b64 exec, exec, s[6:7]
	ds_bpermute_b32 v13, v1, v23
	ds_bpermute_b32 v14, v1, v22
	s_waitcnt lgkmcnt(1)
	v_add_f32_e32 v13, v23, v13
	s_waitcnt lgkmcnt(0)
	v_add_f32_e32 v14, v22, v14
	ds_bpermute_b32 v15, v2, v13
	ds_bpermute_b32 v16, v2, v14
	s_waitcnt lgkmcnt(1)
	v_add_f32_e32 v13, v13, v15
	s_waitcnt lgkmcnt(0)
	v_add_f32_e32 v14, v14, v16
	;; [unrolled: 6-line block ×6, first 2 shown]
	s_and_saveexec_b64 s[6:7], s[0:1]
	s_cbranch_execz .LBB201_13
; %bb.12:
	v_add_u32_e32 v17, 6, v0
	v_cmp_eq_u32_e32 vcc, 1, v17
	v_cndmask_b32_e32 v15, v6, v7, vcc
	v_cmp_eq_u32_e32 vcc, 2, v17
	v_cndmask_b32_e32 v15, v15, v10, vcc
	;; [unrolled: 2-line block ×10, first 2 shown]
	v_mad_u64_u32 v[15:16], s[8:9], s2, 3, v[0:1]
	v_mov_b32_e32 v16, 0
	v_cmp_eq_u32_e32 vcc, 11, v17
	v_lshlrev_b64 v[15:16], 2, v[15:16]
	v_cndmask_b32_e32 v17, v22, v18, vcc
	v_mov_b32_e32 v22, s5
	v_add_co_u32_e32 v15, vcc, s4, v15
	v_addc_co_u32_e32 v16, vcc, v22, v16, vcc
	global_store_dword v[15:16], v17, off
.LBB201_13:
	s_or_b64 exec, exec, s[6:7]
	ds_bpermute_b32 v15, v1, v21
	ds_bpermute_b32 v16, v1, v20
	s_waitcnt lgkmcnt(1)
	v_add_f32_e32 v15, v21, v15
	s_waitcnt lgkmcnt(0)
	v_add_f32_e32 v16, v20, v16
	ds_bpermute_b32 v17, v2, v15
	ds_bpermute_b32 v20, v2, v16
	s_waitcnt lgkmcnt(1)
	v_add_f32_e32 v15, v15, v17
	s_waitcnt lgkmcnt(0)
	v_add_f32_e32 v16, v16, v20
	;; [unrolled: 6-line block ×6, first 2 shown]
	s_and_saveexec_b64 s[6:7], s[0:1]
	s_cbranch_execz .LBB201_15
; %bb.14:
	v_add_u32_e32 v17, 8, v0
	v_cmp_eq_u32_e32 vcc, 1, v17
	v_cndmask_b32_e32 v20, v6, v7, vcc
	v_cmp_eq_u32_e32 vcc, 2, v17
	v_cndmask_b32_e32 v20, v20, v10, vcc
	v_cmp_eq_u32_e32 vcc, 3, v17
	v_cndmask_b32_e32 v20, v20, v9, vcc
	v_cmp_eq_u32_e32 vcc, 4, v17
	v_cndmask_b32_e32 v20, v20, v12, vcc
	v_cmp_eq_u32_e32 vcc, 5, v17
	v_cndmask_b32_e32 v20, v20, v11, vcc
	v_cmp_eq_u32_e32 vcc, 6, v17
	v_cndmask_b32_e32 v20, v20, v14, vcc
	v_cmp_eq_u32_e32 vcc, 7, v17
	v_cndmask_b32_e32 v20, v20, v13, vcc
	v_cmp_eq_u32_e32 vcc, 8, v17
	v_cndmask_b32_e32 v20, v20, v16, vcc
	v_cmp_eq_u32_e32 vcc, 9, v17
	v_cndmask_b32_e32 v20, v20, v15, vcc
	v_cmp_eq_u32_e32 vcc, 10, v17
	v_cndmask_b32_e32 v20, v20, v19, vcc
	v_cmp_eq_u32_e32 vcc, 11, v17
	v_cndmask_b32_e32 v17, v20, v18, vcc
	v_lshl_or_b32 v20, s2, 2, v0
	v_mov_b32_e32 v21, 0
	v_lshlrev_b64 v[20:21], 2, v[20:21]
	v_mov_b32_e32 v22, s5
	v_add_co_u32_e32 v20, vcc, s4, v20
	v_addc_co_u32_e32 v21, vcc, v22, v21, vcc
	global_store_dword v[20:21], v17, off
.LBB201_15:
	s_or_b64 exec, exec, s[6:7]
	ds_bpermute_b32 v17, v1, v19
	ds_bpermute_b32 v1, v1, v18
	s_waitcnt lgkmcnt(1)
	v_add_f32_e32 v17, v19, v17
	s_waitcnt lgkmcnt(0)
	v_add_f32_e32 v1, v18, v1
	ds_bpermute_b32 v18, v2, v17
	ds_bpermute_b32 v2, v2, v1
	s_waitcnt lgkmcnt(1)
	v_add_f32_e32 v17, v17, v18
	s_waitcnt lgkmcnt(0)
	v_add_f32_e32 v1, v1, v2
	;; [unrolled: 6-line block ×5, first 2 shown]
	ds_bpermute_b32 v3, v8, v1
	ds_bpermute_b32 v4, v8, v2
	s_and_b64 exec, exec, s[0:1]
	s_cbranch_execz .LBB201_17
; %bb.16:
	s_waitcnt lgkmcnt(1)
	v_add_f32_e32 v1, v1, v3
	v_add_u32_e32 v3, 10, v0
	v_cmp_eq_u32_e32 vcc, 1, v3
	s_waitcnt lgkmcnt(0)
	v_add_f32_e32 v2, v2, v4
	v_cndmask_b32_e32 v4, v6, v7, vcc
	v_cmp_eq_u32_e32 vcc, 2, v3
	v_cndmask_b32_e32 v4, v4, v10, vcc
	v_cmp_eq_u32_e32 vcc, 3, v3
	;; [unrolled: 2-line block ×9, first 2 shown]
	v_cndmask_b32_e32 v4, v4, v1, vcc
	v_mad_u64_u32 v[0:1], s[0:1], s2, 5, v[0:1]
	v_mov_b32_e32 v1, 0
	v_cmp_eq_u32_e32 vcc, 11, v3
	v_lshlrev_b64 v[0:1], 2, v[0:1]
	v_cndmask_b32_e32 v2, v4, v2, vcc
	v_mov_b32_e32 v3, s5
	v_add_co_u32_e32 v0, vcc, s4, v0
	v_addc_co_u32_e32 v1, vcc, v3, v1, vcc
	global_store_dword v[0:1], v2, off
.LBB201_17:
	s_endpgm
	.section	.rodata,"a",@progbits
	.p2align	6, 0x0
	.amdhsa_kernel _ZL13mul_mat_vec_qIL9ggml_type18ELi6ELb0ELb0EEvPKvS2_PKi31ggml_cuda_mm_fusion_args_devicePfj15HIP_vector_typeIjLj3EEjjjS8_jjjS8_jjjj
		.amdhsa_group_segment_fixed_size 0
		.amdhsa_private_segment_fixed_size 0
		.amdhsa_kernarg_size 144
		.amdhsa_user_sgpr_count 6
		.amdhsa_user_sgpr_private_segment_buffer 1
		.amdhsa_user_sgpr_dispatch_ptr 0
		.amdhsa_user_sgpr_queue_ptr 0
		.amdhsa_user_sgpr_kernarg_segment_ptr 1
		.amdhsa_user_sgpr_dispatch_id 0
		.amdhsa_user_sgpr_flat_scratch_init 0
		.amdhsa_user_sgpr_private_segment_size 0
		.amdhsa_uses_dynamic_stack 0
		.amdhsa_system_sgpr_private_segment_wavefront_offset 0
		.amdhsa_system_sgpr_workgroup_id_x 1
		.amdhsa_system_sgpr_workgroup_id_y 1
		.amdhsa_system_sgpr_workgroup_id_z 1
		.amdhsa_system_sgpr_workgroup_info 0
		.amdhsa_system_vgpr_workitem_id 1
		.amdhsa_next_free_vgpr 60
		.amdhsa_next_free_sgpr 30
		.amdhsa_reserve_vcc 1
		.amdhsa_reserve_flat_scratch 0
		.amdhsa_float_round_mode_32 0
		.amdhsa_float_round_mode_16_64 0
		.amdhsa_float_denorm_mode_32 3
		.amdhsa_float_denorm_mode_16_64 3
		.amdhsa_dx10_clamp 1
		.amdhsa_ieee_mode 1
		.amdhsa_fp16_overflow 0
		.amdhsa_exception_fp_ieee_invalid_op 0
		.amdhsa_exception_fp_denorm_src 0
		.amdhsa_exception_fp_ieee_div_zero 0
		.amdhsa_exception_fp_ieee_overflow 0
		.amdhsa_exception_fp_ieee_underflow 0
		.amdhsa_exception_fp_ieee_inexact 0
		.amdhsa_exception_int_div_zero 0
	.end_amdhsa_kernel
	.section	.text._ZL13mul_mat_vec_qIL9ggml_type18ELi6ELb0ELb0EEvPKvS2_PKi31ggml_cuda_mm_fusion_args_devicePfj15HIP_vector_typeIjLj3EEjjjS8_jjjS8_jjjj,"axG",@progbits,_ZL13mul_mat_vec_qIL9ggml_type18ELi6ELb0ELb0EEvPKvS2_PKi31ggml_cuda_mm_fusion_args_devicePfj15HIP_vector_typeIjLj3EEjjjS8_jjjS8_jjjj,comdat
.Lfunc_end201:
	.size	_ZL13mul_mat_vec_qIL9ggml_type18ELi6ELb0ELb0EEvPKvS2_PKi31ggml_cuda_mm_fusion_args_devicePfj15HIP_vector_typeIjLj3EEjjjS8_jjjS8_jjjj, .Lfunc_end201-_ZL13mul_mat_vec_qIL9ggml_type18ELi6ELb0ELb0EEvPKvS2_PKi31ggml_cuda_mm_fusion_args_devicePfj15HIP_vector_typeIjLj3EEjjjS8_jjjS8_jjjj
                                        ; -- End function
	.set _ZL13mul_mat_vec_qIL9ggml_type18ELi6ELb0ELb0EEvPKvS2_PKi31ggml_cuda_mm_fusion_args_devicePfj15HIP_vector_typeIjLj3EEjjjS8_jjjS8_jjjj.num_vgpr, 60
	.set _ZL13mul_mat_vec_qIL9ggml_type18ELi6ELb0ELb0EEvPKvS2_PKi31ggml_cuda_mm_fusion_args_devicePfj15HIP_vector_typeIjLj3EEjjjS8_jjjS8_jjjj.num_agpr, 0
	.set _ZL13mul_mat_vec_qIL9ggml_type18ELi6ELb0ELb0EEvPKvS2_PKi31ggml_cuda_mm_fusion_args_devicePfj15HIP_vector_typeIjLj3EEjjjS8_jjjS8_jjjj.numbered_sgpr, 30
	.set _ZL13mul_mat_vec_qIL9ggml_type18ELi6ELb0ELb0EEvPKvS2_PKi31ggml_cuda_mm_fusion_args_devicePfj15HIP_vector_typeIjLj3EEjjjS8_jjjS8_jjjj.num_named_barrier, 0
	.set _ZL13mul_mat_vec_qIL9ggml_type18ELi6ELb0ELb0EEvPKvS2_PKi31ggml_cuda_mm_fusion_args_devicePfj15HIP_vector_typeIjLj3EEjjjS8_jjjS8_jjjj.private_seg_size, 0
	.set _ZL13mul_mat_vec_qIL9ggml_type18ELi6ELb0ELb0EEvPKvS2_PKi31ggml_cuda_mm_fusion_args_devicePfj15HIP_vector_typeIjLj3EEjjjS8_jjjS8_jjjj.uses_vcc, 1
	.set _ZL13mul_mat_vec_qIL9ggml_type18ELi6ELb0ELb0EEvPKvS2_PKi31ggml_cuda_mm_fusion_args_devicePfj15HIP_vector_typeIjLj3EEjjjS8_jjjS8_jjjj.uses_flat_scratch, 0
	.set _ZL13mul_mat_vec_qIL9ggml_type18ELi6ELb0ELb0EEvPKvS2_PKi31ggml_cuda_mm_fusion_args_devicePfj15HIP_vector_typeIjLj3EEjjjS8_jjjS8_jjjj.has_dyn_sized_stack, 0
	.set _ZL13mul_mat_vec_qIL9ggml_type18ELi6ELb0ELb0EEvPKvS2_PKi31ggml_cuda_mm_fusion_args_devicePfj15HIP_vector_typeIjLj3EEjjjS8_jjjS8_jjjj.has_recursion, 0
	.set _ZL13mul_mat_vec_qIL9ggml_type18ELi6ELb0ELb0EEvPKvS2_PKi31ggml_cuda_mm_fusion_args_devicePfj15HIP_vector_typeIjLj3EEjjjS8_jjjS8_jjjj.has_indirect_call, 0
	.section	.AMDGPU.csdata,"",@progbits
; Kernel info:
; codeLenInByte = 8012
; TotalNumSgprs: 34
; NumVgprs: 60
; ScratchSize: 0
; MemoryBound: 0
; FloatMode: 240
; IeeeMode: 1
; LDSByteSize: 0 bytes/workgroup (compile time only)
; SGPRBlocks: 4
; VGPRBlocks: 14
; NumSGPRsForWavesPerEU: 34
; NumVGPRsForWavesPerEU: 60
; Occupancy: 4
; WaveLimiterHint : 0
; COMPUTE_PGM_RSRC2:SCRATCH_EN: 0
; COMPUTE_PGM_RSRC2:USER_SGPR: 6
; COMPUTE_PGM_RSRC2:TRAP_HANDLER: 0
; COMPUTE_PGM_RSRC2:TGID_X_EN: 1
; COMPUTE_PGM_RSRC2:TGID_Y_EN: 1
; COMPUTE_PGM_RSRC2:TGID_Z_EN: 1
; COMPUTE_PGM_RSRC2:TIDIG_COMP_CNT: 1
	.section	.text._ZL13mul_mat_vec_qIL9ggml_type18ELi7ELb0ELb0EEvPKvS2_PKi31ggml_cuda_mm_fusion_args_devicePfj15HIP_vector_typeIjLj3EEjjjS8_jjjS8_jjjj,"axG",@progbits,_ZL13mul_mat_vec_qIL9ggml_type18ELi7ELb0ELb0EEvPKvS2_PKi31ggml_cuda_mm_fusion_args_devicePfj15HIP_vector_typeIjLj3EEjjjS8_jjjS8_jjjj,comdat
	.globl	_ZL13mul_mat_vec_qIL9ggml_type18ELi7ELb0ELb0EEvPKvS2_PKi31ggml_cuda_mm_fusion_args_devicePfj15HIP_vector_typeIjLj3EEjjjS8_jjjS8_jjjj ; -- Begin function _ZL13mul_mat_vec_qIL9ggml_type18ELi7ELb0ELb0EEvPKvS2_PKi31ggml_cuda_mm_fusion_args_devicePfj15HIP_vector_typeIjLj3EEjjjS8_jjjS8_jjjj
	.p2align	8
	.type	_ZL13mul_mat_vec_qIL9ggml_type18ELi7ELb0ELb0EEvPKvS2_PKi31ggml_cuda_mm_fusion_args_devicePfj15HIP_vector_typeIjLj3EEjjjS8_jjjS8_jjjj,@function
_ZL13mul_mat_vec_qIL9ggml_type18ELi7ELb0ELb0EEvPKvS2_PKi31ggml_cuda_mm_fusion_args_devicePfj15HIP_vector_typeIjLj3EEjjjS8_jjjS8_jjjj: ; @_ZL13mul_mat_vec_qIL9ggml_type18ELi7ELb0ELb0EEvPKvS2_PKi31ggml_cuda_mm_fusion_args_devicePfj15HIP_vector_typeIjLj3EEjjjS8_jjjS8_jjjj
; %bb.0:
	s_load_dword s9, s[4:5], 0x40
	s_load_dwordx4 s[0:3], s[4:5], 0x50
	s_load_dword s25, s[4:5], 0x60
	s_load_dwordx4 s[12:15], s[4:5], 0x68
	;; [unrolled: 2-line block ×3, first 2 shown]
	v_lshl_or_b32 v2, v1, 6, v0
	s_waitcnt lgkmcnt(0)
	s_lshr_b32 s9, s9, 8
	v_lshrrev_b32_e32 v32, 3, v2
	s_lshl_b32 s6, s6, 1
	v_cmp_gt_u32_e32 vcc, s9, v32
	v_mov_b32_e32 v18, 0
	v_mov_b32_e32 v19, 0
	v_mov_b32_e32 v20, 0
	v_mov_b32_e32 v21, 0
	v_mov_b32_e32 v22, 0
	v_mov_b32_e32 v23, 0
	v_mov_b32_e32 v24, 0
	v_mov_b32_e32 v25, 0
	v_mov_b32_e32 v26, 0
	v_mov_b32_e32 v27, 0
	v_mov_b32_e32 v28, 0
	v_mov_b32_e32 v29, 0
	v_mov_b32_e32 v30, 0
	v_mov_b32_e32 v31, 0
	s_and_saveexec_b64 s[10:11], vcc
	s_cbranch_execz .LBB202_4
; %bb.1:
	s_mul_hi_u32 s3, s3, s7
	s_add_i32 s3, s7, s3
	s_load_dwordx4 s[20:23], s[4:5], 0x0
	s_lshr_b32 s3, s3, s25
	s_mul_i32 s3, s3, s12
	s_mul_hi_u32 s12, s15, s8
	s_add_i32 s12, s8, s12
	s_lshr_b32 s12, s12, s24
	s_mul_i32 s27, s17, s8
	s_mul_i32 s15, s12, s16
	;; [unrolled: 1-line block ×3, first 2 shown]
	s_mul_hi_u32 s12, s27, 36
	s_waitcnt lgkmcnt(0)
	s_add_u32 s16, s22, s16
	s_addc_u32 s17, s23, s12
	s_mul_i32 s12, s13, s7
	s_mul_hi_u32 s13, s12, 36
	s_mul_i32 s12, s12, 36
	s_add_u32 s16, s16, s12
	s_addc_u32 s17, s17, s13
	v_lshlrev_b32_e32 v2, 1, v0
	v_and_b32_e32 v6, 7, v0
	v_and_b32_e32 v4, 14, v2
	v_mad_u64_u32 v[10:11], s[16:17], v6, 36, s[16:17]
	v_mov_b32_e32 v2, s12
	s_movk_i32 s17, 0x120
	v_mov_b32_e32 v3, s13
	v_mad_u64_u32 v[2:3], s[12:13], v32, s17, v[2:3]
	s_add_i32 s28, s15, s3
	s_mul_i32 s16, s6, s0
	v_mad_u64_u32 v[2:3], s[12:13], s27, 36, v[2:3]
	s_add_i32 s26, s28, s16
	s_add_i32 s16, s6, 1
	v_mad_u64_u32 v[2:3], s[12:13], v6, 36, v[2:3]
	v_mov_b32_e32 v6, s23
	v_lshlrev_b32_e32 v5, 1, v4
	v_add_co_u32_e32 v2, vcc, s22, v2
	v_addc_co_u32_e32 v3, vcc, v6, v3, vcc
	s_mul_i32 s0, s0, s16
	v_add_co_u32_e32 v12, vcc, 16, v2
	v_mov_b32_e32 v14, s20
	v_mov_b32_e32 v33, 0
	s_lshl_b32 s3, s1, 1
	s_mul_i32 s15, s1, 3
	s_lshl_b32 s19, s1, 2
	s_mul_i32 s24, s1, 5
	s_mul_i32 s25, s1, 6
	s_add_i32 s0, s28, s0
	v_lshlrev_b32_e32 v34, 3, v32
	v_addc_co_u32_e32 v13, vcc, 0, v3, vcc
	s_mov_b64 s[12:13], 0
	s_movk_i32 s22, 0x62
	v_lshlrev_b32_e32 v35, 1, v5
	v_lshlrev_b32_e32 v36, 1, v4
	s_mov_b32 s23, 0x1010101
	s_movk_i32 s27, 0xff00
	s_mov_b32 s28, 0xc0c0105
	v_mov_b32_e32 v37, 2
	v_mov_b32_e32 v38, 8
	;; [unrolled: 1-line block ×17, first 2 shown]
.LBB202_2:                              ; =>This Inner Loop Header: Depth=1
	v_add_u32_e32 v16, s26, v32
	v_mad_i64_i32 v[16:17], s[16:17], v16, s22, v[14:15]
	global_load_dword v52, v[12:13], off offset:16
	global_load_dwordx4 v[2:5], v[12:13], off
	global_load_dwordx4 v[6:9], v[12:13], off offset:-16
	s_getpc_b64 s[16:17]
	s_add_u32 s16, s16, _ZL11iq3xxs_grid@rel32@lo+4
	s_addc_u32 s17, s17, _ZL11iq3xxs_grid@rel32@hi+12
	v_add_co_u32_e32 v39, vcc, v16, v35
	v_addc_co_u32_e32 v40, vcc, 0, v17, vcc
	global_load_dwordx2 v[43:44], v[39:40], off offset:2
	v_add_co_u32_e32 v39, vcc, v16, v36
	v_addc_co_u32_e32 v40, vcc, 0, v17, vcc
	global_load_dword v45, v[39:40], off offset:66
	s_waitcnt vmcnt(2)
	v_cvt_f32_f16_e32 v51, v6
	global_load_ushort v16, v[16:17], off
	s_waitcnt vmcnt(2)
	v_lshlrev_b32_sdwa v6, v37, v43 dst_sel:DWORD dst_unused:UNUSED_PAD src0_sel:DWORD src1_sel:BYTE_0
	global_load_dword v6, v6, s[16:17]
	v_lshlrev_b32_sdwa v39, v37, v43 dst_sel:DWORD dst_unused:UNUSED_PAD src0_sel:DWORD src1_sel:BYTE_1
	global_load_dword v39, v39, s[16:17]
	s_waitcnt vmcnt(3)
	v_and_b32_e32 v40, 0xff, v45
	v_bcnt_u32_b32 v41, v40, 0
	v_and_b32_e32 v41, 1, v41
	v_lshlrev_b32_e32 v41, 7, v41
	v_xor_b32_e32 v40, v41, v40
	v_mul_lo_u32 v40, v40, s23
	v_and_b32_e32 v41, 0x8040201, v40
	v_cmp_ne_u16_sdwa s[20:21], v41, v33 src0_sel:BYTE_3 src1_sel:DWORD
	v_cmp_ne_u16_sdwa s[30:31], v41, v33 src0_sel:BYTE_1 src1_sel:DWORD
	v_lshrrev_b32_e32 v42, 18, v40
	v_cndmask_b32_e64 v46, 0, -1, s[30:31]
	v_cndmask_b32_e64 v48, 0, -1, s[20:21]
	v_bfe_i32 v41, v40, 0, 1
	v_lshlrev_b16_e32 v46, 8, v46
	v_bfe_i32 v42, v42, 0, 1
	v_lshlrev_b16_e32 v48, 8, v48
	v_or_b32_sdwa v47, v41, v46 dst_sel:DWORD dst_unused:UNUSED_PAD src0_sel:BYTE_0 src1_sel:DWORD
	v_or_b32_sdwa v49, v42, v48 dst_sel:WORD_1 dst_unused:UNUSED_PAD src0_sel:BYTE_0 src1_sel:DWORD
	v_or_b32_sdwa v47, v47, v49 dst_sel:DWORD dst_unused:UNUSED_PAD src0_sel:WORD_0 src1_sel:DWORD
	v_lshlrev_b16_e32 v41, 8, v41
	v_lshlrev_b16_e32 v42, 8, v42
	s_waitcnt vmcnt(1)
	v_xor_b32_e32 v6, v6, v47
	v_and_b32_e32 v47, 0xffffff00, v6
	v_sub_i16 v46, v47, v46 clamp
	v_lshlrev_b16_e32 v47, 8, v6
	v_sub_i16 v41, v47, v41 clamp
	v_perm_b32 v41, v41, v46, s28
	v_and_b32_sdwa v46, v6, s27 dst_sel:DWORD dst_unused:UNUSED_PAD src0_sel:WORD_1 src1_sel:DWORD
	v_lshlrev_b16_sdwa v6, v38, v6 dst_sel:DWORD dst_unused:UNUSED_PAD src0_sel:DWORD src1_sel:WORD_1
	v_sub_i16 v46, v46, v48 clamp
	v_sub_i16 v6, v6, v42 clamp
	v_perm_b32 v6, v6, v46, s28
	v_lshl_or_b32 v6, v6, 16, v41
	v_and_b32_e32 v41, 0x80402010, v40
	v_cmp_ne_u16_sdwa s[20:21], v41, v33 src0_sel:BYTE_3 src1_sel:DWORD
	v_cmp_ne_u16_sdwa s[30:31], v41, v33 src0_sel:BYTE_1 src1_sel:DWORD
	v_lshrrev_b32_e32 v40, 22, v40
	v_lshrrev_b16_e32 v41, 4, v41
	v_cndmask_b32_e64 v42, 0, -1, s[30:31]
	v_cndmask_b32_e64 v47, 0, -1, s[20:21]
	v_bfe_i32 v41, v41, 0, 1
	v_lshlrev_b16_e32 v42, 8, v42
	v_bfe_i32 v40, v40, 0, 1
	v_lshlrev_b16_e32 v47, 8, v47
	v_or_b32_sdwa v46, v41, v42 dst_sel:DWORD dst_unused:UNUSED_PAD src0_sel:BYTE_0 src1_sel:DWORD
	v_or_b32_sdwa v48, v40, v47 dst_sel:WORD_1 dst_unused:UNUSED_PAD src0_sel:BYTE_0 src1_sel:DWORD
	v_or_b32_sdwa v46, v46, v48 dst_sel:DWORD dst_unused:UNUSED_PAD src0_sel:WORD_0 src1_sel:DWORD
	s_waitcnt vmcnt(0)
	v_xor_b32_e32 v39, v39, v46
	v_and_b32_e32 v46, 0xffffff00, v39
	v_sub_i16 v42, v46, v42 clamp
	v_lshlrev_b16_e32 v46, 8, v39
	v_lshlrev_b16_e32 v41, 8, v41
	v_sub_i16 v41, v46, v41 clamp
	v_perm_b32 v41, v41, v42, s28
	v_and_b32_sdwa v42, v39, s27 dst_sel:DWORD dst_unused:UNUSED_PAD src0_sel:WORD_1 src1_sel:DWORD
	v_lshlrev_b16_sdwa v39, v38, v39 dst_sel:DWORD dst_unused:UNUSED_PAD src0_sel:DWORD src1_sel:WORD_1
	v_lshlrev_b16_e32 v40, 8, v40
	v_sub_i16 v42, v42, v47 clamp
	v_sub_i16 v39, v39, v40 clamp
	v_perm_b32 v39, v39, v42, s28
	v_lshl_or_b32 v39, v39, 16, v41
	v_dot4_i32_i8 v40, v6, v7, 0
	v_dot4_i32_i8 v42, v39, v8, v40
	v_lshlrev_b32_sdwa v40, v37, v43 dst_sel:DWORD dst_unused:UNUSED_PAD src0_sel:DWORD src1_sel:BYTE_2
	global_load_dword v40, v40, s[16:17]
	v_lshlrev_b32_sdwa v41, v37, v43 dst_sel:DWORD dst_unused:UNUSED_PAD src0_sel:DWORD src1_sel:BYTE_3
	global_load_dword v41, v41, s[16:17]
	v_bfe_u32 v43, v45, 7, 8
	v_bcnt_u32_b32 v46, v43, 0
	v_and_b32_e32 v46, 1, v46
	v_lshlrev_b32_e32 v46, 7, v46
	v_xor_b32_e32 v43, v46, v43
	v_mul_lo_u32 v43, v43, s23
	v_and_b32_e32 v46, 0x8040201, v43
	v_cmp_ne_u16_sdwa s[20:21], v46, v33 src0_sel:BYTE_3 src1_sel:DWORD
	v_cmp_ne_u16_sdwa s[30:31], v46, v33 src0_sel:BYTE_1 src1_sel:DWORD
	v_lshrrev_b32_e32 v47, 18, v43
	v_cndmask_b32_e64 v48, 0, -1, s[30:31]
	v_cndmask_b32_e64 v50, 0, -1, s[20:21]
	v_bfe_i32 v46, v43, 0, 1
	v_lshlrev_b16_e32 v48, 8, v48
	v_bfe_i32 v47, v47, 0, 1
	v_lshlrev_b16_e32 v50, 8, v50
	v_or_b32_sdwa v49, v46, v48 dst_sel:DWORD dst_unused:UNUSED_PAD src0_sel:BYTE_0 src1_sel:DWORD
	v_or_b32_sdwa v53, v47, v50 dst_sel:WORD_1 dst_unused:UNUSED_PAD src0_sel:BYTE_0 src1_sel:DWORD
	v_or_b32_sdwa v49, v49, v53 dst_sel:DWORD dst_unused:UNUSED_PAD src0_sel:WORD_0 src1_sel:DWORD
	v_lshlrev_b16_e32 v46, 8, v46
	v_lshlrev_b16_e32 v47, 8, v47
	s_waitcnt vmcnt(1)
	v_xor_b32_e32 v40, v40, v49
	v_and_b32_e32 v49, 0xffffff00, v40
	v_sub_i16 v48, v49, v48 clamp
	v_lshlrev_b16_e32 v49, 8, v40
	v_sub_i16 v46, v49, v46 clamp
	v_perm_b32 v46, v46, v48, s28
	v_and_b32_sdwa v48, v40, s27 dst_sel:DWORD dst_unused:UNUSED_PAD src0_sel:WORD_1 src1_sel:DWORD
	v_lshlrev_b16_sdwa v40, v38, v40 dst_sel:DWORD dst_unused:UNUSED_PAD src0_sel:DWORD src1_sel:WORD_1
	v_sub_i16 v48, v48, v50 clamp
	v_sub_i16 v40, v40, v47 clamp
	v_perm_b32 v40, v40, v48, s28
	v_lshl_or_b32 v40, v40, 16, v46
	v_and_b32_e32 v46, 0x80402010, v43
	v_cmp_ne_u16_sdwa s[20:21], v46, v33 src0_sel:BYTE_3 src1_sel:DWORD
	v_cmp_ne_u16_sdwa s[30:31], v46, v33 src0_sel:BYTE_1 src1_sel:DWORD
	v_lshrrev_b32_e32 v43, 22, v43
	v_lshrrev_b16_e32 v46, 4, v46
	v_cndmask_b32_e64 v47, 0, -1, s[30:31]
	v_cndmask_b32_e64 v49, 0, -1, s[20:21]
	v_bfe_i32 v46, v46, 0, 1
	v_lshlrev_b16_e32 v47, 8, v47
	v_bfe_i32 v43, v43, 0, 1
	v_lshlrev_b16_e32 v49, 8, v49
	v_or_b32_sdwa v48, v46, v47 dst_sel:DWORD dst_unused:UNUSED_PAD src0_sel:BYTE_0 src1_sel:DWORD
	v_or_b32_sdwa v50, v43, v49 dst_sel:WORD_1 dst_unused:UNUSED_PAD src0_sel:BYTE_0 src1_sel:DWORD
	v_or_b32_sdwa v48, v48, v50 dst_sel:DWORD dst_unused:UNUSED_PAD src0_sel:WORD_0 src1_sel:DWORD
	s_waitcnt vmcnt(0)
	v_xor_b32_e32 v41, v41, v48
	v_and_b32_e32 v48, 0xffffff00, v41
	v_sub_i16 v47, v48, v47 clamp
	v_lshlrev_b16_e32 v48, 8, v41
	v_lshlrev_b16_e32 v46, 8, v46
	v_sub_i16 v46, v48, v46 clamp
	v_perm_b32 v46, v46, v47, s28
	v_and_b32_sdwa v47, v41, s27 dst_sel:DWORD dst_unused:UNUSED_PAD src0_sel:WORD_1 src1_sel:DWORD
	v_lshlrev_b16_sdwa v41, v38, v41 dst_sel:DWORD dst_unused:UNUSED_PAD src0_sel:DWORD src1_sel:WORD_1
	v_lshlrev_b16_e32 v43, 8, v43
	v_sub_i16 v47, v47, v49 clamp
	v_sub_i16 v41, v41, v43 clamp
	v_perm_b32 v41, v41, v47, s28
	v_lshl_or_b32 v41, v41, 16, v46
	v_dot4_i32_i8 v42, v40, v9, v42
	v_dot4_i32_i8 v46, v41, v2, v42
	v_lshlrev_b32_sdwa v42, v37, v44 dst_sel:DWORD dst_unused:UNUSED_PAD src0_sel:DWORD src1_sel:BYTE_0
	global_load_dword v42, v42, s[16:17]
	v_lshlrev_b32_sdwa v43, v37, v44 dst_sel:DWORD dst_unused:UNUSED_PAD src0_sel:DWORD src1_sel:BYTE_1
	global_load_dword v43, v43, s[16:17]
	v_bfe_u32 v47, v45, 14, 8
	v_bcnt_u32_b32 v48, v47, 0
	v_and_b32_e32 v48, 1, v48
	v_lshlrev_b32_e32 v48, 7, v48
	v_xor_b32_e32 v47, v48, v47
	v_mul_lo_u32 v47, v47, s23
	v_and_b32_e32 v48, 0x8040201, v47
	v_cmp_ne_u16_sdwa s[20:21], v48, v33 src0_sel:BYTE_3 src1_sel:DWORD
	v_cmp_ne_u16_sdwa s[30:31], v48, v33 src0_sel:BYTE_1 src1_sel:DWORD
	v_lshrrev_b32_e32 v49, 18, v47
	v_cndmask_b32_e64 v50, 0, -1, s[30:31]
	v_cndmask_b32_e64 v54, 0, -1, s[20:21]
	v_bfe_i32 v48, v47, 0, 1
	v_lshlrev_b16_e32 v50, 8, v50
	v_bfe_i32 v49, v49, 0, 1
	v_lshlrev_b16_e32 v54, 8, v54
	v_or_b32_sdwa v53, v48, v50 dst_sel:DWORD dst_unused:UNUSED_PAD src0_sel:BYTE_0 src1_sel:DWORD
	v_or_b32_sdwa v55, v49, v54 dst_sel:WORD_1 dst_unused:UNUSED_PAD src0_sel:BYTE_0 src1_sel:DWORD
	v_or_b32_sdwa v53, v53, v55 dst_sel:DWORD dst_unused:UNUSED_PAD src0_sel:WORD_0 src1_sel:DWORD
	v_lshlrev_b16_e32 v48, 8, v48
	v_lshlrev_b16_e32 v49, 8, v49
	s_waitcnt vmcnt(1)
	v_xor_b32_e32 v42, v42, v53
	v_and_b32_e32 v53, 0xffffff00, v42
	v_sub_i16 v50, v53, v50 clamp
	v_lshlrev_b16_e32 v53, 8, v42
	v_sub_i16 v48, v53, v48 clamp
	v_perm_b32 v48, v48, v50, s28
	v_and_b32_sdwa v50, v42, s27 dst_sel:DWORD dst_unused:UNUSED_PAD src0_sel:WORD_1 src1_sel:DWORD
	v_lshlrev_b16_sdwa v42, v38, v42 dst_sel:DWORD dst_unused:UNUSED_PAD src0_sel:DWORD src1_sel:WORD_1
	v_sub_i16 v50, v50, v54 clamp
	v_sub_i16 v42, v42, v49 clamp
	v_perm_b32 v42, v42, v50, s28
	v_lshl_or_b32 v42, v42, 16, v48
	v_and_b32_e32 v48, 0x80402010, v47
	v_cmp_ne_u16_sdwa s[20:21], v48, v33 src0_sel:BYTE_3 src1_sel:DWORD
	v_cmp_ne_u16_sdwa s[30:31], v48, v33 src0_sel:BYTE_1 src1_sel:DWORD
	v_lshrrev_b32_e32 v47, 22, v47
	v_lshrrev_b16_e32 v48, 4, v48
	v_cndmask_b32_e64 v49, 0, -1, s[30:31]
	v_cndmask_b32_e64 v53, 0, -1, s[20:21]
	v_bfe_i32 v48, v48, 0, 1
	v_lshlrev_b16_e32 v49, 8, v49
	v_bfe_i32 v47, v47, 0, 1
	v_lshlrev_b16_e32 v53, 8, v53
	v_or_b32_sdwa v50, v48, v49 dst_sel:DWORD dst_unused:UNUSED_PAD src0_sel:BYTE_0 src1_sel:DWORD
	v_or_b32_sdwa v54, v47, v53 dst_sel:WORD_1 dst_unused:UNUSED_PAD src0_sel:BYTE_0 src1_sel:DWORD
	v_or_b32_sdwa v50, v50, v54 dst_sel:DWORD dst_unused:UNUSED_PAD src0_sel:WORD_0 src1_sel:DWORD
	s_waitcnt vmcnt(0)
	v_xor_b32_e32 v43, v43, v50
	v_and_b32_e32 v50, 0xffffff00, v43
	v_sub_i16 v49, v50, v49 clamp
	v_lshlrev_b16_e32 v50, 8, v43
	v_lshlrev_b16_e32 v48, 8, v48
	v_sub_i16 v48, v50, v48 clamp
	v_perm_b32 v48, v48, v49, s28
	v_and_b32_sdwa v49, v43, s27 dst_sel:DWORD dst_unused:UNUSED_PAD src0_sel:WORD_1 src1_sel:DWORD
	v_lshlrev_b16_sdwa v43, v38, v43 dst_sel:DWORD dst_unused:UNUSED_PAD src0_sel:DWORD src1_sel:WORD_1
	v_lshlrev_b16_e32 v47, 8, v47
	v_sub_i16 v49, v49, v53 clamp
	v_sub_i16 v43, v43, v47 clamp
	v_perm_b32 v43, v43, v49, s28
	v_lshl_or_b32 v43, v43, 16, v48
	v_dot4_i32_i8 v46, v42, v3, v46
	v_dot4_i32_i8 v47, v43, v4, v46
	v_lshlrev_b32_sdwa v46, v37, v44 dst_sel:DWORD dst_unused:UNUSED_PAD src0_sel:DWORD src1_sel:BYTE_2
	global_load_dword v46, v46, s[16:17]
	v_lshlrev_b32_sdwa v44, v37, v44 dst_sel:DWORD dst_unused:UNUSED_PAD src0_sel:DWORD src1_sel:BYTE_3
	global_load_dword v48, v44, s[16:17]
	v_bfe_u32 v44, v45, 21, 8
	v_bcnt_u32_b32 v49, v44, 0
	v_and_b32_e32 v49, 1, v49
	v_lshlrev_b32_e32 v49, 7, v49
	v_xor_b32_e32 v44, v49, v44
	v_mul_lo_u32 v49, v44, s23
	v_lshrrev_b32_e32 v45, 28, v45
	v_and_b32_e32 v44, 0x8040201, v49
	v_cmp_ne_u16_sdwa s[20:21], v44, v33 src0_sel:BYTE_3 src1_sel:DWORD
	v_cmp_ne_u16_sdwa s[30:31], v44, v33 src0_sel:BYTE_1 src1_sel:DWORD
	v_lshrrev_b32_e32 v50, 18, v49
	v_cndmask_b32_e64 v53, 0, -1, s[30:31]
	v_cndmask_b32_e64 v55, 0, -1, s[20:21]
	v_bfe_i32 v44, v49, 0, 1
	v_lshlrev_b16_e32 v53, 8, v53
	v_bfe_i32 v50, v50, 0, 1
	v_lshlrev_b16_e32 v55, 8, v55
	v_or_b32_sdwa v54, v44, v53 dst_sel:DWORD dst_unused:UNUSED_PAD src0_sel:BYTE_0 src1_sel:DWORD
	v_or_b32_sdwa v56, v50, v55 dst_sel:WORD_1 dst_unused:UNUSED_PAD src0_sel:BYTE_0 src1_sel:DWORD
	v_or_b32_sdwa v54, v54, v56 dst_sel:DWORD dst_unused:UNUSED_PAD src0_sel:WORD_0 src1_sel:DWORD
	v_lshlrev_b16_e32 v44, 8, v44
	v_lshlrev_b16_e32 v50, 8, v50
	s_waitcnt vmcnt(1)
	v_xor_b32_e32 v46, v46, v54
	v_and_b32_e32 v54, 0xffffff00, v46
	v_sub_i16 v53, v54, v53 clamp
	v_lshlrev_b16_e32 v54, 8, v46
	v_sub_i16 v44, v54, v44 clamp
	v_perm_b32 v44, v44, v53, s28
	v_and_b32_sdwa v53, v46, s27 dst_sel:DWORD dst_unused:UNUSED_PAD src0_sel:WORD_1 src1_sel:DWORD
	v_lshlrev_b16_sdwa v46, v38, v46 dst_sel:DWORD dst_unused:UNUSED_PAD src0_sel:DWORD src1_sel:WORD_1
	v_sub_i16 v53, v53, v55 clamp
	v_sub_i16 v46, v46, v50 clamp
	v_perm_b32 v46, v46, v53, s28
	v_lshl_or_b32 v44, v46, 16, v44
	v_and_b32_e32 v46, 0x80402010, v49
	v_cmp_ne_u16_sdwa s[20:21], v46, v33 src0_sel:BYTE_3 src1_sel:DWORD
	v_cmp_ne_u16_sdwa s[30:31], v46, v33 src0_sel:BYTE_1 src1_sel:DWORD
	v_lshrrev_b32_e32 v49, 22, v49
	v_lshrrev_b16_e32 v46, 4, v46
	v_cndmask_b32_e64 v50, 0, -1, s[30:31]
	v_cndmask_b32_e64 v54, 0, -1, s[20:21]
	v_bfe_i32 v46, v46, 0, 1
	v_lshlrev_b16_e32 v50, 8, v50
	v_bfe_i32 v49, v49, 0, 1
	v_lshlrev_b16_e32 v54, 8, v54
	v_or_b32_sdwa v53, v46, v50 dst_sel:DWORD dst_unused:UNUSED_PAD src0_sel:BYTE_0 src1_sel:DWORD
	v_or_b32_sdwa v55, v49, v54 dst_sel:WORD_1 dst_unused:UNUSED_PAD src0_sel:BYTE_0 src1_sel:DWORD
	v_or_b32_sdwa v53, v53, v55 dst_sel:DWORD dst_unused:UNUSED_PAD src0_sel:WORD_0 src1_sel:DWORD
	s_waitcnt vmcnt(0)
	v_xor_b32_e32 v48, v48, v53
	v_and_b32_e32 v53, 0xffffff00, v48
	v_sub_i16 v50, v53, v50 clamp
	v_lshlrev_b16_e32 v53, 8, v48
	v_lshlrev_b16_e32 v46, 8, v46
	v_sub_i16 v46, v53, v46 clamp
	v_perm_b32 v46, v46, v50, s28
	v_and_b32_sdwa v50, v48, s27 dst_sel:DWORD dst_unused:UNUSED_PAD src0_sel:WORD_1 src1_sel:DWORD
	v_lshlrev_b16_sdwa v48, v38, v48 dst_sel:DWORD dst_unused:UNUSED_PAD src0_sel:DWORD src1_sel:WORD_1
	v_lshlrev_b16_e32 v49, 8, v49
	v_sub_i16 v50, v50, v54 clamp
	v_sub_i16 v48, v48, v49 clamp
	v_perm_b32 v48, v48, v50, s28
	v_lshl_or_b32 v46, v48, 16, v46
	v_dot4_i32_i8 v47, v44, v5, v47
	v_dot4_i32_i8 v48, v46, v52, v47
	v_lshrrev_b32_e32 v47, 31, v48
	v_add_u32_e32 v47, v48, v47
	v_ashrrev_i32_e32 v47, 1, v47
	v_mad_u64_u32 v[47:48], s[20:21], v48, v45, v[47:48]
	v_lshrrev_b32_e32 v48, 31, v47
	v_add_u32_e32 v47, v47, v48
	v_ashrrev_i32_e32 v48, 1, v47
	v_cvt_f32_f16_e32 v47, v16
	v_cvt_f32_i32_e32 v17, v48
	v_mul_f32_e32 v16, v47, v51
	v_fmac_f32_e32 v31, v16, v17
	v_add_u32_e32 v16, s0, v32
	v_mad_i64_i32 v[16:17], s[20:21], v16, s22, v[14:15]
	v_add_u32_e32 v32, 8, v32
	v_add_co_u32_e32 v48, vcc, v16, v35
	v_addc_co_u32_e32 v49, vcc, 0, v17, vcc
	global_load_dwordx2 v[53:54], v[48:49], off offset:2
	v_add_co_u32_e32 v48, vcc, v16, v36
	v_addc_co_u32_e32 v49, vcc, 0, v17, vcc
	global_load_dword v55, v[48:49], off offset:66
	v_add_co_u32_e32 v12, vcc, 0x900, v12
	v_addc_co_u32_e32 v13, vcc, 0, v13, vcc
	v_cmp_le_u32_e32 vcc, s9, v32
	s_or_b64 s[12:13], vcc, s[12:13]
	s_waitcnt vmcnt(1)
	v_lshlrev_b32_sdwa v48, v37, v53 dst_sel:DWORD dst_unused:UNUSED_PAD src0_sel:DWORD src1_sel:BYTE_0
	global_load_dword v48, v48, s[16:17]
	v_lshlrev_b32_sdwa v49, v37, v53 dst_sel:DWORD dst_unused:UNUSED_PAD src0_sel:DWORD src1_sel:BYTE_1
	global_load_dword v49, v49, s[16:17]
	s_waitcnt vmcnt(2)
	v_and_b32_e32 v50, 0xff, v55
	v_bcnt_u32_b32 v56, v50, 0
	v_and_b32_e32 v56, 1, v56
	v_lshlrev_b32_e32 v56, 7, v56
	v_xor_b32_e32 v50, v56, v50
	v_mul_lo_u32 v50, v50, s23
	v_and_b32_e32 v56, 0x8040201, v50
	v_cmp_ne_u16_sdwa s[20:21], v56, v33 src0_sel:BYTE_3 src1_sel:DWORD
	v_cmp_ne_u16_sdwa s[30:31], v56, v33 src0_sel:BYTE_1 src1_sel:DWORD
	v_lshrrev_b32_e32 v57, 18, v50
	v_cndmask_b32_e64 v58, 0, -1, s[30:31]
	v_cndmask_b32_e64 v60, 0, -1, s[20:21]
	v_bfe_i32 v56, v50, 0, 1
	v_lshlrev_b16_e32 v58, 8, v58
	v_bfe_i32 v57, v57, 0, 1
	v_lshlrev_b16_e32 v60, 8, v60
	v_or_b32_sdwa v59, v56, v58 dst_sel:DWORD dst_unused:UNUSED_PAD src0_sel:BYTE_0 src1_sel:DWORD
	v_or_b32_sdwa v61, v57, v60 dst_sel:WORD_1 dst_unused:UNUSED_PAD src0_sel:BYTE_0 src1_sel:DWORD
	v_or_b32_sdwa v59, v59, v61 dst_sel:DWORD dst_unused:UNUSED_PAD src0_sel:WORD_0 src1_sel:DWORD
	v_lshlrev_b16_e32 v56, 8, v56
	v_lshlrev_b16_e32 v57, 8, v57
	s_waitcnt vmcnt(1)
	v_xor_b32_e32 v48, v48, v59
	v_and_b32_e32 v59, 0xffffff00, v48
	v_sub_i16 v58, v59, v58 clamp
	v_lshlrev_b16_e32 v59, 8, v48
	v_sub_i16 v56, v59, v56 clamp
	v_perm_b32 v56, v56, v58, s28
	v_and_b32_sdwa v58, v48, s27 dst_sel:DWORD dst_unused:UNUSED_PAD src0_sel:WORD_1 src1_sel:DWORD
	v_lshlrev_b16_sdwa v48, v38, v48 dst_sel:DWORD dst_unused:UNUSED_PAD src0_sel:DWORD src1_sel:WORD_1
	v_sub_i16 v58, v58, v60 clamp
	v_sub_i16 v48, v48, v57 clamp
	v_perm_b32 v48, v48, v58, s28
	v_lshl_or_b32 v48, v48, 16, v56
	v_and_b32_e32 v56, 0x80402010, v50
	v_cmp_ne_u16_sdwa s[20:21], v56, v33 src0_sel:BYTE_3 src1_sel:DWORD
	v_cmp_ne_u16_sdwa s[30:31], v56, v33 src0_sel:BYTE_1 src1_sel:DWORD
	v_lshrrev_b32_e32 v50, 22, v50
	v_lshrrev_b16_e32 v56, 4, v56
	v_cndmask_b32_e64 v57, 0, -1, s[30:31]
	v_cndmask_b32_e64 v59, 0, -1, s[20:21]
	v_bfe_i32 v56, v56, 0, 1
	v_lshlrev_b16_e32 v57, 8, v57
	v_bfe_i32 v50, v50, 0, 1
	v_lshlrev_b16_e32 v59, 8, v59
	v_or_b32_sdwa v58, v56, v57 dst_sel:DWORD dst_unused:UNUSED_PAD src0_sel:BYTE_0 src1_sel:DWORD
	v_or_b32_sdwa v60, v50, v59 dst_sel:WORD_1 dst_unused:UNUSED_PAD src0_sel:BYTE_0 src1_sel:DWORD
	v_or_b32_sdwa v58, v58, v60 dst_sel:DWORD dst_unused:UNUSED_PAD src0_sel:WORD_0 src1_sel:DWORD
	s_waitcnt vmcnt(0)
	v_xor_b32_e32 v49, v49, v58
	v_and_b32_e32 v58, 0xffffff00, v49
	v_sub_i16 v57, v58, v57 clamp
	v_lshlrev_b16_e32 v58, 8, v49
	v_lshlrev_b16_e32 v56, 8, v56
	v_sub_i16 v56, v58, v56 clamp
	v_perm_b32 v56, v56, v57, s28
	v_and_b32_sdwa v57, v49, s27 dst_sel:DWORD dst_unused:UNUSED_PAD src0_sel:WORD_1 src1_sel:DWORD
	v_lshlrev_b16_sdwa v49, v38, v49 dst_sel:DWORD dst_unused:UNUSED_PAD src0_sel:DWORD src1_sel:WORD_1
	v_lshlrev_b16_e32 v50, 8, v50
	v_sub_i16 v57, v57, v59 clamp
	v_sub_i16 v49, v49, v50 clamp
	v_perm_b32 v49, v49, v57, s28
	v_lshl_or_b32 v49, v49, 16, v56
	v_dot4_i32_i8 v7, v48, v7, 0
	v_dot4_i32_i8 v50, v49, v8, v7
	v_lshlrev_b32_sdwa v7, v37, v53 dst_sel:DWORD dst_unused:UNUSED_PAD src0_sel:DWORD src1_sel:BYTE_2
	global_load_dword v7, v7, s[16:17]
	v_lshlrev_b32_sdwa v8, v37, v53 dst_sel:DWORD dst_unused:UNUSED_PAD src0_sel:DWORD src1_sel:BYTE_3
	global_load_dword v8, v8, s[16:17]
	v_bfe_u32 v53, v55, 7, 8
	v_bcnt_u32_b32 v56, v53, 0
	v_and_b32_e32 v56, 1, v56
	v_lshlrev_b32_e32 v56, 7, v56
	v_xor_b32_e32 v53, v56, v53
	v_mul_lo_u32 v53, v53, s23
	v_and_b32_e32 v56, 0x8040201, v53
	v_cmp_ne_u16_sdwa s[20:21], v56, v33 src0_sel:BYTE_3 src1_sel:DWORD
	v_cmp_ne_u16_sdwa s[30:31], v56, v33 src0_sel:BYTE_1 src1_sel:DWORD
	v_lshrrev_b32_e32 v57, 18, v53
	v_cndmask_b32_e64 v58, 0, -1, s[30:31]
	v_cndmask_b32_e64 v60, 0, -1, s[20:21]
	v_bfe_i32 v56, v53, 0, 1
	v_lshlrev_b16_e32 v58, 8, v58
	v_bfe_i32 v57, v57, 0, 1
	v_lshlrev_b16_e32 v60, 8, v60
	v_or_b32_sdwa v59, v56, v58 dst_sel:DWORD dst_unused:UNUSED_PAD src0_sel:BYTE_0 src1_sel:DWORD
	v_or_b32_sdwa v61, v57, v60 dst_sel:WORD_1 dst_unused:UNUSED_PAD src0_sel:BYTE_0 src1_sel:DWORD
	v_or_b32_sdwa v59, v59, v61 dst_sel:DWORD dst_unused:UNUSED_PAD src0_sel:WORD_0 src1_sel:DWORD
	v_lshlrev_b16_e32 v56, 8, v56
	v_lshlrev_b16_e32 v57, 8, v57
	s_waitcnt vmcnt(1)
	v_xor_b32_e32 v7, v7, v59
	v_and_b32_e32 v59, 0xffffff00, v7
	v_sub_i16 v58, v59, v58 clamp
	v_lshlrev_b16_e32 v59, 8, v7
	v_sub_i16 v56, v59, v56 clamp
	v_perm_b32 v56, v56, v58, s28
	v_and_b32_sdwa v58, v7, s27 dst_sel:DWORD dst_unused:UNUSED_PAD src0_sel:WORD_1 src1_sel:DWORD
	v_lshlrev_b16_sdwa v7, v38, v7 dst_sel:DWORD dst_unused:UNUSED_PAD src0_sel:DWORD src1_sel:WORD_1
	v_sub_i16 v58, v58, v60 clamp
	v_sub_i16 v7, v7, v57 clamp
	v_perm_b32 v7, v7, v58, s28
	v_lshl_or_b32 v7, v7, 16, v56
	v_and_b32_e32 v56, 0x80402010, v53
	v_cmp_ne_u16_sdwa s[20:21], v56, v33 src0_sel:BYTE_3 src1_sel:DWORD
	v_cmp_ne_u16_sdwa s[30:31], v56, v33 src0_sel:BYTE_1 src1_sel:DWORD
	v_lshrrev_b32_e32 v53, 22, v53
	v_lshrrev_b16_e32 v56, 4, v56
	v_cndmask_b32_e64 v57, 0, -1, s[30:31]
	v_cndmask_b32_e64 v59, 0, -1, s[20:21]
	v_bfe_i32 v56, v56, 0, 1
	v_lshlrev_b16_e32 v57, 8, v57
	v_bfe_i32 v53, v53, 0, 1
	v_lshlrev_b16_e32 v59, 8, v59
	v_or_b32_sdwa v58, v56, v57 dst_sel:DWORD dst_unused:UNUSED_PAD src0_sel:BYTE_0 src1_sel:DWORD
	v_or_b32_sdwa v60, v53, v59 dst_sel:WORD_1 dst_unused:UNUSED_PAD src0_sel:BYTE_0 src1_sel:DWORD
	v_or_b32_sdwa v58, v58, v60 dst_sel:DWORD dst_unused:UNUSED_PAD src0_sel:WORD_0 src1_sel:DWORD
	s_waitcnt vmcnt(0)
	v_xor_b32_e32 v8, v8, v58
	v_and_b32_e32 v58, 0xffffff00, v8
	v_sub_i16 v57, v58, v57 clamp
	v_lshlrev_b16_e32 v58, 8, v8
	v_lshlrev_b16_e32 v56, 8, v56
	v_sub_i16 v56, v58, v56 clamp
	v_perm_b32 v56, v56, v57, s28
	v_and_b32_sdwa v57, v8, s27 dst_sel:DWORD dst_unused:UNUSED_PAD src0_sel:WORD_1 src1_sel:DWORD
	v_lshlrev_b16_sdwa v8, v38, v8 dst_sel:DWORD dst_unused:UNUSED_PAD src0_sel:DWORD src1_sel:WORD_1
	v_lshlrev_b16_e32 v53, 8, v53
	v_sub_i16 v57, v57, v59 clamp
	v_sub_i16 v8, v8, v53 clamp
	v_perm_b32 v8, v8, v57, s28
	v_lshl_or_b32 v8, v8, 16, v56
	v_dot4_i32_i8 v9, v7, v9, v50
	v_dot4_i32_i8 v2, v8, v2, v9
	v_lshlrev_b32_sdwa v9, v37, v54 dst_sel:DWORD dst_unused:UNUSED_PAD src0_sel:DWORD src1_sel:BYTE_0
	global_load_dword v9, v9, s[16:17]
	v_lshlrev_b32_sdwa v50, v37, v54 dst_sel:DWORD dst_unused:UNUSED_PAD src0_sel:DWORD src1_sel:BYTE_1
	global_load_dword v50, v50, s[16:17]
	v_bfe_u32 v53, v55, 14, 8
	v_bcnt_u32_b32 v56, v53, 0
	v_and_b32_e32 v56, 1, v56
	v_lshlrev_b32_e32 v56, 7, v56
	v_xor_b32_e32 v53, v56, v53
	v_mul_lo_u32 v53, v53, s23
	v_and_b32_e32 v56, 0x8040201, v53
	v_cmp_ne_u16_sdwa s[20:21], v56, v33 src0_sel:BYTE_3 src1_sel:DWORD
	v_cmp_ne_u16_sdwa s[30:31], v56, v33 src0_sel:BYTE_1 src1_sel:DWORD
	v_lshrrev_b32_e32 v57, 18, v53
	v_cndmask_b32_e64 v58, 0, -1, s[30:31]
	v_cndmask_b32_e64 v60, 0, -1, s[20:21]
	v_bfe_i32 v56, v53, 0, 1
	v_lshlrev_b16_e32 v58, 8, v58
	v_bfe_i32 v57, v57, 0, 1
	v_lshlrev_b16_e32 v60, 8, v60
	v_or_b32_sdwa v59, v56, v58 dst_sel:DWORD dst_unused:UNUSED_PAD src0_sel:BYTE_0 src1_sel:DWORD
	v_or_b32_sdwa v61, v57, v60 dst_sel:WORD_1 dst_unused:UNUSED_PAD src0_sel:BYTE_0 src1_sel:DWORD
	v_or_b32_sdwa v59, v59, v61 dst_sel:DWORD dst_unused:UNUSED_PAD src0_sel:WORD_0 src1_sel:DWORD
	v_lshlrev_b16_e32 v56, 8, v56
	v_lshlrev_b16_e32 v57, 8, v57
	s_waitcnt vmcnt(1)
	v_xor_b32_e32 v9, v9, v59
	v_and_b32_e32 v59, 0xffffff00, v9
	v_sub_i16 v58, v59, v58 clamp
	v_lshlrev_b16_e32 v59, 8, v9
	v_sub_i16 v56, v59, v56 clamp
	v_perm_b32 v56, v56, v58, s28
	v_and_b32_sdwa v58, v9, s27 dst_sel:DWORD dst_unused:UNUSED_PAD src0_sel:WORD_1 src1_sel:DWORD
	v_lshlrev_b16_sdwa v9, v38, v9 dst_sel:DWORD dst_unused:UNUSED_PAD src0_sel:DWORD src1_sel:WORD_1
	v_sub_i16 v58, v58, v60 clamp
	v_sub_i16 v9, v9, v57 clamp
	v_perm_b32 v9, v9, v58, s28
	v_lshl_or_b32 v9, v9, 16, v56
	v_and_b32_e32 v56, 0x80402010, v53
	v_cmp_ne_u16_sdwa s[20:21], v56, v33 src0_sel:BYTE_3 src1_sel:DWORD
	v_cmp_ne_u16_sdwa s[30:31], v56, v33 src0_sel:BYTE_1 src1_sel:DWORD
	v_dot4_i32_i8 v2, v9, v3, v2
	v_lshlrev_b32_sdwa v3, v37, v54 dst_sel:DWORD dst_unused:UNUSED_PAD src0_sel:DWORD src1_sel:BYTE_2
	v_lshrrev_b32_e32 v53, 22, v53
	v_lshrrev_b16_e32 v56, 4, v56
	v_cndmask_b32_e64 v57, 0, -1, s[30:31]
	v_cndmask_b32_e64 v59, 0, -1, s[20:21]
	global_load_dword v3, v3, s[16:17]
	v_bfe_i32 v56, v56, 0, 1
	v_lshlrev_b16_e32 v57, 8, v57
	v_bfe_i32 v53, v53, 0, 1
	v_lshlrev_b16_e32 v59, 8, v59
	v_or_b32_sdwa v58, v56, v57 dst_sel:DWORD dst_unused:UNUSED_PAD src0_sel:BYTE_0 src1_sel:DWORD
	v_or_b32_sdwa v60, v53, v59 dst_sel:WORD_1 dst_unused:UNUSED_PAD src0_sel:BYTE_0 src1_sel:DWORD
	v_or_b32_sdwa v58, v58, v60 dst_sel:DWORD dst_unused:UNUSED_PAD src0_sel:WORD_0 src1_sel:DWORD
	s_waitcnt vmcnt(1)
	v_xor_b32_e32 v50, v50, v58
	v_and_b32_e32 v58, 0xffffff00, v50
	v_sub_i16 v57, v58, v57 clamp
	v_lshlrev_b16_e32 v58, 8, v50
	v_lshlrev_b16_e32 v56, 8, v56
	v_sub_i16 v56, v58, v56 clamp
	v_perm_b32 v56, v56, v57, s28
	v_and_b32_sdwa v57, v50, s27 dst_sel:DWORD dst_unused:UNUSED_PAD src0_sel:WORD_1 src1_sel:DWORD
	v_lshlrev_b16_sdwa v50, v38, v50 dst_sel:DWORD dst_unused:UNUSED_PAD src0_sel:DWORD src1_sel:WORD_1
	v_lshlrev_b16_e32 v53, 8, v53
	v_sub_i16 v57, v57, v59 clamp
	v_sub_i16 v50, v50, v53 clamp
	v_perm_b32 v50, v50, v57, s28
	v_lshl_or_b32 v50, v50, 16, v56
	v_dot4_i32_i8 v2, v50, v4, v2
	v_lshlrev_b32_sdwa v4, v37, v54 dst_sel:DWORD dst_unused:UNUSED_PAD src0_sel:DWORD src1_sel:BYTE_3
	global_load_dword v53, v4, s[16:17]
	v_bfe_u32 v4, v55, 21, 8
	v_bcnt_u32_b32 v54, v4, 0
	v_and_b32_e32 v54, 1, v54
	v_lshlrev_b32_e32 v54, 7, v54
	v_xor_b32_e32 v4, v54, v4
	v_mul_lo_u32 v54, v4, s23
	v_and_b32_e32 v4, 0x8040201, v54
	v_cmp_ne_u16_sdwa s[16:17], v4, v33 src0_sel:BYTE_3 src1_sel:DWORD
	v_cmp_ne_u16_sdwa s[20:21], v4, v33 src0_sel:BYTE_1 src1_sel:DWORD
	v_lshrrev_b32_e32 v56, 18, v54
	v_cndmask_b32_e64 v57, 0, -1, s[20:21]
	v_cndmask_b32_e64 v59, 0, -1, s[16:17]
	v_bfe_i32 v4, v54, 0, 1
	v_lshlrev_b16_e32 v57, 8, v57
	v_bfe_i32 v56, v56, 0, 1
	v_lshlrev_b16_e32 v59, 8, v59
	v_or_b32_sdwa v58, v4, v57 dst_sel:DWORD dst_unused:UNUSED_PAD src0_sel:BYTE_0 src1_sel:DWORD
	v_or_b32_sdwa v60, v56, v59 dst_sel:WORD_1 dst_unused:UNUSED_PAD src0_sel:BYTE_0 src1_sel:DWORD
	v_or_b32_sdwa v58, v58, v60 dst_sel:DWORD dst_unused:UNUSED_PAD src0_sel:WORD_0 src1_sel:DWORD
	v_lshlrev_b16_e32 v4, 8, v4
	v_lshlrev_b16_e32 v56, 8, v56
	s_waitcnt vmcnt(1)
	v_xor_b32_e32 v3, v3, v58
	v_and_b32_e32 v58, 0xffffff00, v3
	v_sub_i16 v57, v58, v57 clamp
	v_lshlrev_b16_e32 v58, 8, v3
	v_sub_i16 v4, v58, v4 clamp
	v_perm_b32 v4, v4, v57, s28
	v_and_b32_sdwa v57, v3, s27 dst_sel:DWORD dst_unused:UNUSED_PAD src0_sel:WORD_1 src1_sel:DWORD
	v_lshlrev_b16_sdwa v3, v38, v3 dst_sel:DWORD dst_unused:UNUSED_PAD src0_sel:DWORD src1_sel:WORD_1
	v_sub_i16 v57, v57, v59 clamp
	v_sub_i16 v3, v3, v56 clamp
	v_perm_b32 v3, v3, v57, s28
	v_lshl_or_b32 v4, v3, 16, v4
	v_and_b32_e32 v3, 0x80402010, v54
	v_cmp_ne_u16_sdwa s[16:17], v3, v33 src0_sel:BYTE_3 src1_sel:DWORD
	v_cmp_ne_u16_sdwa s[20:21], v3, v33 src0_sel:BYTE_1 src1_sel:DWORD
	v_lshrrev_b32_e32 v54, 22, v54
	v_lshrrev_b16_e32 v3, 4, v3
	v_cndmask_b32_e64 v56, 0, -1, s[20:21]
	v_cndmask_b32_e64 v58, 0, -1, s[16:17]
	v_bfe_i32 v3, v3, 0, 1
	v_lshlrev_b16_e32 v56, 8, v56
	v_bfe_i32 v54, v54, 0, 1
	v_lshlrev_b16_e32 v58, 8, v58
	v_or_b32_sdwa v57, v3, v56 dst_sel:DWORD dst_unused:UNUSED_PAD src0_sel:BYTE_0 src1_sel:DWORD
	v_or_b32_sdwa v59, v54, v58 dst_sel:WORD_1 dst_unused:UNUSED_PAD src0_sel:BYTE_0 src1_sel:DWORD
	v_or_b32_sdwa v57, v57, v59 dst_sel:DWORD dst_unused:UNUSED_PAD src0_sel:WORD_0 src1_sel:DWORD
	s_waitcnt vmcnt(0)
	v_xor_b32_e32 v53, v53, v57
	v_and_b32_e32 v57, 0xffffff00, v53
	v_sub_i16 v56, v57, v56 clamp
	v_lshlrev_b16_e32 v57, 8, v53
	v_lshlrev_b16_e32 v3, 8, v3
	v_sub_i16 v3, v57, v3 clamp
	v_perm_b32 v3, v3, v56, s28
	v_and_b32_sdwa v56, v53, s27 dst_sel:DWORD dst_unused:UNUSED_PAD src0_sel:WORD_1 src1_sel:DWORD
	v_lshlrev_b16_sdwa v53, v38, v53 dst_sel:DWORD dst_unused:UNUSED_PAD src0_sel:DWORD src1_sel:WORD_1
	v_lshlrev_b16_e32 v54, 8, v54
	v_sub_i16 v56, v56, v58 clamp
	v_sub_i16 v53, v53, v54 clamp
	v_perm_b32 v53, v53, v56, s28
	v_lshl_or_b32 v3, v53, 16, v3
	v_dot4_i32_i8 v2, v4, v5, v2
	v_dot4_i32_i8 v52, v3, v52, v2
	v_lshrrev_b32_e32 v5, 31, v52
	v_add_u32_e32 v5, v52, v5
	v_lshrrev_b32_e32 v2, 28, v55
	v_ashrrev_i32_e32 v5, 1, v5
	v_mad_u64_u32 v[52:53], s[16:17], v52, v2, v[5:6]
	v_lshrrev_b32_e32 v5, 31, v52
	v_add_u32_e32 v5, v52, v5
	v_ashrrev_i32_e32 v52, 1, v5
	global_load_ushort v5, v[16:17], off
	v_cvt_f32_i32_e32 v17, v52
	s_waitcnt vmcnt(0)
	v_cvt_f32_f16_e32 v5, v5
	v_mul_f32_e32 v16, v5, v51
	v_fmac_f32_e32 v30, v16, v17
	v_add_u32_e32 v16, s1, v34
	v_mad_u64_u32 v[16:17], s[16:17], v16, 36, v[10:11]
	global_load_dword v59, v[16:17], off offset:32
	global_load_dwordx4 v[51:54], v[16:17], off offset:16
	global_load_dwordx4 v[55:58], v[16:17], off
	s_waitcnt vmcnt(0)
	v_dot4_i32_i8 v16, v6, v56, 0
	v_dot4_i32_i8 v16, v39, v57, v16
	v_dot4_i32_i8 v16, v40, v58, v16
	v_dot4_i32_i8 v16, v41, v51, v16
	v_dot4_i32_i8 v16, v42, v52, v16
	v_dot4_i32_i8 v16, v43, v53, v16
	v_dot4_i32_i8 v16, v44, v54, v16
	v_dot4_i32_i8 v17, v46, v59, v16
	v_lshrrev_b32_e32 v16, 31, v17
	v_add_u32_e32 v16, v17, v16
	v_ashrrev_i32_e32 v16, 1, v16
	v_mad_u64_u32 v[16:17], s[16:17], v17, v45, v[16:17]
	v_cvt_f32_f16_e32 v55, v55
	v_lshrrev_b32_e32 v17, 31, v16
	v_add_u32_e32 v16, v16, v17
	v_ashrrev_i32_e32 v16, 1, v16
	v_cvt_f32_i32_e32 v16, v16
	v_mul_f32_e32 v17, v47, v55
	v_fmac_f32_e32 v29, v17, v16
	v_dot4_i32_i8 v16, v48, v56, 0
	v_dot4_i32_i8 v16, v49, v57, v16
	v_dot4_i32_i8 v16, v7, v58, v16
	v_dot4_i32_i8 v16, v8, v51, v16
	v_dot4_i32_i8 v16, v9, v52, v16
	v_dot4_i32_i8 v16, v50, v53, v16
	v_dot4_i32_i8 v16, v4, v54, v16
	v_dot4_i32_i8 v17, v3, v59, v16
	v_lshrrev_b32_e32 v16, 31, v17
	v_add_u32_e32 v16, v17, v16
	v_ashrrev_i32_e32 v16, 1, v16
	v_mad_u64_u32 v[16:17], s[16:17], v17, v2, v[16:17]
	v_lshrrev_b32_e32 v17, 31, v16
	v_add_u32_e32 v16, v16, v17
	v_ashrrev_i32_e32 v16, 1, v16
	v_cvt_f32_i32_e32 v16, v16
	v_mul_f32_e32 v17, v5, v55
	v_fmac_f32_e32 v28, v17, v16
	v_add_u32_e32 v16, s3, v34
	v_mad_u64_u32 v[16:17], s[16:17], v16, 36, v[10:11]
	global_load_dword v59, v[16:17], off offset:32
	global_load_dwordx4 v[51:54], v[16:17], off offset:16
	global_load_dwordx4 v[55:58], v[16:17], off
	s_waitcnt vmcnt(0)
	v_dot4_i32_i8 v16, v6, v56, 0
	v_dot4_i32_i8 v16, v39, v57, v16
	v_dot4_i32_i8 v16, v40, v58, v16
	v_dot4_i32_i8 v16, v41, v51, v16
	v_dot4_i32_i8 v16, v42, v52, v16
	v_dot4_i32_i8 v16, v43, v53, v16
	v_dot4_i32_i8 v16, v44, v54, v16
	v_dot4_i32_i8 v17, v46, v59, v16
	v_lshrrev_b32_e32 v16, 31, v17
	v_add_u32_e32 v16, v17, v16
	v_ashrrev_i32_e32 v16, 1, v16
	v_mad_u64_u32 v[16:17], s[16:17], v17, v45, v[16:17]
	v_cvt_f32_f16_e32 v55, v55
	v_lshrrev_b32_e32 v17, 31, v16
	v_add_u32_e32 v16, v16, v17
	v_ashrrev_i32_e32 v16, 1, v16
	v_cvt_f32_i32_e32 v16, v16
	v_mul_f32_e32 v17, v47, v55
	v_fmac_f32_e32 v27, v17, v16
	v_dot4_i32_i8 v16, v48, v56, 0
	v_dot4_i32_i8 v16, v49, v57, v16
	v_dot4_i32_i8 v16, v7, v58, v16
	v_dot4_i32_i8 v16, v8, v51, v16
	v_dot4_i32_i8 v16, v9, v52, v16
	v_dot4_i32_i8 v16, v50, v53, v16
	v_dot4_i32_i8 v16, v4, v54, v16
	v_dot4_i32_i8 v17, v3, v59, v16
	v_lshrrev_b32_e32 v16, 31, v17
	v_add_u32_e32 v16, v17, v16
	v_ashrrev_i32_e32 v16, 1, v16
	v_mad_u64_u32 v[16:17], s[16:17], v17, v2, v[16:17]
	v_lshrrev_b32_e32 v17, 31, v16
	v_add_u32_e32 v16, v16, v17
	v_ashrrev_i32_e32 v16, 1, v16
	v_cvt_f32_i32_e32 v16, v16
	;; [unrolled: 43-line block ×5, first 2 shown]
	v_mul_f32_e32 v17, v5, v55
	v_fmac_f32_e32 v20, v17, v16
	v_add_u32_e32 v16, s25, v34
	v_mad_u64_u32 v[16:17], s[16:17], v16, 36, v[10:11]
	global_load_dword v59, v[16:17], off offset:32
	global_load_dwordx4 v[51:54], v[16:17], off offset:16
	global_load_dwordx4 v[55:58], v[16:17], off
	v_add_u32_e32 v34, 64, v34
	s_waitcnt vmcnt(0)
	v_dot4_i32_i8 v6, v6, v56, 0
	v_dot4_i32_i8 v6, v39, v57, v6
	;; [unrolled: 1-line block ×8, first 2 shown]
	v_lshrrev_b32_e32 v6, 31, v17
	v_add_u32_e32 v6, v17, v6
	v_ashrrev_i32_e32 v6, 1, v6
	v_mad_u64_u32 v[39:40], s[16:17], v17, v45, v[6:7]
	v_cvt_f32_f16_e32 v16, v55
	v_lshrrev_b32_e32 v6, 31, v39
	v_add_u32_e32 v6, v39, v6
	v_ashrrev_i32_e32 v6, 1, v6
	v_cvt_f32_i32_e32 v6, v6
	v_mul_f32_e32 v17, v47, v16
	v_fmac_f32_e32 v19, v17, v6
	v_dot4_i32_i8 v6, v48, v56, 0
	v_dot4_i32_i8 v6, v49, v57, v6
	;; [unrolled: 1-line block ×8, first 2 shown]
	v_lshrrev_b32_e32 v3, 31, v4
	v_add_u32_e32 v3, v4, v3
	v_ashrrev_i32_e32 v3, 1, v3
	v_mad_u64_u32 v[2:3], s[16:17], v4, v2, v[3:4]
	v_lshrrev_b32_e32 v3, 31, v2
	v_add_u32_e32 v2, v2, v3
	v_ashrrev_i32_e32 v2, 1, v2
	v_cvt_f32_i32_e32 v2, v2
	v_mul_f32_e32 v3, v5, v16
	v_fmac_f32_e32 v18, v3, v2
	s_andn2_b64 exec, exec, s[12:13]
	s_cbranch_execnz .LBB202_2
; %bb.3:
	s_or_b64 exec, exec, s[12:13]
.LBB202_4:
	s_or_b64 exec, exec, s[10:11]
	s_mov_b32 s1, 0
	v_cmp_eq_u32_e32 vcc, 0, v1
	; wave barrier
	s_and_saveexec_b64 s[10:11], vcc
	s_cbranch_execz .LBB202_19
; %bb.5:
	v_mbcnt_lo_u32_b32 v1, -1, 0
	v_mbcnt_hi_u32_b32 v6, -1, v1
	v_and_b32_e32 v1, 64, v6
	v_add_u32_e32 v7, 64, v1
	v_xor_b32_e32 v1, 32, v6
	v_cmp_lt_i32_e32 vcc, v1, v7
	v_cndmask_b32_e32 v1, v6, v1, vcc
	v_lshlrev_b32_e32 v1, 2, v1
	ds_bpermute_b32 v5, v1, v31
	ds_bpermute_b32 v8, v1, v30
	v_xor_b32_e32 v2, 16, v6
	v_cmp_lt_i32_e32 vcc, v2, v7
	v_cndmask_b32_e32 v2, v6, v2, vcc
	v_lshlrev_b32_e32 v2, 2, v2
	s_waitcnt lgkmcnt(1)
	v_add_f32_e32 v5, v31, v5
	s_waitcnt lgkmcnt(0)
	v_add_f32_e32 v8, v30, v8
	ds_bpermute_b32 v10, v2, v5
	ds_bpermute_b32 v11, v2, v8
	v_xor_b32_e32 v3, 8, v6
	v_cmp_lt_i32_e32 vcc, v3, v7
	v_cndmask_b32_e32 v3, v6, v3, vcc
	v_lshlrev_b32_e32 v3, 2, v3
	s_waitcnt lgkmcnt(1)
	v_add_f32_e32 v10, v5, v10
	s_waitcnt lgkmcnt(0)
	v_add_f32_e32 v8, v8, v11
	;; [unrolled: 10-line block ×3, first 2 shown]
	ds_bpermute_b32 v12, v4, v10
	ds_bpermute_b32 v11, v4, v8
	v_xor_b32_e32 v9, 2, v6
	v_cmp_lt_i32_e32 vcc, v9, v7
	v_cndmask_b32_e32 v9, v6, v9, vcc
	v_lshlrev_b32_e32 v5, 2, v9
	v_xor_b32_e32 v9, 1, v6
	v_cmp_lt_i32_e32 vcc, v9, v7
	s_waitcnt lgkmcnt(1)
	v_add_f32_e32 v7, v10, v12
	s_waitcnt lgkmcnt(0)
	v_add_f32_e32 v10, v8, v11
	v_cndmask_b32_e32 v6, v6, v9, vcc
	ds_bpermute_b32 v9, v5, v7
	ds_bpermute_b32 v11, v5, v10
	s_load_dwordx2 s[4:5], s[4:5], 0x38
	s_mul_i32 s3, s14, s7
	v_lshlrev_b32_e32 v8, 2, v6
	s_waitcnt lgkmcnt(0)
	v_add_f32_e32 v6, v7, v9
	v_add_f32_e32 v9, v10, v11
	s_mul_i32 s0, s18, s8
	s_add_i32 s3, s3, s6
	ds_bpermute_b32 v7, v8, v6
	ds_bpermute_b32 v10, v8, v9
	s_add_i32 s0, s3, s0
	s_lshl_b64 s[0:1], s[0:1], 2
	s_add_u32 s4, s4, s0
	v_add_u32_e32 v11, s6, v0
	s_addc_u32 s5, s5, s1
	v_cmp_gt_u32_e32 vcc, 2, v0
	v_cmp_gt_u32_e64 s[0:1], s2, v11
	s_and_b64 s[0:1], vcc, s[0:1]
	s_waitcnt lgkmcnt(1)
	v_add_f32_e32 v6, v6, v7
	s_waitcnt lgkmcnt(0)
	v_add_f32_e32 v7, v9, v10
	s_and_saveexec_b64 s[6:7], s[0:1]
	s_cbranch_execz .LBB202_7
; %bb.6:
	v_cmp_eq_u32_e32 vcc, 1, v0
	v_cndmask_b32_e32 v9, v6, v7, vcc
	v_cmp_eq_u32_e32 vcc, 2, v0
	v_cndmask_b32_e32 v9, v9, v29, vcc
	v_cmp_eq_u32_e32 vcc, 3, v0
	v_cndmask_b32_e32 v9, v9, v28, vcc
	v_cmp_eq_u32_e32 vcc, 4, v0
	v_cndmask_b32_e32 v9, v9, v27, vcc
	v_cmp_eq_u32_e32 vcc, 5, v0
	v_cndmask_b32_e32 v9, v9, v26, vcc
	v_cmp_eq_u32_e32 vcc, 6, v0
	v_cndmask_b32_e32 v9, v9, v25, vcc
	v_cmp_eq_u32_e32 vcc, 7, v0
	v_cndmask_b32_e32 v9, v9, v24, vcc
	v_cmp_eq_u32_e32 vcc, 8, v0
	v_cndmask_b32_e32 v9, v9, v23, vcc
	v_cmp_eq_u32_e32 vcc, 9, v0
	v_cndmask_b32_e32 v9, v9, v22, vcc
	v_cmp_eq_u32_e32 vcc, 10, v0
	v_cndmask_b32_e32 v9, v9, v21, vcc
	v_cmp_eq_u32_e32 vcc, 11, v0
	v_cndmask_b32_e32 v9, v9, v20, vcc
	v_cmp_eq_u32_e32 vcc, 12, v0
	v_cndmask_b32_e32 v9, v9, v19, vcc
	v_cmp_eq_u32_e32 vcc, 13, v0
	v_cndmask_b32_e32 v9, v9, v18, vcc
	v_lshlrev_b32_e32 v10, 2, v0
	global_store_dword v10, v9, s[4:5]
.LBB202_7:
	s_or_b64 exec, exec, s[6:7]
	ds_bpermute_b32 v9, v1, v29
	ds_bpermute_b32 v10, v1, v28
	s_waitcnt lgkmcnt(1)
	v_add_f32_e32 v9, v29, v9
	s_waitcnt lgkmcnt(0)
	v_add_f32_e32 v10, v28, v10
	ds_bpermute_b32 v11, v2, v9
	ds_bpermute_b32 v12, v2, v10
	s_waitcnt lgkmcnt(1)
	v_add_f32_e32 v9, v9, v11
	s_waitcnt lgkmcnt(0)
	v_add_f32_e32 v10, v10, v12
	;; [unrolled: 6-line block ×6, first 2 shown]
	s_and_saveexec_b64 s[6:7], s[0:1]
	s_cbranch_execz .LBB202_9
; %bb.8:
	v_add_u32_e32 v11, 2, v0
	v_cmp_eq_u32_e32 vcc, 1, v11
	v_cndmask_b32_e32 v12, v6, v7, vcc
	v_cmp_eq_u32_e32 vcc, 2, v11
	v_cndmask_b32_e32 v12, v12, v10, vcc
	;; [unrolled: 2-line block ×13, first 2 shown]
	v_add_u32_e32 v11, s2, v0
	v_mov_b32_e32 v12, 0
	v_lshlrev_b64 v[11:12], 2, v[11:12]
	v_mov_b32_e32 v14, s5
	v_add_co_u32_e32 v11, vcc, s4, v11
	v_addc_co_u32_e32 v12, vcc, v14, v12, vcc
	global_store_dword v[11:12], v13, off
.LBB202_9:
	s_or_b64 exec, exec, s[6:7]
	ds_bpermute_b32 v11, v1, v27
	ds_bpermute_b32 v12, v1, v26
	s_waitcnt lgkmcnt(1)
	v_add_f32_e32 v11, v27, v11
	s_waitcnt lgkmcnt(0)
	v_add_f32_e32 v12, v26, v12
	ds_bpermute_b32 v13, v2, v11
	ds_bpermute_b32 v14, v2, v12
	s_waitcnt lgkmcnt(1)
	v_add_f32_e32 v11, v11, v13
	s_waitcnt lgkmcnt(0)
	v_add_f32_e32 v12, v12, v14
	;; [unrolled: 6-line block ×6, first 2 shown]
	s_and_saveexec_b64 s[6:7], s[0:1]
	s_cbranch_execz .LBB202_11
; %bb.10:
	v_add_u32_e32 v13, 4, v0
	v_cmp_eq_u32_e32 vcc, 1, v13
	v_cndmask_b32_e32 v14, v6, v7, vcc
	v_cmp_eq_u32_e32 vcc, 2, v13
	v_cndmask_b32_e32 v14, v14, v10, vcc
	;; [unrolled: 2-line block ×13, first 2 shown]
	v_lshl_or_b32 v13, s2, 1, v0
	v_mov_b32_e32 v14, 0
	v_lshlrev_b64 v[13:14], 2, v[13:14]
	v_mov_b32_e32 v16, s5
	v_add_co_u32_e32 v13, vcc, s4, v13
	v_addc_co_u32_e32 v14, vcc, v16, v14, vcc
	global_store_dword v[13:14], v15, off
.LBB202_11:
	s_or_b64 exec, exec, s[6:7]
	ds_bpermute_b32 v13, v1, v25
	ds_bpermute_b32 v14, v1, v24
	s_waitcnt lgkmcnt(1)
	v_add_f32_e32 v13, v25, v13
	s_waitcnt lgkmcnt(0)
	v_add_f32_e32 v14, v24, v14
	ds_bpermute_b32 v15, v2, v13
	ds_bpermute_b32 v16, v2, v14
	s_waitcnt lgkmcnt(1)
	v_add_f32_e32 v13, v13, v15
	s_waitcnt lgkmcnt(0)
	v_add_f32_e32 v14, v14, v16
	;; [unrolled: 6-line block ×6, first 2 shown]
	s_and_saveexec_b64 s[6:7], s[0:1]
	s_cbranch_execz .LBB202_13
; %bb.12:
	v_add_u32_e32 v17, 6, v0
	v_cmp_eq_u32_e32 vcc, 1, v17
	v_cndmask_b32_e32 v15, v6, v7, vcc
	v_cmp_eq_u32_e32 vcc, 2, v17
	v_cndmask_b32_e32 v15, v15, v10, vcc
	;; [unrolled: 2-line block ×12, first 2 shown]
	v_mad_u64_u32 v[15:16], s[8:9], s2, 3, v[0:1]
	v_mov_b32_e32 v16, 0
	v_cmp_eq_u32_e32 vcc, 13, v17
	v_lshlrev_b64 v[15:16], 2, v[15:16]
	v_cndmask_b32_e32 v17, v24, v18, vcc
	v_mov_b32_e32 v24, s5
	v_add_co_u32_e32 v15, vcc, s4, v15
	v_addc_co_u32_e32 v16, vcc, v24, v16, vcc
	global_store_dword v[15:16], v17, off
.LBB202_13:
	s_or_b64 exec, exec, s[6:7]
	ds_bpermute_b32 v15, v1, v23
	ds_bpermute_b32 v16, v1, v22
	s_waitcnt lgkmcnt(1)
	v_add_f32_e32 v15, v23, v15
	s_waitcnt lgkmcnt(0)
	v_add_f32_e32 v16, v22, v16
	ds_bpermute_b32 v17, v2, v15
	ds_bpermute_b32 v22, v2, v16
	s_waitcnt lgkmcnt(1)
	v_add_f32_e32 v15, v15, v17
	s_waitcnt lgkmcnt(0)
	v_add_f32_e32 v16, v16, v22
	;; [unrolled: 6-line block ×6, first 2 shown]
	s_and_saveexec_b64 s[6:7], s[0:1]
	s_cbranch_execz .LBB202_15
; %bb.14:
	v_add_u32_e32 v17, 8, v0
	v_cmp_eq_u32_e32 vcc, 1, v17
	v_cndmask_b32_e32 v22, v6, v7, vcc
	v_cmp_eq_u32_e32 vcc, 2, v17
	v_cndmask_b32_e32 v22, v22, v10, vcc
	;; [unrolled: 2-line block ×13, first 2 shown]
	v_lshl_or_b32 v22, s2, 2, v0
	v_mov_b32_e32 v23, 0
	v_lshlrev_b64 v[22:23], 2, v[22:23]
	v_mov_b32_e32 v24, s5
	v_add_co_u32_e32 v22, vcc, s4, v22
	v_addc_co_u32_e32 v23, vcc, v24, v23, vcc
	global_store_dword v[22:23], v17, off
.LBB202_15:
	s_or_b64 exec, exec, s[6:7]
	ds_bpermute_b32 v17, v1, v21
	ds_bpermute_b32 v22, v1, v20
	s_waitcnt lgkmcnt(1)
	v_add_f32_e32 v17, v21, v17
	s_waitcnt lgkmcnt(0)
	v_add_f32_e32 v20, v20, v22
	ds_bpermute_b32 v21, v2, v17
	ds_bpermute_b32 v22, v2, v20
	s_waitcnt lgkmcnt(1)
	v_add_f32_e32 v17, v17, v21
	s_waitcnt lgkmcnt(0)
	v_add_f32_e32 v20, v20, v22
	;; [unrolled: 6-line block ×6, first 2 shown]
	s_and_saveexec_b64 s[6:7], s[0:1]
	s_cbranch_execz .LBB202_17
; %bb.16:
	v_add_u32_e32 v23, 10, v0
	v_cmp_eq_u32_e32 vcc, 1, v23
	v_cndmask_b32_e32 v21, v6, v7, vcc
	v_cmp_eq_u32_e32 vcc, 2, v23
	v_cndmask_b32_e32 v21, v21, v10, vcc
	;; [unrolled: 2-line block ×12, first 2 shown]
	v_mad_u64_u32 v[21:22], s[8:9], s2, 5, v[0:1]
	v_mov_b32_e32 v22, 0
	v_cmp_eq_u32_e32 vcc, 13, v23
	v_lshlrev_b64 v[21:22], 2, v[21:22]
	v_cndmask_b32_e32 v23, v24, v18, vcc
	v_mov_b32_e32 v24, s5
	v_add_co_u32_e32 v21, vcc, s4, v21
	v_addc_co_u32_e32 v22, vcc, v24, v22, vcc
	global_store_dword v[21:22], v23, off
.LBB202_17:
	s_or_b64 exec, exec, s[6:7]
	ds_bpermute_b32 v21, v1, v19
	ds_bpermute_b32 v1, v1, v18
	s_waitcnt lgkmcnt(1)
	v_add_f32_e32 v19, v19, v21
	s_waitcnt lgkmcnt(0)
	v_add_f32_e32 v1, v18, v1
	ds_bpermute_b32 v18, v2, v19
	ds_bpermute_b32 v2, v2, v1
	s_waitcnt lgkmcnt(1)
	v_add_f32_e32 v18, v19, v18
	s_waitcnt lgkmcnt(0)
	v_add_f32_e32 v1, v1, v2
	;; [unrolled: 6-line block ×5, first 2 shown]
	ds_bpermute_b32 v3, v8, v1
	ds_bpermute_b32 v4, v8, v2
	s_and_b64 exec, exec, s[0:1]
	s_cbranch_execz .LBB202_19
; %bb.18:
	s_waitcnt lgkmcnt(1)
	v_add_f32_e32 v1, v1, v3
	v_add_u32_e32 v3, 12, v0
	v_cmp_eq_u32_e32 vcc, 1, v3
	s_waitcnt lgkmcnt(0)
	v_add_f32_e32 v2, v2, v4
	v_cndmask_b32_e32 v4, v6, v7, vcc
	v_cmp_eq_u32_e32 vcc, 2, v3
	v_cndmask_b32_e32 v4, v4, v10, vcc
	v_cmp_eq_u32_e32 vcc, 3, v3
	;; [unrolled: 2-line block ×12, first 2 shown]
	s_mul_i32 s0, s2, 6
	v_cndmask_b32_e32 v2, v1, v2, vcc
	v_or_b32_e32 v0, s0, v0
	v_mov_b32_e32 v1, 0
	v_lshlrev_b64 v[0:1], 2, v[0:1]
	v_mov_b32_e32 v3, s5
	v_add_co_u32_e32 v0, vcc, s4, v0
	v_addc_co_u32_e32 v1, vcc, v3, v1, vcc
	global_store_dword v[0:1], v2, off
.LBB202_19:
	s_endpgm
	.section	.rodata,"a",@progbits
	.p2align	6, 0x0
	.amdhsa_kernel _ZL13mul_mat_vec_qIL9ggml_type18ELi7ELb0ELb0EEvPKvS2_PKi31ggml_cuda_mm_fusion_args_devicePfj15HIP_vector_typeIjLj3EEjjjS8_jjjS8_jjjj
		.amdhsa_group_segment_fixed_size 0
		.amdhsa_private_segment_fixed_size 0
		.amdhsa_kernarg_size 144
		.amdhsa_user_sgpr_count 6
		.amdhsa_user_sgpr_private_segment_buffer 1
		.amdhsa_user_sgpr_dispatch_ptr 0
		.amdhsa_user_sgpr_queue_ptr 0
		.amdhsa_user_sgpr_kernarg_segment_ptr 1
		.amdhsa_user_sgpr_dispatch_id 0
		.amdhsa_user_sgpr_flat_scratch_init 0
		.amdhsa_user_sgpr_private_segment_size 0
		.amdhsa_uses_dynamic_stack 0
		.amdhsa_system_sgpr_private_segment_wavefront_offset 0
		.amdhsa_system_sgpr_workgroup_id_x 1
		.amdhsa_system_sgpr_workgroup_id_y 1
		.amdhsa_system_sgpr_workgroup_id_z 1
		.amdhsa_system_sgpr_workgroup_info 0
		.amdhsa_system_vgpr_workitem_id 1
		.amdhsa_next_free_vgpr 62
		.amdhsa_next_free_sgpr 32
		.amdhsa_reserve_vcc 1
		.amdhsa_reserve_flat_scratch 0
		.amdhsa_float_round_mode_32 0
		.amdhsa_float_round_mode_16_64 0
		.amdhsa_float_denorm_mode_32 3
		.amdhsa_float_denorm_mode_16_64 3
		.amdhsa_dx10_clamp 1
		.amdhsa_ieee_mode 1
		.amdhsa_fp16_overflow 0
		.amdhsa_exception_fp_ieee_invalid_op 0
		.amdhsa_exception_fp_denorm_src 0
		.amdhsa_exception_fp_ieee_div_zero 0
		.amdhsa_exception_fp_ieee_overflow 0
		.amdhsa_exception_fp_ieee_underflow 0
		.amdhsa_exception_fp_ieee_inexact 0
		.amdhsa_exception_int_div_zero 0
	.end_amdhsa_kernel
	.section	.text._ZL13mul_mat_vec_qIL9ggml_type18ELi7ELb0ELb0EEvPKvS2_PKi31ggml_cuda_mm_fusion_args_devicePfj15HIP_vector_typeIjLj3EEjjjS8_jjjS8_jjjj,"axG",@progbits,_ZL13mul_mat_vec_qIL9ggml_type18ELi7ELb0ELb0EEvPKvS2_PKi31ggml_cuda_mm_fusion_args_devicePfj15HIP_vector_typeIjLj3EEjjjS8_jjjS8_jjjj,comdat
.Lfunc_end202:
	.size	_ZL13mul_mat_vec_qIL9ggml_type18ELi7ELb0ELb0EEvPKvS2_PKi31ggml_cuda_mm_fusion_args_devicePfj15HIP_vector_typeIjLj3EEjjjS8_jjjS8_jjjj, .Lfunc_end202-_ZL13mul_mat_vec_qIL9ggml_type18ELi7ELb0ELb0EEvPKvS2_PKi31ggml_cuda_mm_fusion_args_devicePfj15HIP_vector_typeIjLj3EEjjjS8_jjjS8_jjjj
                                        ; -- End function
	.set _ZL13mul_mat_vec_qIL9ggml_type18ELi7ELb0ELb0EEvPKvS2_PKi31ggml_cuda_mm_fusion_args_devicePfj15HIP_vector_typeIjLj3EEjjjS8_jjjS8_jjjj.num_vgpr, 62
	.set _ZL13mul_mat_vec_qIL9ggml_type18ELi7ELb0ELb0EEvPKvS2_PKi31ggml_cuda_mm_fusion_args_devicePfj15HIP_vector_typeIjLj3EEjjjS8_jjjS8_jjjj.num_agpr, 0
	.set _ZL13mul_mat_vec_qIL9ggml_type18ELi7ELb0ELb0EEvPKvS2_PKi31ggml_cuda_mm_fusion_args_devicePfj15HIP_vector_typeIjLj3EEjjjS8_jjjS8_jjjj.numbered_sgpr, 32
	.set _ZL13mul_mat_vec_qIL9ggml_type18ELi7ELb0ELb0EEvPKvS2_PKi31ggml_cuda_mm_fusion_args_devicePfj15HIP_vector_typeIjLj3EEjjjS8_jjjS8_jjjj.num_named_barrier, 0
	.set _ZL13mul_mat_vec_qIL9ggml_type18ELi7ELb0ELb0EEvPKvS2_PKi31ggml_cuda_mm_fusion_args_devicePfj15HIP_vector_typeIjLj3EEjjjS8_jjjS8_jjjj.private_seg_size, 0
	.set _ZL13mul_mat_vec_qIL9ggml_type18ELi7ELb0ELb0EEvPKvS2_PKi31ggml_cuda_mm_fusion_args_devicePfj15HIP_vector_typeIjLj3EEjjjS8_jjjS8_jjjj.uses_vcc, 1
	.set _ZL13mul_mat_vec_qIL9ggml_type18ELi7ELb0ELb0EEvPKvS2_PKi31ggml_cuda_mm_fusion_args_devicePfj15HIP_vector_typeIjLj3EEjjjS8_jjjS8_jjjj.uses_flat_scratch, 0
	.set _ZL13mul_mat_vec_qIL9ggml_type18ELi7ELb0ELb0EEvPKvS2_PKi31ggml_cuda_mm_fusion_args_devicePfj15HIP_vector_typeIjLj3EEjjjS8_jjjS8_jjjj.has_dyn_sized_stack, 0
	.set _ZL13mul_mat_vec_qIL9ggml_type18ELi7ELb0ELb0EEvPKvS2_PKi31ggml_cuda_mm_fusion_args_devicePfj15HIP_vector_typeIjLj3EEjjjS8_jjjS8_jjjj.has_recursion, 0
	.set _ZL13mul_mat_vec_qIL9ggml_type18ELi7ELb0ELb0EEvPKvS2_PKi31ggml_cuda_mm_fusion_args_devicePfj15HIP_vector_typeIjLj3EEjjjS8_jjjS8_jjjj.has_indirect_call, 0
	.section	.AMDGPU.csdata,"",@progbits
; Kernel info:
; codeLenInByte = 8740
; TotalNumSgprs: 36
; NumVgprs: 62
; ScratchSize: 0
; MemoryBound: 0
; FloatMode: 240
; IeeeMode: 1
; LDSByteSize: 0 bytes/workgroup (compile time only)
; SGPRBlocks: 4
; VGPRBlocks: 15
; NumSGPRsForWavesPerEU: 36
; NumVGPRsForWavesPerEU: 62
; Occupancy: 4
; WaveLimiterHint : 0
; COMPUTE_PGM_RSRC2:SCRATCH_EN: 0
; COMPUTE_PGM_RSRC2:USER_SGPR: 6
; COMPUTE_PGM_RSRC2:TRAP_HANDLER: 0
; COMPUTE_PGM_RSRC2:TGID_X_EN: 1
; COMPUTE_PGM_RSRC2:TGID_Y_EN: 1
; COMPUTE_PGM_RSRC2:TGID_Z_EN: 1
; COMPUTE_PGM_RSRC2:TIDIG_COMP_CNT: 1
	.section	.text._ZL13mul_mat_vec_qIL9ggml_type18ELi8ELb0ELb0EEvPKvS2_PKi31ggml_cuda_mm_fusion_args_devicePfj15HIP_vector_typeIjLj3EEjjjS8_jjjS8_jjjj,"axG",@progbits,_ZL13mul_mat_vec_qIL9ggml_type18ELi8ELb0ELb0EEvPKvS2_PKi31ggml_cuda_mm_fusion_args_devicePfj15HIP_vector_typeIjLj3EEjjjS8_jjjS8_jjjj,comdat
	.globl	_ZL13mul_mat_vec_qIL9ggml_type18ELi8ELb0ELb0EEvPKvS2_PKi31ggml_cuda_mm_fusion_args_devicePfj15HIP_vector_typeIjLj3EEjjjS8_jjjS8_jjjj ; -- Begin function _ZL13mul_mat_vec_qIL9ggml_type18ELi8ELb0ELb0EEvPKvS2_PKi31ggml_cuda_mm_fusion_args_devicePfj15HIP_vector_typeIjLj3EEjjjS8_jjjS8_jjjj
	.p2align	8
	.type	_ZL13mul_mat_vec_qIL9ggml_type18ELi8ELb0ELb0EEvPKvS2_PKi31ggml_cuda_mm_fusion_args_devicePfj15HIP_vector_typeIjLj3EEjjjS8_jjjS8_jjjj,@function
_ZL13mul_mat_vec_qIL9ggml_type18ELi8ELb0ELb0EEvPKvS2_PKi31ggml_cuda_mm_fusion_args_devicePfj15HIP_vector_typeIjLj3EEjjjS8_jjjS8_jjjj: ; @_ZL13mul_mat_vec_qIL9ggml_type18ELi8ELb0ELb0EEvPKvS2_PKi31ggml_cuda_mm_fusion_args_devicePfj15HIP_vector_typeIjLj3EEjjjS8_jjjS8_jjjj
; %bb.0:
	s_load_dword s9, s[4:5], 0x40
	s_load_dwordx4 s[0:3], s[4:5], 0x50
	s_load_dword s25, s[4:5], 0x60
	s_load_dwordx4 s[12:15], s[4:5], 0x68
	;; [unrolled: 2-line block ×3, first 2 shown]
	v_lshl_or_b32 v2, v1, 6, v0
	s_waitcnt lgkmcnt(0)
	s_lshr_b32 s9, s9, 8
	v_lshrrev_b32_e32 v34, 3, v2
	v_mov_b32_e32 v18, 0
	s_lshl_b32 s6, s6, 1
	v_cmp_gt_u32_e32 vcc, s9, v34
	v_mov_b32_e32 v19, v18
	v_mov_b32_e32 v20, v18
	;; [unrolled: 1-line block ×15, first 2 shown]
	s_and_saveexec_b64 s[10:11], vcc
	s_cbranch_execz .LBB203_4
; %bb.1:
	s_mul_hi_u32 s3, s3, s7
	s_add_i32 s3, s7, s3
	s_load_dwordx4 s[20:23], s[4:5], 0x0
	s_lshr_b32 s3, s3, s25
	s_mul_i32 s3, s3, s12
	s_mul_hi_u32 s12, s15, s8
	s_add_i32 s12, s8, s12
	s_lshr_b32 s12, s12, s24
	s_mul_i32 s28, s17, s8
	s_mul_i32 s15, s12, s16
	;; [unrolled: 1-line block ×3, first 2 shown]
	s_mul_hi_u32 s12, s28, 36
	s_waitcnt lgkmcnt(0)
	s_add_u32 s16, s22, s16
	s_addc_u32 s17, s23, s12
	s_mul_i32 s12, s13, s7
	s_mul_hi_u32 s13, s12, 36
	s_mul_i32 s12, s12, 36
	s_add_u32 s16, s16, s12
	s_addc_u32 s17, s17, s13
	v_lshlrev_b32_e32 v2, 1, v0
	v_and_b32_e32 v6, 7, v0
	v_and_b32_e32 v4, 14, v2
	v_mad_u64_u32 v[10:11], s[16:17], v6, 36, s[16:17]
	v_mov_b32_e32 v2, s12
	s_movk_i32 s17, 0x120
	v_mov_b32_e32 v3, s13
	v_mad_u64_u32 v[2:3], s[12:13], v34, s17, v[2:3]
	s_add_i32 s29, s15, s3
	s_mul_i32 s16, s6, s0
	v_mad_u64_u32 v[2:3], s[12:13], s28, 36, v[2:3]
	s_add_i32 s27, s29, s16
	s_add_i32 s16, s6, 1
	v_mad_u64_u32 v[2:3], s[12:13], v6, 36, v[2:3]
	v_mov_b32_e32 v6, s23
	v_lshlrev_b32_e32 v5, 1, v4
	v_add_co_u32_e32 v2, vcc, s22, v2
	v_addc_co_u32_e32 v3, vcc, v6, v3, vcc
	s_mul_i32 s0, s0, s16
	v_add_co_u32_e32 v12, vcc, 16, v2
	v_mov_b32_e32 v14, s20
	v_mov_b32_e32 v35, 0
	s_lshl_b32 s3, s1, 1
	s_mul_i32 s15, s1, 3
	s_lshl_b32 s19, s1, 2
	s_mul_i32 s24, s1, 5
	s_mul_i32 s25, s1, 6
	;; [unrolled: 1-line block ×3, first 2 shown]
	s_add_i32 s0, s29, s0
	v_lshlrev_b32_e32 v36, 3, v34
	v_addc_co_u32_e32 v13, vcc, 0, v3, vcc
	s_mov_b64 s[12:13], 0
	s_movk_i32 s22, 0x62
	v_lshlrev_b32_e32 v37, 1, v5
	v_lshlrev_b32_e32 v38, 1, v4
	s_mov_b32 s23, 0x1010101
	s_movk_i32 s28, 0xff00
	s_mov_b32 s29, 0xc0c0105
	v_mov_b32_e32 v39, 2
	v_mov_b32_e32 v40, 8
	;; [unrolled: 1-line block ×19, first 2 shown]
.LBB203_2:                              ; =>This Inner Loop Header: Depth=1
	v_add_u32_e32 v16, s27, v34
	v_mad_i64_i32 v[16:17], s[16:17], v16, s22, v[14:15]
	global_load_dword v54, v[12:13], off offset:16
	global_load_dwordx4 v[2:5], v[12:13], off
	global_load_dwordx4 v[6:9], v[12:13], off offset:-16
	s_getpc_b64 s[16:17]
	s_add_u32 s16, s16, _ZL11iq3xxs_grid@rel32@lo+4
	s_addc_u32 s17, s17, _ZL11iq3xxs_grid@rel32@hi+12
	v_add_co_u32_e32 v41, vcc, v16, v37
	v_addc_co_u32_e32 v42, vcc, 0, v17, vcc
	global_load_dwordx2 v[45:46], v[41:42], off offset:2
	v_add_co_u32_e32 v41, vcc, v16, v38
	v_addc_co_u32_e32 v42, vcc, 0, v17, vcc
	global_load_dword v47, v[41:42], off offset:66
	s_waitcnt vmcnt(2)
	v_cvt_f32_f16_e32 v53, v6
	global_load_ushort v16, v[16:17], off
	s_waitcnt vmcnt(2)
	v_lshlrev_b32_sdwa v6, v39, v45 dst_sel:DWORD dst_unused:UNUSED_PAD src0_sel:DWORD src1_sel:BYTE_0
	global_load_dword v6, v6, s[16:17]
	v_lshlrev_b32_sdwa v41, v39, v45 dst_sel:DWORD dst_unused:UNUSED_PAD src0_sel:DWORD src1_sel:BYTE_1
	global_load_dword v41, v41, s[16:17]
	s_waitcnt vmcnt(3)
	v_and_b32_e32 v42, 0xff, v47
	v_bcnt_u32_b32 v43, v42, 0
	v_and_b32_e32 v43, 1, v43
	v_lshlrev_b32_e32 v43, 7, v43
	v_xor_b32_e32 v42, v43, v42
	v_mul_lo_u32 v42, v42, s23
	v_and_b32_e32 v43, 0x8040201, v42
	v_cmp_ne_u16_sdwa s[20:21], v43, v35 src0_sel:BYTE_3 src1_sel:DWORD
	v_cmp_ne_u16_sdwa s[30:31], v43, v35 src0_sel:BYTE_1 src1_sel:DWORD
	v_lshrrev_b32_e32 v44, 18, v42
	v_cndmask_b32_e64 v48, 0, -1, s[30:31]
	v_cndmask_b32_e64 v50, 0, -1, s[20:21]
	v_bfe_i32 v43, v42, 0, 1
	v_lshlrev_b16_e32 v48, 8, v48
	v_bfe_i32 v44, v44, 0, 1
	v_lshlrev_b16_e32 v50, 8, v50
	v_or_b32_sdwa v49, v43, v48 dst_sel:DWORD dst_unused:UNUSED_PAD src0_sel:BYTE_0 src1_sel:DWORD
	v_or_b32_sdwa v51, v44, v50 dst_sel:WORD_1 dst_unused:UNUSED_PAD src0_sel:BYTE_0 src1_sel:DWORD
	v_or_b32_sdwa v49, v49, v51 dst_sel:DWORD dst_unused:UNUSED_PAD src0_sel:WORD_0 src1_sel:DWORD
	v_lshlrev_b16_e32 v43, 8, v43
	v_lshlrev_b16_e32 v44, 8, v44
	s_waitcnt vmcnt(1)
	v_xor_b32_e32 v6, v6, v49
	v_and_b32_e32 v49, 0xffffff00, v6
	v_sub_i16 v48, v49, v48 clamp
	v_lshlrev_b16_e32 v49, 8, v6
	v_sub_i16 v43, v49, v43 clamp
	v_perm_b32 v43, v43, v48, s29
	v_and_b32_sdwa v48, v6, s28 dst_sel:DWORD dst_unused:UNUSED_PAD src0_sel:WORD_1 src1_sel:DWORD
	v_lshlrev_b16_sdwa v6, v40, v6 dst_sel:DWORD dst_unused:UNUSED_PAD src0_sel:DWORD src1_sel:WORD_1
	v_sub_i16 v48, v48, v50 clamp
	v_sub_i16 v6, v6, v44 clamp
	v_perm_b32 v6, v6, v48, s29
	v_lshl_or_b32 v6, v6, 16, v43
	v_and_b32_e32 v43, 0x80402010, v42
	v_cmp_ne_u16_sdwa s[20:21], v43, v35 src0_sel:BYTE_3 src1_sel:DWORD
	v_cmp_ne_u16_sdwa s[30:31], v43, v35 src0_sel:BYTE_1 src1_sel:DWORD
	v_lshrrev_b32_e32 v42, 22, v42
	v_lshrrev_b16_e32 v43, 4, v43
	v_cndmask_b32_e64 v44, 0, -1, s[30:31]
	v_cndmask_b32_e64 v49, 0, -1, s[20:21]
	v_bfe_i32 v43, v43, 0, 1
	v_lshlrev_b16_e32 v44, 8, v44
	v_bfe_i32 v42, v42, 0, 1
	v_lshlrev_b16_e32 v49, 8, v49
	v_or_b32_sdwa v48, v43, v44 dst_sel:DWORD dst_unused:UNUSED_PAD src0_sel:BYTE_0 src1_sel:DWORD
	v_or_b32_sdwa v50, v42, v49 dst_sel:WORD_1 dst_unused:UNUSED_PAD src0_sel:BYTE_0 src1_sel:DWORD
	v_or_b32_sdwa v48, v48, v50 dst_sel:DWORD dst_unused:UNUSED_PAD src0_sel:WORD_0 src1_sel:DWORD
	s_waitcnt vmcnt(0)
	v_xor_b32_e32 v41, v41, v48
	v_and_b32_e32 v48, 0xffffff00, v41
	v_sub_i16 v44, v48, v44 clamp
	v_lshlrev_b16_e32 v48, 8, v41
	v_lshlrev_b16_e32 v43, 8, v43
	v_sub_i16 v43, v48, v43 clamp
	v_perm_b32 v43, v43, v44, s29
	v_and_b32_sdwa v44, v41, s28 dst_sel:DWORD dst_unused:UNUSED_PAD src0_sel:WORD_1 src1_sel:DWORD
	v_lshlrev_b16_sdwa v41, v40, v41 dst_sel:DWORD dst_unused:UNUSED_PAD src0_sel:DWORD src1_sel:WORD_1
	v_lshlrev_b16_e32 v42, 8, v42
	v_sub_i16 v44, v44, v49 clamp
	v_sub_i16 v41, v41, v42 clamp
	v_perm_b32 v41, v41, v44, s29
	v_lshl_or_b32 v41, v41, 16, v43
	v_dot4_i32_i8 v42, v6, v7, 0
	v_dot4_i32_i8 v44, v41, v8, v42
	v_lshlrev_b32_sdwa v42, v39, v45 dst_sel:DWORD dst_unused:UNUSED_PAD src0_sel:DWORD src1_sel:BYTE_2
	global_load_dword v42, v42, s[16:17]
	v_lshlrev_b32_sdwa v43, v39, v45 dst_sel:DWORD dst_unused:UNUSED_PAD src0_sel:DWORD src1_sel:BYTE_3
	global_load_dword v43, v43, s[16:17]
	v_bfe_u32 v45, v47, 7, 8
	v_bcnt_u32_b32 v48, v45, 0
	v_and_b32_e32 v48, 1, v48
	v_lshlrev_b32_e32 v48, 7, v48
	v_xor_b32_e32 v45, v48, v45
	v_mul_lo_u32 v45, v45, s23
	v_and_b32_e32 v48, 0x8040201, v45
	v_cmp_ne_u16_sdwa s[20:21], v48, v35 src0_sel:BYTE_3 src1_sel:DWORD
	v_cmp_ne_u16_sdwa s[30:31], v48, v35 src0_sel:BYTE_1 src1_sel:DWORD
	v_lshrrev_b32_e32 v49, 18, v45
	v_cndmask_b32_e64 v50, 0, -1, s[30:31]
	v_cndmask_b32_e64 v52, 0, -1, s[20:21]
	v_bfe_i32 v48, v45, 0, 1
	v_lshlrev_b16_e32 v50, 8, v50
	v_bfe_i32 v49, v49, 0, 1
	v_lshlrev_b16_e32 v52, 8, v52
	v_or_b32_sdwa v51, v48, v50 dst_sel:DWORD dst_unused:UNUSED_PAD src0_sel:BYTE_0 src1_sel:DWORD
	v_or_b32_sdwa v55, v49, v52 dst_sel:WORD_1 dst_unused:UNUSED_PAD src0_sel:BYTE_0 src1_sel:DWORD
	v_or_b32_sdwa v51, v51, v55 dst_sel:DWORD dst_unused:UNUSED_PAD src0_sel:WORD_0 src1_sel:DWORD
	v_lshlrev_b16_e32 v48, 8, v48
	v_lshlrev_b16_e32 v49, 8, v49
	s_waitcnt vmcnt(1)
	v_xor_b32_e32 v42, v42, v51
	v_and_b32_e32 v51, 0xffffff00, v42
	v_sub_i16 v50, v51, v50 clamp
	v_lshlrev_b16_e32 v51, 8, v42
	v_sub_i16 v48, v51, v48 clamp
	v_perm_b32 v48, v48, v50, s29
	v_and_b32_sdwa v50, v42, s28 dst_sel:DWORD dst_unused:UNUSED_PAD src0_sel:WORD_1 src1_sel:DWORD
	v_lshlrev_b16_sdwa v42, v40, v42 dst_sel:DWORD dst_unused:UNUSED_PAD src0_sel:DWORD src1_sel:WORD_1
	v_sub_i16 v50, v50, v52 clamp
	v_sub_i16 v42, v42, v49 clamp
	v_perm_b32 v42, v42, v50, s29
	v_lshl_or_b32 v42, v42, 16, v48
	v_and_b32_e32 v48, 0x80402010, v45
	v_cmp_ne_u16_sdwa s[20:21], v48, v35 src0_sel:BYTE_3 src1_sel:DWORD
	v_cmp_ne_u16_sdwa s[30:31], v48, v35 src0_sel:BYTE_1 src1_sel:DWORD
	v_lshrrev_b32_e32 v45, 22, v45
	v_lshrrev_b16_e32 v48, 4, v48
	v_cndmask_b32_e64 v49, 0, -1, s[30:31]
	v_cndmask_b32_e64 v51, 0, -1, s[20:21]
	v_bfe_i32 v48, v48, 0, 1
	v_lshlrev_b16_e32 v49, 8, v49
	v_bfe_i32 v45, v45, 0, 1
	v_lshlrev_b16_e32 v51, 8, v51
	v_or_b32_sdwa v50, v48, v49 dst_sel:DWORD dst_unused:UNUSED_PAD src0_sel:BYTE_0 src1_sel:DWORD
	v_or_b32_sdwa v52, v45, v51 dst_sel:WORD_1 dst_unused:UNUSED_PAD src0_sel:BYTE_0 src1_sel:DWORD
	v_or_b32_sdwa v50, v50, v52 dst_sel:DWORD dst_unused:UNUSED_PAD src0_sel:WORD_0 src1_sel:DWORD
	s_waitcnt vmcnt(0)
	v_xor_b32_e32 v43, v43, v50
	v_and_b32_e32 v50, 0xffffff00, v43
	v_sub_i16 v49, v50, v49 clamp
	v_lshlrev_b16_e32 v50, 8, v43
	v_lshlrev_b16_e32 v48, 8, v48
	v_sub_i16 v48, v50, v48 clamp
	v_perm_b32 v48, v48, v49, s29
	v_and_b32_sdwa v49, v43, s28 dst_sel:DWORD dst_unused:UNUSED_PAD src0_sel:WORD_1 src1_sel:DWORD
	v_lshlrev_b16_sdwa v43, v40, v43 dst_sel:DWORD dst_unused:UNUSED_PAD src0_sel:DWORD src1_sel:WORD_1
	v_lshlrev_b16_e32 v45, 8, v45
	v_sub_i16 v49, v49, v51 clamp
	v_sub_i16 v43, v43, v45 clamp
	v_perm_b32 v43, v43, v49, s29
	v_lshl_or_b32 v43, v43, 16, v48
	v_dot4_i32_i8 v44, v42, v9, v44
	v_dot4_i32_i8 v48, v43, v2, v44
	v_lshlrev_b32_sdwa v44, v39, v46 dst_sel:DWORD dst_unused:UNUSED_PAD src0_sel:DWORD src1_sel:BYTE_0
	global_load_dword v44, v44, s[16:17]
	v_lshlrev_b32_sdwa v45, v39, v46 dst_sel:DWORD dst_unused:UNUSED_PAD src0_sel:DWORD src1_sel:BYTE_1
	global_load_dword v45, v45, s[16:17]
	v_bfe_u32 v49, v47, 14, 8
	v_bcnt_u32_b32 v50, v49, 0
	v_and_b32_e32 v50, 1, v50
	v_lshlrev_b32_e32 v50, 7, v50
	v_xor_b32_e32 v49, v50, v49
	v_mul_lo_u32 v49, v49, s23
	v_and_b32_e32 v50, 0x8040201, v49
	v_cmp_ne_u16_sdwa s[20:21], v50, v35 src0_sel:BYTE_3 src1_sel:DWORD
	v_cmp_ne_u16_sdwa s[30:31], v50, v35 src0_sel:BYTE_1 src1_sel:DWORD
	v_lshrrev_b32_e32 v51, 18, v49
	v_cndmask_b32_e64 v52, 0, -1, s[30:31]
	v_cndmask_b32_e64 v56, 0, -1, s[20:21]
	v_bfe_i32 v50, v49, 0, 1
	v_lshlrev_b16_e32 v52, 8, v52
	v_bfe_i32 v51, v51, 0, 1
	v_lshlrev_b16_e32 v56, 8, v56
	v_or_b32_sdwa v55, v50, v52 dst_sel:DWORD dst_unused:UNUSED_PAD src0_sel:BYTE_0 src1_sel:DWORD
	v_or_b32_sdwa v57, v51, v56 dst_sel:WORD_1 dst_unused:UNUSED_PAD src0_sel:BYTE_0 src1_sel:DWORD
	v_or_b32_sdwa v55, v55, v57 dst_sel:DWORD dst_unused:UNUSED_PAD src0_sel:WORD_0 src1_sel:DWORD
	v_lshlrev_b16_e32 v50, 8, v50
	v_lshlrev_b16_e32 v51, 8, v51
	s_waitcnt vmcnt(1)
	v_xor_b32_e32 v44, v44, v55
	v_and_b32_e32 v55, 0xffffff00, v44
	v_sub_i16 v52, v55, v52 clamp
	v_lshlrev_b16_e32 v55, 8, v44
	v_sub_i16 v50, v55, v50 clamp
	v_perm_b32 v50, v50, v52, s29
	v_and_b32_sdwa v52, v44, s28 dst_sel:DWORD dst_unused:UNUSED_PAD src0_sel:WORD_1 src1_sel:DWORD
	v_lshlrev_b16_sdwa v44, v40, v44 dst_sel:DWORD dst_unused:UNUSED_PAD src0_sel:DWORD src1_sel:WORD_1
	v_sub_i16 v52, v52, v56 clamp
	v_sub_i16 v44, v44, v51 clamp
	v_perm_b32 v44, v44, v52, s29
	v_lshl_or_b32 v44, v44, 16, v50
	v_and_b32_e32 v50, 0x80402010, v49
	v_cmp_ne_u16_sdwa s[20:21], v50, v35 src0_sel:BYTE_3 src1_sel:DWORD
	v_cmp_ne_u16_sdwa s[30:31], v50, v35 src0_sel:BYTE_1 src1_sel:DWORD
	v_lshrrev_b32_e32 v49, 22, v49
	v_lshrrev_b16_e32 v50, 4, v50
	v_cndmask_b32_e64 v51, 0, -1, s[30:31]
	v_cndmask_b32_e64 v55, 0, -1, s[20:21]
	v_bfe_i32 v50, v50, 0, 1
	v_lshlrev_b16_e32 v51, 8, v51
	v_bfe_i32 v49, v49, 0, 1
	v_lshlrev_b16_e32 v55, 8, v55
	v_or_b32_sdwa v52, v50, v51 dst_sel:DWORD dst_unused:UNUSED_PAD src0_sel:BYTE_0 src1_sel:DWORD
	v_or_b32_sdwa v56, v49, v55 dst_sel:WORD_1 dst_unused:UNUSED_PAD src0_sel:BYTE_0 src1_sel:DWORD
	v_or_b32_sdwa v52, v52, v56 dst_sel:DWORD dst_unused:UNUSED_PAD src0_sel:WORD_0 src1_sel:DWORD
	s_waitcnt vmcnt(0)
	v_xor_b32_e32 v45, v45, v52
	v_and_b32_e32 v52, 0xffffff00, v45
	v_sub_i16 v51, v52, v51 clamp
	v_lshlrev_b16_e32 v52, 8, v45
	v_lshlrev_b16_e32 v50, 8, v50
	v_sub_i16 v50, v52, v50 clamp
	v_perm_b32 v50, v50, v51, s29
	v_and_b32_sdwa v51, v45, s28 dst_sel:DWORD dst_unused:UNUSED_PAD src0_sel:WORD_1 src1_sel:DWORD
	v_lshlrev_b16_sdwa v45, v40, v45 dst_sel:DWORD dst_unused:UNUSED_PAD src0_sel:DWORD src1_sel:WORD_1
	v_lshlrev_b16_e32 v49, 8, v49
	v_sub_i16 v51, v51, v55 clamp
	v_sub_i16 v45, v45, v49 clamp
	v_perm_b32 v45, v45, v51, s29
	v_lshl_or_b32 v45, v45, 16, v50
	v_dot4_i32_i8 v48, v44, v3, v48
	v_dot4_i32_i8 v49, v45, v4, v48
	v_lshlrev_b32_sdwa v48, v39, v46 dst_sel:DWORD dst_unused:UNUSED_PAD src0_sel:DWORD src1_sel:BYTE_2
	global_load_dword v48, v48, s[16:17]
	v_lshlrev_b32_sdwa v46, v39, v46 dst_sel:DWORD dst_unused:UNUSED_PAD src0_sel:DWORD src1_sel:BYTE_3
	global_load_dword v50, v46, s[16:17]
	v_bfe_u32 v46, v47, 21, 8
	v_bcnt_u32_b32 v51, v46, 0
	v_and_b32_e32 v51, 1, v51
	v_lshlrev_b32_e32 v51, 7, v51
	v_xor_b32_e32 v46, v51, v46
	v_mul_lo_u32 v51, v46, s23
	v_lshrrev_b32_e32 v47, 28, v47
	v_and_b32_e32 v46, 0x8040201, v51
	v_cmp_ne_u16_sdwa s[20:21], v46, v35 src0_sel:BYTE_3 src1_sel:DWORD
	v_cmp_ne_u16_sdwa s[30:31], v46, v35 src0_sel:BYTE_1 src1_sel:DWORD
	v_lshrrev_b32_e32 v52, 18, v51
	v_cndmask_b32_e64 v55, 0, -1, s[30:31]
	v_cndmask_b32_e64 v57, 0, -1, s[20:21]
	v_bfe_i32 v46, v51, 0, 1
	v_lshlrev_b16_e32 v55, 8, v55
	v_bfe_i32 v52, v52, 0, 1
	v_lshlrev_b16_e32 v57, 8, v57
	v_or_b32_sdwa v56, v46, v55 dst_sel:DWORD dst_unused:UNUSED_PAD src0_sel:BYTE_0 src1_sel:DWORD
	v_or_b32_sdwa v58, v52, v57 dst_sel:WORD_1 dst_unused:UNUSED_PAD src0_sel:BYTE_0 src1_sel:DWORD
	v_or_b32_sdwa v56, v56, v58 dst_sel:DWORD dst_unused:UNUSED_PAD src0_sel:WORD_0 src1_sel:DWORD
	v_lshlrev_b16_e32 v46, 8, v46
	v_lshlrev_b16_e32 v52, 8, v52
	s_waitcnt vmcnt(1)
	v_xor_b32_e32 v48, v48, v56
	v_and_b32_e32 v56, 0xffffff00, v48
	v_sub_i16 v55, v56, v55 clamp
	v_lshlrev_b16_e32 v56, 8, v48
	v_sub_i16 v46, v56, v46 clamp
	v_perm_b32 v46, v46, v55, s29
	v_and_b32_sdwa v55, v48, s28 dst_sel:DWORD dst_unused:UNUSED_PAD src0_sel:WORD_1 src1_sel:DWORD
	v_lshlrev_b16_sdwa v48, v40, v48 dst_sel:DWORD dst_unused:UNUSED_PAD src0_sel:DWORD src1_sel:WORD_1
	v_sub_i16 v55, v55, v57 clamp
	v_sub_i16 v48, v48, v52 clamp
	v_perm_b32 v48, v48, v55, s29
	v_lshl_or_b32 v46, v48, 16, v46
	v_and_b32_e32 v48, 0x80402010, v51
	v_cmp_ne_u16_sdwa s[20:21], v48, v35 src0_sel:BYTE_3 src1_sel:DWORD
	v_cmp_ne_u16_sdwa s[30:31], v48, v35 src0_sel:BYTE_1 src1_sel:DWORD
	v_lshrrev_b32_e32 v51, 22, v51
	v_lshrrev_b16_e32 v48, 4, v48
	v_cndmask_b32_e64 v52, 0, -1, s[30:31]
	v_cndmask_b32_e64 v56, 0, -1, s[20:21]
	v_bfe_i32 v48, v48, 0, 1
	v_lshlrev_b16_e32 v52, 8, v52
	v_bfe_i32 v51, v51, 0, 1
	v_lshlrev_b16_e32 v56, 8, v56
	v_or_b32_sdwa v55, v48, v52 dst_sel:DWORD dst_unused:UNUSED_PAD src0_sel:BYTE_0 src1_sel:DWORD
	v_or_b32_sdwa v57, v51, v56 dst_sel:WORD_1 dst_unused:UNUSED_PAD src0_sel:BYTE_0 src1_sel:DWORD
	v_or_b32_sdwa v55, v55, v57 dst_sel:DWORD dst_unused:UNUSED_PAD src0_sel:WORD_0 src1_sel:DWORD
	s_waitcnt vmcnt(0)
	v_xor_b32_e32 v50, v50, v55
	v_and_b32_e32 v55, 0xffffff00, v50
	v_sub_i16 v52, v55, v52 clamp
	v_lshlrev_b16_e32 v55, 8, v50
	v_lshlrev_b16_e32 v48, 8, v48
	v_sub_i16 v48, v55, v48 clamp
	v_perm_b32 v48, v48, v52, s29
	v_and_b32_sdwa v52, v50, s28 dst_sel:DWORD dst_unused:UNUSED_PAD src0_sel:WORD_1 src1_sel:DWORD
	v_lshlrev_b16_sdwa v50, v40, v50 dst_sel:DWORD dst_unused:UNUSED_PAD src0_sel:DWORD src1_sel:WORD_1
	v_lshlrev_b16_e32 v51, 8, v51
	v_sub_i16 v52, v52, v56 clamp
	v_sub_i16 v50, v50, v51 clamp
	v_perm_b32 v50, v50, v52, s29
	v_lshl_or_b32 v48, v50, 16, v48
	v_dot4_i32_i8 v49, v46, v5, v49
	v_dot4_i32_i8 v50, v48, v54, v49
	v_lshrrev_b32_e32 v49, 31, v50
	v_add_u32_e32 v49, v50, v49
	v_ashrrev_i32_e32 v49, 1, v49
	v_mad_u64_u32 v[49:50], s[20:21], v50, v47, v[49:50]
	v_lshrrev_b32_e32 v50, 31, v49
	v_add_u32_e32 v49, v49, v50
	v_ashrrev_i32_e32 v50, 1, v49
	v_cvt_f32_f16_e32 v49, v16
	v_cvt_f32_i32_e32 v17, v50
	v_mul_f32_e32 v16, v49, v53
	v_fmac_f32_e32 v33, v16, v17
	v_add_u32_e32 v16, s0, v34
	v_mad_i64_i32 v[16:17], s[20:21], v16, s22, v[14:15]
	v_add_u32_e32 v34, 8, v34
	v_add_co_u32_e32 v50, vcc, v16, v37
	v_addc_co_u32_e32 v51, vcc, 0, v17, vcc
	global_load_dwordx2 v[55:56], v[50:51], off offset:2
	v_add_co_u32_e32 v50, vcc, v16, v38
	v_addc_co_u32_e32 v51, vcc, 0, v17, vcc
	global_load_dword v57, v[50:51], off offset:66
	v_add_co_u32_e32 v12, vcc, 0x900, v12
	v_addc_co_u32_e32 v13, vcc, 0, v13, vcc
	v_cmp_le_u32_e32 vcc, s9, v34
	s_or_b64 s[12:13], vcc, s[12:13]
	s_waitcnt vmcnt(1)
	v_lshlrev_b32_sdwa v50, v39, v55 dst_sel:DWORD dst_unused:UNUSED_PAD src0_sel:DWORD src1_sel:BYTE_0
	global_load_dword v50, v50, s[16:17]
	v_lshlrev_b32_sdwa v51, v39, v55 dst_sel:DWORD dst_unused:UNUSED_PAD src0_sel:DWORD src1_sel:BYTE_1
	global_load_dword v51, v51, s[16:17]
	s_waitcnt vmcnt(2)
	v_and_b32_e32 v52, 0xff, v57
	v_bcnt_u32_b32 v58, v52, 0
	v_and_b32_e32 v58, 1, v58
	v_lshlrev_b32_e32 v58, 7, v58
	v_xor_b32_e32 v52, v58, v52
	v_mul_lo_u32 v52, v52, s23
	v_and_b32_e32 v58, 0x8040201, v52
	v_cmp_ne_u16_sdwa s[20:21], v58, v35 src0_sel:BYTE_3 src1_sel:DWORD
	v_cmp_ne_u16_sdwa s[30:31], v58, v35 src0_sel:BYTE_1 src1_sel:DWORD
	v_lshrrev_b32_e32 v59, 18, v52
	v_cndmask_b32_e64 v60, 0, -1, s[30:31]
	v_cndmask_b32_e64 v62, 0, -1, s[20:21]
	v_bfe_i32 v58, v52, 0, 1
	v_lshlrev_b16_e32 v60, 8, v60
	v_bfe_i32 v59, v59, 0, 1
	v_lshlrev_b16_e32 v62, 8, v62
	v_or_b32_sdwa v61, v58, v60 dst_sel:DWORD dst_unused:UNUSED_PAD src0_sel:BYTE_0 src1_sel:DWORD
	v_or_b32_sdwa v63, v59, v62 dst_sel:WORD_1 dst_unused:UNUSED_PAD src0_sel:BYTE_0 src1_sel:DWORD
	v_or_b32_sdwa v61, v61, v63 dst_sel:DWORD dst_unused:UNUSED_PAD src0_sel:WORD_0 src1_sel:DWORD
	v_lshlrev_b16_e32 v58, 8, v58
	v_lshlrev_b16_e32 v59, 8, v59
	s_waitcnt vmcnt(1)
	v_xor_b32_e32 v50, v50, v61
	v_and_b32_e32 v61, 0xffffff00, v50
	v_sub_i16 v60, v61, v60 clamp
	v_lshlrev_b16_e32 v61, 8, v50
	v_sub_i16 v58, v61, v58 clamp
	v_perm_b32 v58, v58, v60, s29
	v_and_b32_sdwa v60, v50, s28 dst_sel:DWORD dst_unused:UNUSED_PAD src0_sel:WORD_1 src1_sel:DWORD
	v_lshlrev_b16_sdwa v50, v40, v50 dst_sel:DWORD dst_unused:UNUSED_PAD src0_sel:DWORD src1_sel:WORD_1
	v_sub_i16 v60, v60, v62 clamp
	v_sub_i16 v50, v50, v59 clamp
	v_perm_b32 v50, v50, v60, s29
	v_lshl_or_b32 v50, v50, 16, v58
	v_and_b32_e32 v58, 0x80402010, v52
	v_cmp_ne_u16_sdwa s[20:21], v58, v35 src0_sel:BYTE_3 src1_sel:DWORD
	v_cmp_ne_u16_sdwa s[30:31], v58, v35 src0_sel:BYTE_1 src1_sel:DWORD
	v_lshrrev_b32_e32 v52, 22, v52
	v_lshrrev_b16_e32 v58, 4, v58
	v_cndmask_b32_e64 v59, 0, -1, s[30:31]
	v_cndmask_b32_e64 v61, 0, -1, s[20:21]
	v_bfe_i32 v58, v58, 0, 1
	v_lshlrev_b16_e32 v59, 8, v59
	v_bfe_i32 v52, v52, 0, 1
	v_lshlrev_b16_e32 v61, 8, v61
	v_or_b32_sdwa v60, v58, v59 dst_sel:DWORD dst_unused:UNUSED_PAD src0_sel:BYTE_0 src1_sel:DWORD
	v_or_b32_sdwa v62, v52, v61 dst_sel:WORD_1 dst_unused:UNUSED_PAD src0_sel:BYTE_0 src1_sel:DWORD
	v_or_b32_sdwa v60, v60, v62 dst_sel:DWORD dst_unused:UNUSED_PAD src0_sel:WORD_0 src1_sel:DWORD
	s_waitcnt vmcnt(0)
	v_xor_b32_e32 v51, v51, v60
	v_and_b32_e32 v60, 0xffffff00, v51
	v_sub_i16 v59, v60, v59 clamp
	v_lshlrev_b16_e32 v60, 8, v51
	v_lshlrev_b16_e32 v58, 8, v58
	v_sub_i16 v58, v60, v58 clamp
	v_perm_b32 v58, v58, v59, s29
	v_and_b32_sdwa v59, v51, s28 dst_sel:DWORD dst_unused:UNUSED_PAD src0_sel:WORD_1 src1_sel:DWORD
	v_lshlrev_b16_sdwa v51, v40, v51 dst_sel:DWORD dst_unused:UNUSED_PAD src0_sel:DWORD src1_sel:WORD_1
	v_lshlrev_b16_e32 v52, 8, v52
	v_sub_i16 v59, v59, v61 clamp
	v_sub_i16 v51, v51, v52 clamp
	v_perm_b32 v51, v51, v59, s29
	v_lshl_or_b32 v51, v51, 16, v58
	v_dot4_i32_i8 v7, v50, v7, 0
	v_dot4_i32_i8 v52, v51, v8, v7
	v_lshlrev_b32_sdwa v7, v39, v55 dst_sel:DWORD dst_unused:UNUSED_PAD src0_sel:DWORD src1_sel:BYTE_2
	global_load_dword v7, v7, s[16:17]
	v_lshlrev_b32_sdwa v8, v39, v55 dst_sel:DWORD dst_unused:UNUSED_PAD src0_sel:DWORD src1_sel:BYTE_3
	global_load_dword v8, v8, s[16:17]
	v_bfe_u32 v55, v57, 7, 8
	v_bcnt_u32_b32 v58, v55, 0
	v_and_b32_e32 v58, 1, v58
	v_lshlrev_b32_e32 v58, 7, v58
	v_xor_b32_e32 v55, v58, v55
	v_mul_lo_u32 v55, v55, s23
	v_and_b32_e32 v58, 0x8040201, v55
	v_cmp_ne_u16_sdwa s[20:21], v58, v35 src0_sel:BYTE_3 src1_sel:DWORD
	v_cmp_ne_u16_sdwa s[30:31], v58, v35 src0_sel:BYTE_1 src1_sel:DWORD
	v_lshrrev_b32_e32 v59, 18, v55
	v_cndmask_b32_e64 v60, 0, -1, s[30:31]
	v_cndmask_b32_e64 v62, 0, -1, s[20:21]
	v_bfe_i32 v58, v55, 0, 1
	v_lshlrev_b16_e32 v60, 8, v60
	v_bfe_i32 v59, v59, 0, 1
	v_lshlrev_b16_e32 v62, 8, v62
	v_or_b32_sdwa v61, v58, v60 dst_sel:DWORD dst_unused:UNUSED_PAD src0_sel:BYTE_0 src1_sel:DWORD
	v_or_b32_sdwa v63, v59, v62 dst_sel:WORD_1 dst_unused:UNUSED_PAD src0_sel:BYTE_0 src1_sel:DWORD
	v_or_b32_sdwa v61, v61, v63 dst_sel:DWORD dst_unused:UNUSED_PAD src0_sel:WORD_0 src1_sel:DWORD
	v_lshlrev_b16_e32 v58, 8, v58
	v_lshlrev_b16_e32 v59, 8, v59
	s_waitcnt vmcnt(1)
	v_xor_b32_e32 v7, v7, v61
	v_and_b32_e32 v61, 0xffffff00, v7
	v_sub_i16 v60, v61, v60 clamp
	v_lshlrev_b16_e32 v61, 8, v7
	v_sub_i16 v58, v61, v58 clamp
	v_perm_b32 v58, v58, v60, s29
	v_and_b32_sdwa v60, v7, s28 dst_sel:DWORD dst_unused:UNUSED_PAD src0_sel:WORD_1 src1_sel:DWORD
	v_lshlrev_b16_sdwa v7, v40, v7 dst_sel:DWORD dst_unused:UNUSED_PAD src0_sel:DWORD src1_sel:WORD_1
	v_sub_i16 v60, v60, v62 clamp
	v_sub_i16 v7, v7, v59 clamp
	v_perm_b32 v7, v7, v60, s29
	v_lshl_or_b32 v7, v7, 16, v58
	v_and_b32_e32 v58, 0x80402010, v55
	v_cmp_ne_u16_sdwa s[20:21], v58, v35 src0_sel:BYTE_3 src1_sel:DWORD
	v_cmp_ne_u16_sdwa s[30:31], v58, v35 src0_sel:BYTE_1 src1_sel:DWORD
	v_lshrrev_b32_e32 v55, 22, v55
	v_lshrrev_b16_e32 v58, 4, v58
	v_cndmask_b32_e64 v59, 0, -1, s[30:31]
	v_cndmask_b32_e64 v61, 0, -1, s[20:21]
	v_bfe_i32 v58, v58, 0, 1
	v_lshlrev_b16_e32 v59, 8, v59
	v_bfe_i32 v55, v55, 0, 1
	v_lshlrev_b16_e32 v61, 8, v61
	v_or_b32_sdwa v60, v58, v59 dst_sel:DWORD dst_unused:UNUSED_PAD src0_sel:BYTE_0 src1_sel:DWORD
	v_or_b32_sdwa v62, v55, v61 dst_sel:WORD_1 dst_unused:UNUSED_PAD src0_sel:BYTE_0 src1_sel:DWORD
	v_or_b32_sdwa v60, v60, v62 dst_sel:DWORD dst_unused:UNUSED_PAD src0_sel:WORD_0 src1_sel:DWORD
	s_waitcnt vmcnt(0)
	v_xor_b32_e32 v8, v8, v60
	v_and_b32_e32 v60, 0xffffff00, v8
	v_sub_i16 v59, v60, v59 clamp
	v_lshlrev_b16_e32 v60, 8, v8
	v_lshlrev_b16_e32 v58, 8, v58
	v_sub_i16 v58, v60, v58 clamp
	v_perm_b32 v58, v58, v59, s29
	v_and_b32_sdwa v59, v8, s28 dst_sel:DWORD dst_unused:UNUSED_PAD src0_sel:WORD_1 src1_sel:DWORD
	v_lshlrev_b16_sdwa v8, v40, v8 dst_sel:DWORD dst_unused:UNUSED_PAD src0_sel:DWORD src1_sel:WORD_1
	v_lshlrev_b16_e32 v55, 8, v55
	v_sub_i16 v59, v59, v61 clamp
	v_sub_i16 v8, v8, v55 clamp
	v_perm_b32 v8, v8, v59, s29
	v_lshl_or_b32 v8, v8, 16, v58
	v_dot4_i32_i8 v9, v7, v9, v52
	v_dot4_i32_i8 v52, v8, v2, v9
	v_lshlrev_b32_sdwa v2, v39, v56 dst_sel:DWORD dst_unused:UNUSED_PAD src0_sel:DWORD src1_sel:BYTE_0
	global_load_dword v2, v2, s[16:17]
	v_lshlrev_b32_sdwa v9, v39, v56 dst_sel:DWORD dst_unused:UNUSED_PAD src0_sel:DWORD src1_sel:BYTE_1
	global_load_dword v9, v9, s[16:17]
	v_bfe_u32 v55, v57, 14, 8
	v_bcnt_u32_b32 v58, v55, 0
	v_and_b32_e32 v58, 1, v58
	v_lshlrev_b32_e32 v58, 7, v58
	v_xor_b32_e32 v55, v58, v55
	v_mul_lo_u32 v55, v55, s23
	v_and_b32_e32 v58, 0x8040201, v55
	v_cmp_ne_u16_sdwa s[20:21], v58, v35 src0_sel:BYTE_3 src1_sel:DWORD
	v_cmp_ne_u16_sdwa s[30:31], v58, v35 src0_sel:BYTE_1 src1_sel:DWORD
	v_lshrrev_b32_e32 v59, 18, v55
	v_cndmask_b32_e64 v60, 0, -1, s[30:31]
	v_cndmask_b32_e64 v62, 0, -1, s[20:21]
	v_bfe_i32 v58, v55, 0, 1
	v_lshlrev_b16_e32 v60, 8, v60
	v_bfe_i32 v59, v59, 0, 1
	v_lshlrev_b16_e32 v62, 8, v62
	v_or_b32_sdwa v61, v58, v60 dst_sel:DWORD dst_unused:UNUSED_PAD src0_sel:BYTE_0 src1_sel:DWORD
	v_or_b32_sdwa v63, v59, v62 dst_sel:WORD_1 dst_unused:UNUSED_PAD src0_sel:BYTE_0 src1_sel:DWORD
	v_or_b32_sdwa v61, v61, v63 dst_sel:DWORD dst_unused:UNUSED_PAD src0_sel:WORD_0 src1_sel:DWORD
	v_lshlrev_b16_e32 v58, 8, v58
	v_lshlrev_b16_e32 v59, 8, v59
	s_waitcnt vmcnt(1)
	v_xor_b32_e32 v2, v2, v61
	v_and_b32_e32 v61, 0xffffff00, v2
	v_sub_i16 v60, v61, v60 clamp
	v_lshlrev_b16_e32 v61, 8, v2
	v_sub_i16 v58, v61, v58 clamp
	v_perm_b32 v58, v58, v60, s29
	v_and_b32_sdwa v60, v2, s28 dst_sel:DWORD dst_unused:UNUSED_PAD src0_sel:WORD_1 src1_sel:DWORD
	v_lshlrev_b16_sdwa v2, v40, v2 dst_sel:DWORD dst_unused:UNUSED_PAD src0_sel:DWORD src1_sel:WORD_1
	v_sub_i16 v60, v60, v62 clamp
	v_sub_i16 v2, v2, v59 clamp
	v_perm_b32 v2, v2, v60, s29
	v_lshl_or_b32 v2, v2, 16, v58
	v_and_b32_e32 v58, 0x80402010, v55
	v_cmp_ne_u16_sdwa s[20:21], v58, v35 src0_sel:BYTE_3 src1_sel:DWORD
	v_cmp_ne_u16_sdwa s[30:31], v58, v35 src0_sel:BYTE_1 src1_sel:DWORD
	v_lshrrev_b32_e32 v55, 22, v55
	v_lshrrev_b16_e32 v58, 4, v58
	v_cndmask_b32_e64 v59, 0, -1, s[30:31]
	v_cndmask_b32_e64 v61, 0, -1, s[20:21]
	v_bfe_i32 v58, v58, 0, 1
	v_lshlrev_b16_e32 v59, 8, v59
	v_bfe_i32 v55, v55, 0, 1
	v_lshlrev_b16_e32 v61, 8, v61
	v_or_b32_sdwa v60, v58, v59 dst_sel:DWORD dst_unused:UNUSED_PAD src0_sel:BYTE_0 src1_sel:DWORD
	v_or_b32_sdwa v62, v55, v61 dst_sel:WORD_1 dst_unused:UNUSED_PAD src0_sel:BYTE_0 src1_sel:DWORD
	v_or_b32_sdwa v60, v60, v62 dst_sel:DWORD dst_unused:UNUSED_PAD src0_sel:WORD_0 src1_sel:DWORD
	s_waitcnt vmcnt(0)
	v_xor_b32_e32 v9, v9, v60
	v_and_b32_e32 v60, 0xffffff00, v9
	v_sub_i16 v59, v60, v59 clamp
	v_lshlrev_b16_e32 v60, 8, v9
	v_lshlrev_b16_e32 v58, 8, v58
	v_sub_i16 v58, v60, v58 clamp
	v_perm_b32 v58, v58, v59, s29
	v_and_b32_sdwa v59, v9, s28 dst_sel:DWORD dst_unused:UNUSED_PAD src0_sel:WORD_1 src1_sel:DWORD
	v_lshlrev_b16_sdwa v9, v40, v9 dst_sel:DWORD dst_unused:UNUSED_PAD src0_sel:DWORD src1_sel:WORD_1
	v_lshlrev_b16_e32 v55, 8, v55
	v_sub_i16 v59, v59, v61 clamp
	v_sub_i16 v9, v9, v55 clamp
	v_perm_b32 v9, v9, v59, s29
	v_lshl_or_b32 v9, v9, 16, v58
	v_dot4_i32_i8 v3, v2, v3, v52
	v_dot4_i32_i8 v4, v9, v4, v3
	v_lshlrev_b32_sdwa v3, v39, v56 dst_sel:DWORD dst_unused:UNUSED_PAD src0_sel:DWORD src1_sel:BYTE_2
	global_load_dword v3, v3, s[16:17]
	v_lshlrev_b32_sdwa v52, v39, v56 dst_sel:DWORD dst_unused:UNUSED_PAD src0_sel:DWORD src1_sel:BYTE_3
	global_load_dword v52, v52, s[16:17]
	v_bfe_u32 v55, v57, 21, 8
	v_bcnt_u32_b32 v56, v55, 0
	v_and_b32_e32 v56, 1, v56
	v_lshlrev_b32_e32 v56, 7, v56
	v_xor_b32_e32 v55, v56, v55
	v_mul_lo_u32 v55, v55, s23
	v_and_b32_e32 v56, 0x8040201, v55
	v_cmp_ne_u16_sdwa s[16:17], v56, v35 src0_sel:BYTE_3 src1_sel:DWORD
	v_cmp_ne_u16_sdwa s[20:21], v56, v35 src0_sel:BYTE_1 src1_sel:DWORD
	v_lshrrev_b32_e32 v58, 18, v55
	v_cndmask_b32_e64 v59, 0, -1, s[20:21]
	v_cndmask_b32_e64 v61, 0, -1, s[16:17]
	v_bfe_i32 v56, v55, 0, 1
	v_lshlrev_b16_e32 v59, 8, v59
	v_bfe_i32 v58, v58, 0, 1
	v_lshlrev_b16_e32 v61, 8, v61
	v_or_b32_sdwa v60, v56, v59 dst_sel:DWORD dst_unused:UNUSED_PAD src0_sel:BYTE_0 src1_sel:DWORD
	v_or_b32_sdwa v62, v58, v61 dst_sel:WORD_1 dst_unused:UNUSED_PAD src0_sel:BYTE_0 src1_sel:DWORD
	v_or_b32_sdwa v60, v60, v62 dst_sel:DWORD dst_unused:UNUSED_PAD src0_sel:WORD_0 src1_sel:DWORD
	v_lshlrev_b16_e32 v56, 8, v56
	v_lshlrev_b16_e32 v58, 8, v58
	s_waitcnt vmcnt(1)
	v_xor_b32_e32 v3, v3, v60
	v_and_b32_e32 v60, 0xffffff00, v3
	v_sub_i16 v59, v60, v59 clamp
	v_lshlrev_b16_e32 v60, 8, v3
	v_sub_i16 v56, v60, v56 clamp
	v_perm_b32 v56, v56, v59, s29
	v_and_b32_sdwa v59, v3, s28 dst_sel:DWORD dst_unused:UNUSED_PAD src0_sel:WORD_1 src1_sel:DWORD
	v_lshlrev_b16_sdwa v3, v40, v3 dst_sel:DWORD dst_unused:UNUSED_PAD src0_sel:DWORD src1_sel:WORD_1
	v_sub_i16 v59, v59, v61 clamp
	v_sub_i16 v3, v3, v58 clamp
	v_perm_b32 v3, v3, v59, s29
	v_lshl_or_b32 v3, v3, 16, v56
	v_and_b32_e32 v56, 0x80402010, v55
	v_cmp_ne_u16_sdwa s[16:17], v56, v35 src0_sel:BYTE_3 src1_sel:DWORD
	v_cmp_ne_u16_sdwa s[20:21], v56, v35 src0_sel:BYTE_1 src1_sel:DWORD
	v_lshrrev_b32_e32 v55, 22, v55
	v_lshrrev_b16_e32 v56, 4, v56
	v_cndmask_b32_e64 v58, 0, -1, s[20:21]
	v_cndmask_b32_e64 v60, 0, -1, s[16:17]
	v_bfe_i32 v56, v56, 0, 1
	v_lshlrev_b16_e32 v58, 8, v58
	v_bfe_i32 v55, v55, 0, 1
	v_lshlrev_b16_e32 v60, 8, v60
	v_or_b32_sdwa v59, v56, v58 dst_sel:DWORD dst_unused:UNUSED_PAD src0_sel:BYTE_0 src1_sel:DWORD
	v_or_b32_sdwa v61, v55, v60 dst_sel:WORD_1 dst_unused:UNUSED_PAD src0_sel:BYTE_0 src1_sel:DWORD
	v_or_b32_sdwa v59, v59, v61 dst_sel:DWORD dst_unused:UNUSED_PAD src0_sel:WORD_0 src1_sel:DWORD
	s_waitcnt vmcnt(0)
	v_xor_b32_e32 v52, v52, v59
	v_and_b32_e32 v59, 0xffffff00, v52
	v_sub_i16 v58, v59, v58 clamp
	v_lshlrev_b16_e32 v59, 8, v52
	v_lshlrev_b16_e32 v56, 8, v56
	v_sub_i16 v56, v59, v56 clamp
	v_perm_b32 v56, v56, v58, s29
	v_and_b32_sdwa v58, v52, s28 dst_sel:DWORD dst_unused:UNUSED_PAD src0_sel:WORD_1 src1_sel:DWORD
	v_lshlrev_b16_sdwa v52, v40, v52 dst_sel:DWORD dst_unused:UNUSED_PAD src0_sel:DWORD src1_sel:WORD_1
	v_lshlrev_b16_e32 v55, 8, v55
	v_sub_i16 v58, v58, v60 clamp
	v_sub_i16 v52, v52, v55 clamp
	v_perm_b32 v52, v52, v58, s29
	v_lshl_or_b32 v52, v52, 16, v56
	v_dot4_i32_i8 v4, v3, v5, v4
	v_dot4_i32_i8 v54, v52, v54, v4
	v_lshrrev_b32_e32 v5, 31, v54
	v_add_u32_e32 v5, v54, v5
	v_lshrrev_b32_e32 v4, 28, v57
	v_ashrrev_i32_e32 v5, 1, v5
	v_mad_u64_u32 v[54:55], s[16:17], v54, v4, v[5:6]
	v_lshrrev_b32_e32 v5, 31, v54
	v_add_u32_e32 v5, v54, v5
	v_ashrrev_i32_e32 v54, 1, v5
	global_load_ushort v5, v[16:17], off
	v_cvt_f32_i32_e32 v17, v54
	s_waitcnt vmcnt(0)
	v_cvt_f32_f16_e32 v5, v5
	v_mul_f32_e32 v16, v5, v53
	v_fmac_f32_e32 v32, v16, v17
	v_add_u32_e32 v16, s1, v36
	v_mad_u64_u32 v[16:17], s[16:17], v16, 36, v[10:11]
	global_load_dword v61, v[16:17], off offset:32
	global_load_dwordx4 v[53:56], v[16:17], off offset:16
	global_load_dwordx4 v[57:60], v[16:17], off
	s_waitcnt vmcnt(0)
	v_dot4_i32_i8 v16, v6, v58, 0
	v_dot4_i32_i8 v16, v41, v59, v16
	v_dot4_i32_i8 v16, v42, v60, v16
	v_dot4_i32_i8 v16, v43, v53, v16
	v_dot4_i32_i8 v16, v44, v54, v16
	v_dot4_i32_i8 v16, v45, v55, v16
	v_dot4_i32_i8 v16, v46, v56, v16
	v_dot4_i32_i8 v17, v48, v61, v16
	v_lshrrev_b32_e32 v16, 31, v17
	v_add_u32_e32 v16, v17, v16
	v_ashrrev_i32_e32 v16, 1, v16
	v_mad_u64_u32 v[16:17], s[16:17], v17, v47, v[16:17]
	v_cvt_f32_f16_e32 v57, v57
	v_lshrrev_b32_e32 v17, 31, v16
	v_add_u32_e32 v16, v16, v17
	v_ashrrev_i32_e32 v16, 1, v16
	v_cvt_f32_i32_e32 v16, v16
	v_mul_f32_e32 v17, v49, v57
	v_fmac_f32_e32 v31, v17, v16
	v_dot4_i32_i8 v16, v50, v58, 0
	v_dot4_i32_i8 v16, v51, v59, v16
	v_dot4_i32_i8 v16, v7, v60, v16
	v_dot4_i32_i8 v16, v8, v53, v16
	v_dot4_i32_i8 v16, v2, v54, v16
	v_dot4_i32_i8 v16, v9, v55, v16
	v_dot4_i32_i8 v16, v3, v56, v16
	v_dot4_i32_i8 v17, v52, v61, v16
	v_lshrrev_b32_e32 v16, 31, v17
	v_add_u32_e32 v16, v17, v16
	v_ashrrev_i32_e32 v16, 1, v16
	v_mad_u64_u32 v[16:17], s[16:17], v17, v4, v[16:17]
	v_lshrrev_b32_e32 v17, 31, v16
	v_add_u32_e32 v16, v16, v17
	v_ashrrev_i32_e32 v16, 1, v16
	v_cvt_f32_i32_e32 v16, v16
	v_mul_f32_e32 v17, v5, v57
	v_fmac_f32_e32 v30, v17, v16
	v_add_u32_e32 v16, s3, v36
	v_mad_u64_u32 v[16:17], s[16:17], v16, 36, v[10:11]
	global_load_dword v61, v[16:17], off offset:32
	global_load_dwordx4 v[53:56], v[16:17], off offset:16
	global_load_dwordx4 v[57:60], v[16:17], off
	s_waitcnt vmcnt(0)
	v_dot4_i32_i8 v16, v6, v58, 0
	v_dot4_i32_i8 v16, v41, v59, v16
	v_dot4_i32_i8 v16, v42, v60, v16
	v_dot4_i32_i8 v16, v43, v53, v16
	v_dot4_i32_i8 v16, v44, v54, v16
	v_dot4_i32_i8 v16, v45, v55, v16
	v_dot4_i32_i8 v16, v46, v56, v16
	v_dot4_i32_i8 v17, v48, v61, v16
	v_lshrrev_b32_e32 v16, 31, v17
	v_add_u32_e32 v16, v17, v16
	v_ashrrev_i32_e32 v16, 1, v16
	v_mad_u64_u32 v[16:17], s[16:17], v17, v47, v[16:17]
	v_cvt_f32_f16_e32 v57, v57
	v_lshrrev_b32_e32 v17, 31, v16
	v_add_u32_e32 v16, v16, v17
	v_ashrrev_i32_e32 v16, 1, v16
	v_cvt_f32_i32_e32 v16, v16
	v_mul_f32_e32 v17, v49, v57
	v_fmac_f32_e32 v29, v17, v16
	v_dot4_i32_i8 v16, v50, v58, 0
	v_dot4_i32_i8 v16, v51, v59, v16
	v_dot4_i32_i8 v16, v7, v60, v16
	v_dot4_i32_i8 v16, v8, v53, v16
	v_dot4_i32_i8 v16, v2, v54, v16
	v_dot4_i32_i8 v16, v9, v55, v16
	v_dot4_i32_i8 v16, v3, v56, v16
	v_dot4_i32_i8 v17, v52, v61, v16
	v_lshrrev_b32_e32 v16, 31, v17
	v_add_u32_e32 v16, v17, v16
	v_ashrrev_i32_e32 v16, 1, v16
	v_mad_u64_u32 v[16:17], s[16:17], v17, v4, v[16:17]
	v_lshrrev_b32_e32 v17, 31, v16
	v_add_u32_e32 v16, v16, v17
	v_ashrrev_i32_e32 v16, 1, v16
	v_cvt_f32_i32_e32 v16, v16
	;; [unrolled: 43-line block ×6, first 2 shown]
	v_mul_f32_e32 v17, v5, v57
	v_fmac_f32_e32 v20, v17, v16
	v_add_u32_e32 v16, s26, v36
	v_mad_u64_u32 v[16:17], s[16:17], v16, 36, v[10:11]
	global_load_dword v61, v[16:17], off offset:32
	global_load_dwordx4 v[53:56], v[16:17], off offset:16
	global_load_dwordx4 v[57:60], v[16:17], off
	v_add_u32_e32 v36, 64, v36
	s_waitcnt vmcnt(0)
	v_dot4_i32_i8 v6, v6, v58, 0
	v_dot4_i32_i8 v6, v41, v59, v6
	;; [unrolled: 1-line block ×8, first 2 shown]
	v_lshrrev_b32_e32 v6, 31, v17
	v_add_u32_e32 v6, v17, v6
	v_ashrrev_i32_e32 v6, 1, v6
	v_mad_u64_u32 v[41:42], s[16:17], v17, v47, v[6:7]
	v_cvt_f32_f16_e32 v16, v57
	v_lshrrev_b32_e32 v6, 31, v41
	v_add_u32_e32 v6, v41, v6
	v_ashrrev_i32_e32 v6, 1, v6
	v_cvt_f32_i32_e32 v6, v6
	v_mul_f32_e32 v17, v49, v16
	v_fmac_f32_e32 v19, v17, v6
	v_dot4_i32_i8 v6, v50, v58, 0
	v_dot4_i32_i8 v6, v51, v59, v6
	;; [unrolled: 1-line block ×8, first 2 shown]
	v_lshrrev_b32_e32 v2, 31, v3
	v_add_u32_e32 v2, v3, v2
	v_ashrrev_i32_e32 v2, 1, v2
	v_mad_u64_u32 v[2:3], s[16:17], v3, v4, v[2:3]
	v_lshrrev_b32_e32 v3, 31, v2
	v_add_u32_e32 v2, v2, v3
	v_ashrrev_i32_e32 v2, 1, v2
	v_cvt_f32_i32_e32 v2, v2
	v_mul_f32_e32 v3, v5, v16
	v_fmac_f32_e32 v18, v3, v2
	s_andn2_b64 exec, exec, s[12:13]
	s_cbranch_execnz .LBB203_2
; %bb.3:
	s_or_b64 exec, exec, s[12:13]
.LBB203_4:
	s_or_b64 exec, exec, s[10:11]
	s_mov_b32 s1, 0
	v_cmp_eq_u32_e32 vcc, 0, v1
	; wave barrier
	s_and_saveexec_b64 s[10:11], vcc
	s_cbranch_execz .LBB203_21
; %bb.5:
	v_mbcnt_lo_u32_b32 v1, -1, 0
	v_mbcnt_hi_u32_b32 v6, -1, v1
	v_and_b32_e32 v1, 64, v6
	v_add_u32_e32 v7, 64, v1
	v_xor_b32_e32 v1, 32, v6
	v_cmp_lt_i32_e32 vcc, v1, v7
	v_cndmask_b32_e32 v1, v6, v1, vcc
	v_lshlrev_b32_e32 v1, 2, v1
	ds_bpermute_b32 v5, v1, v33
	ds_bpermute_b32 v8, v1, v32
	v_xor_b32_e32 v2, 16, v6
	v_cmp_lt_i32_e32 vcc, v2, v7
	v_cndmask_b32_e32 v2, v6, v2, vcc
	v_lshlrev_b32_e32 v2, 2, v2
	s_waitcnt lgkmcnt(1)
	v_add_f32_e32 v5, v33, v5
	s_waitcnt lgkmcnt(0)
	v_add_f32_e32 v8, v32, v8
	ds_bpermute_b32 v10, v2, v5
	ds_bpermute_b32 v11, v2, v8
	v_xor_b32_e32 v3, 8, v6
	v_cmp_lt_i32_e32 vcc, v3, v7
	v_cndmask_b32_e32 v3, v6, v3, vcc
	v_lshlrev_b32_e32 v3, 2, v3
	s_waitcnt lgkmcnt(1)
	v_add_f32_e32 v10, v5, v10
	s_waitcnt lgkmcnt(0)
	v_add_f32_e32 v8, v8, v11
	;; [unrolled: 10-line block ×3, first 2 shown]
	ds_bpermute_b32 v12, v4, v10
	ds_bpermute_b32 v11, v4, v8
	v_xor_b32_e32 v9, 2, v6
	v_cmp_lt_i32_e32 vcc, v9, v7
	v_cndmask_b32_e32 v9, v6, v9, vcc
	v_lshlrev_b32_e32 v5, 2, v9
	v_xor_b32_e32 v9, 1, v6
	v_cmp_lt_i32_e32 vcc, v9, v7
	s_waitcnt lgkmcnt(1)
	v_add_f32_e32 v7, v10, v12
	s_waitcnt lgkmcnt(0)
	v_add_f32_e32 v10, v8, v11
	v_cndmask_b32_e32 v6, v6, v9, vcc
	ds_bpermute_b32 v9, v5, v7
	ds_bpermute_b32 v11, v5, v10
	s_load_dwordx2 s[4:5], s[4:5], 0x38
	s_mul_i32 s3, s14, s7
	v_lshlrev_b32_e32 v8, 2, v6
	s_waitcnt lgkmcnt(0)
	v_add_f32_e32 v6, v7, v9
	v_add_f32_e32 v9, v10, v11
	s_mul_i32 s0, s18, s8
	s_add_i32 s3, s3, s6
	ds_bpermute_b32 v7, v8, v6
	ds_bpermute_b32 v10, v8, v9
	s_add_i32 s0, s3, s0
	s_lshl_b64 s[0:1], s[0:1], 2
	s_add_u32 s4, s4, s0
	v_add_u32_e32 v11, s6, v0
	s_addc_u32 s5, s5, s1
	v_cmp_gt_u32_e32 vcc, 2, v0
	v_cmp_gt_u32_e64 s[0:1], s2, v11
	s_and_b64 s[0:1], vcc, s[0:1]
	s_waitcnt lgkmcnt(1)
	v_add_f32_e32 v6, v6, v7
	s_waitcnt lgkmcnt(0)
	v_add_f32_e32 v7, v9, v10
	s_and_saveexec_b64 s[6:7], s[0:1]
	s_cbranch_execz .LBB203_7
; %bb.6:
	v_cmp_eq_u32_e32 vcc, 1, v0
	v_cndmask_b32_e32 v9, v6, v7, vcc
	v_cmp_eq_u32_e32 vcc, 2, v0
	v_cndmask_b32_e32 v9, v9, v31, vcc
	;; [unrolled: 2-line block ×15, first 2 shown]
	v_lshlrev_b32_e32 v10, 2, v0
	global_store_dword v10, v9, s[4:5]
.LBB203_7:
	s_or_b64 exec, exec, s[6:7]
	ds_bpermute_b32 v9, v1, v31
	ds_bpermute_b32 v10, v1, v30
	s_waitcnt lgkmcnt(1)
	v_add_f32_e32 v9, v31, v9
	s_waitcnt lgkmcnt(0)
	v_add_f32_e32 v10, v30, v10
	ds_bpermute_b32 v11, v2, v9
	ds_bpermute_b32 v12, v2, v10
	s_waitcnt lgkmcnt(1)
	v_add_f32_e32 v9, v9, v11
	s_waitcnt lgkmcnt(0)
	v_add_f32_e32 v10, v10, v12
	;; [unrolled: 6-line block ×6, first 2 shown]
	s_and_saveexec_b64 s[6:7], s[0:1]
	s_cbranch_execz .LBB203_9
; %bb.8:
	v_add_u32_e32 v11, 2, v0
	v_cmp_eq_u32_e32 vcc, 1, v11
	v_cndmask_b32_e32 v12, v6, v7, vcc
	v_cmp_eq_u32_e32 vcc, 2, v11
	v_cndmask_b32_e32 v12, v12, v10, vcc
	;; [unrolled: 2-line block ×15, first 2 shown]
	v_add_u32_e32 v11, s2, v0
	v_mov_b32_e32 v12, 0
	v_lshlrev_b64 v[11:12], 2, v[11:12]
	v_mov_b32_e32 v14, s5
	v_add_co_u32_e32 v11, vcc, s4, v11
	v_addc_co_u32_e32 v12, vcc, v14, v12, vcc
	global_store_dword v[11:12], v13, off
.LBB203_9:
	s_or_b64 exec, exec, s[6:7]
	ds_bpermute_b32 v11, v1, v29
	ds_bpermute_b32 v12, v1, v28
	s_waitcnt lgkmcnt(1)
	v_add_f32_e32 v11, v29, v11
	s_waitcnt lgkmcnt(0)
	v_add_f32_e32 v12, v28, v12
	ds_bpermute_b32 v13, v2, v11
	ds_bpermute_b32 v14, v2, v12
	s_waitcnt lgkmcnt(1)
	v_add_f32_e32 v11, v11, v13
	s_waitcnt lgkmcnt(0)
	v_add_f32_e32 v12, v12, v14
	;; [unrolled: 6-line block ×6, first 2 shown]
	s_and_saveexec_b64 s[6:7], s[0:1]
	s_cbranch_execz .LBB203_11
; %bb.10:
	v_add_u32_e32 v13, 4, v0
	v_cmp_eq_u32_e32 vcc, 1, v13
	v_cndmask_b32_e32 v14, v6, v7, vcc
	v_cmp_eq_u32_e32 vcc, 2, v13
	v_cndmask_b32_e32 v14, v14, v10, vcc
	;; [unrolled: 2-line block ×15, first 2 shown]
	v_lshl_or_b32 v13, s2, 1, v0
	v_mov_b32_e32 v14, 0
	v_lshlrev_b64 v[13:14], 2, v[13:14]
	v_mov_b32_e32 v16, s5
	v_add_co_u32_e32 v13, vcc, s4, v13
	v_addc_co_u32_e32 v14, vcc, v16, v14, vcc
	global_store_dword v[13:14], v15, off
.LBB203_11:
	s_or_b64 exec, exec, s[6:7]
	ds_bpermute_b32 v13, v1, v27
	ds_bpermute_b32 v14, v1, v26
	s_waitcnt lgkmcnt(1)
	v_add_f32_e32 v13, v27, v13
	s_waitcnt lgkmcnt(0)
	v_add_f32_e32 v14, v26, v14
	ds_bpermute_b32 v15, v2, v13
	ds_bpermute_b32 v16, v2, v14
	s_waitcnt lgkmcnt(1)
	v_add_f32_e32 v13, v13, v15
	s_waitcnt lgkmcnt(0)
	v_add_f32_e32 v14, v14, v16
	;; [unrolled: 6-line block ×6, first 2 shown]
	s_and_saveexec_b64 s[6:7], s[0:1]
	s_cbranch_execz .LBB203_13
; %bb.12:
	v_add_u32_e32 v17, 6, v0
	v_cmp_eq_u32_e32 vcc, 1, v17
	v_cndmask_b32_e32 v15, v6, v7, vcc
	v_cmp_eq_u32_e32 vcc, 2, v17
	v_cndmask_b32_e32 v15, v15, v10, vcc
	;; [unrolled: 2-line block ×14, first 2 shown]
	v_mad_u64_u32 v[15:16], s[8:9], s2, 3, v[0:1]
	v_mov_b32_e32 v16, 0
	v_cmp_eq_u32_e32 vcc, 15, v17
	v_lshlrev_b64 v[15:16], 2, v[15:16]
	v_cndmask_b32_e32 v17, v26, v18, vcc
	v_mov_b32_e32 v26, s5
	v_add_co_u32_e32 v15, vcc, s4, v15
	v_addc_co_u32_e32 v16, vcc, v26, v16, vcc
	global_store_dword v[15:16], v17, off
.LBB203_13:
	s_or_b64 exec, exec, s[6:7]
	ds_bpermute_b32 v15, v1, v25
	ds_bpermute_b32 v16, v1, v24
	s_waitcnt lgkmcnt(1)
	v_add_f32_e32 v15, v25, v15
	s_waitcnt lgkmcnt(0)
	v_add_f32_e32 v16, v24, v16
	ds_bpermute_b32 v17, v2, v15
	ds_bpermute_b32 v24, v2, v16
	s_waitcnt lgkmcnt(1)
	v_add_f32_e32 v15, v15, v17
	s_waitcnt lgkmcnt(0)
	v_add_f32_e32 v16, v16, v24
	ds_bpermute_b32 v17, v3, v15
	ds_bpermute_b32 v24, v3, v16
	s_waitcnt lgkmcnt(1)
	v_add_f32_e32 v15, v15, v17
	s_waitcnt lgkmcnt(0)
	v_add_f32_e32 v16, v16, v24
	ds_bpermute_b32 v17, v4, v15
	ds_bpermute_b32 v24, v4, v16
	s_waitcnt lgkmcnt(1)
	v_add_f32_e32 v15, v15, v17
	s_waitcnt lgkmcnt(0)
	v_add_f32_e32 v16, v16, v24
	ds_bpermute_b32 v17, v5, v15
	ds_bpermute_b32 v24, v5, v16
	s_waitcnt lgkmcnt(1)
	v_add_f32_e32 v15, v15, v17
	s_waitcnt lgkmcnt(0)
	v_add_f32_e32 v17, v16, v24
	ds_bpermute_b32 v16, v8, v15
	ds_bpermute_b32 v24, v8, v17
	s_waitcnt lgkmcnt(1)
	v_add_f32_e32 v16, v15, v16
	s_waitcnt lgkmcnt(0)
	v_add_f32_e32 v15, v17, v24
	s_and_saveexec_b64 s[6:7], s[0:1]
	s_cbranch_execz .LBB203_15
; %bb.14:
	v_add_u32_e32 v17, 8, v0
	v_cmp_eq_u32_e32 vcc, 1, v17
	v_cndmask_b32_e32 v24, v6, v7, vcc
	v_cmp_eq_u32_e32 vcc, 2, v17
	v_cndmask_b32_e32 v24, v24, v10, vcc
	v_cmp_eq_u32_e32 vcc, 3, v17
	v_cndmask_b32_e32 v24, v24, v9, vcc
	v_cmp_eq_u32_e32 vcc, 4, v17
	v_cndmask_b32_e32 v24, v24, v12, vcc
	v_cmp_eq_u32_e32 vcc, 5, v17
	v_cndmask_b32_e32 v24, v24, v11, vcc
	v_cmp_eq_u32_e32 vcc, 6, v17
	v_cndmask_b32_e32 v24, v24, v14, vcc
	v_cmp_eq_u32_e32 vcc, 7, v17
	v_cndmask_b32_e32 v24, v24, v13, vcc
	v_cmp_eq_u32_e32 vcc, 8, v17
	v_cndmask_b32_e32 v24, v24, v16, vcc
	v_cmp_eq_u32_e32 vcc, 9, v17
	v_cndmask_b32_e32 v24, v24, v15, vcc
	v_cmp_eq_u32_e32 vcc, 10, v17
	v_cndmask_b32_e32 v24, v24, v23, vcc
	v_cmp_eq_u32_e32 vcc, 11, v17
	v_cndmask_b32_e32 v24, v24, v22, vcc
	v_cmp_eq_u32_e32 vcc, 12, v17
	v_cndmask_b32_e32 v24, v24, v21, vcc
	v_cmp_eq_u32_e32 vcc, 13, v17
	v_cndmask_b32_e32 v24, v24, v20, vcc
	v_cmp_eq_u32_e32 vcc, 14, v17
	v_cndmask_b32_e32 v24, v24, v19, vcc
	v_cmp_eq_u32_e32 vcc, 15, v17
	v_cndmask_b32_e32 v17, v24, v18, vcc
	v_lshl_or_b32 v24, s2, 2, v0
	v_mov_b32_e32 v25, 0
	v_lshlrev_b64 v[24:25], 2, v[24:25]
	v_mov_b32_e32 v26, s5
	v_add_co_u32_e32 v24, vcc, s4, v24
	v_addc_co_u32_e32 v25, vcc, v26, v25, vcc
	global_store_dword v[24:25], v17, off
.LBB203_15:
	s_or_b64 exec, exec, s[6:7]
	ds_bpermute_b32 v17, v1, v23
	ds_bpermute_b32 v24, v1, v22
	s_waitcnt lgkmcnt(1)
	v_add_f32_e32 v17, v23, v17
	s_waitcnt lgkmcnt(0)
	v_add_f32_e32 v22, v22, v24
	ds_bpermute_b32 v23, v2, v17
	ds_bpermute_b32 v24, v2, v22
	s_waitcnt lgkmcnt(1)
	v_add_f32_e32 v17, v17, v23
	s_waitcnt lgkmcnt(0)
	v_add_f32_e32 v22, v22, v24
	;; [unrolled: 6-line block ×6, first 2 shown]
	s_and_saveexec_b64 s[6:7], s[0:1]
	s_cbranch_execz .LBB203_17
; %bb.16:
	v_add_u32_e32 v25, 10, v0
	v_cmp_eq_u32_e32 vcc, 1, v25
	v_cndmask_b32_e32 v23, v6, v7, vcc
	v_cmp_eq_u32_e32 vcc, 2, v25
	v_cndmask_b32_e32 v23, v23, v10, vcc
	;; [unrolled: 2-line block ×14, first 2 shown]
	v_mad_u64_u32 v[23:24], s[8:9], s2, 5, v[0:1]
	v_mov_b32_e32 v24, 0
	v_cmp_eq_u32_e32 vcc, 15, v25
	v_lshlrev_b64 v[23:24], 2, v[23:24]
	v_cndmask_b32_e32 v25, v26, v18, vcc
	v_mov_b32_e32 v26, s5
	v_add_co_u32_e32 v23, vcc, s4, v23
	v_addc_co_u32_e32 v24, vcc, v26, v24, vcc
	global_store_dword v[23:24], v25, off
.LBB203_17:
	s_or_b64 exec, exec, s[6:7]
	ds_bpermute_b32 v23, v1, v21
	ds_bpermute_b32 v24, v1, v20
	s_waitcnt lgkmcnt(1)
	v_add_f32_e32 v21, v21, v23
	s_waitcnt lgkmcnt(0)
	v_add_f32_e32 v20, v20, v24
	ds_bpermute_b32 v23, v2, v21
	ds_bpermute_b32 v24, v2, v20
	s_waitcnt lgkmcnt(1)
	v_add_f32_e32 v21, v21, v23
	s_waitcnt lgkmcnt(0)
	v_add_f32_e32 v20, v20, v24
	ds_bpermute_b32 v23, v3, v21
	ds_bpermute_b32 v24, v3, v20
	s_waitcnt lgkmcnt(1)
	v_add_f32_e32 v21, v21, v23
	s_waitcnt lgkmcnt(0)
	v_add_f32_e32 v20, v20, v24
	ds_bpermute_b32 v23, v4, v21
	ds_bpermute_b32 v24, v4, v20
	s_waitcnt lgkmcnt(1)
	v_add_f32_e32 v21, v21, v23
	s_waitcnt lgkmcnt(0)
	v_add_f32_e32 v20, v20, v24
	ds_bpermute_b32 v23, v5, v21
	ds_bpermute_b32 v24, v5, v20
	s_waitcnt lgkmcnt(1)
	v_add_f32_e32 v21, v21, v23
	s_waitcnt lgkmcnt(0)
	v_add_f32_e32 v20, v20, v24
	ds_bpermute_b32 v23, v8, v21
	ds_bpermute_b32 v24, v8, v20
	s_waitcnt lgkmcnt(1)
	v_add_f32_e32 v21, v21, v23
	s_waitcnt lgkmcnt(0)
	v_add_f32_e32 v20, v20, v24
	s_and_saveexec_b64 s[6:7], s[0:1]
	s_cbranch_execz .LBB203_19
; %bb.18:
	v_add_u32_e32 v23, 12, v0
	v_cmp_eq_u32_e32 vcc, 1, v23
	v_cndmask_b32_e32 v24, v6, v7, vcc
	v_cmp_eq_u32_e32 vcc, 2, v23
	v_cndmask_b32_e32 v24, v24, v10, vcc
	;; [unrolled: 2-line block ×14, first 2 shown]
	v_cmp_eq_u32_e32 vcc, 15, v23
	s_mul_i32 s3, s2, 6
	v_cndmask_b32_e32 v25, v24, v18, vcc
	v_or_b32_e32 v23, s3, v0
	v_mov_b32_e32 v24, 0
	v_lshlrev_b64 v[23:24], 2, v[23:24]
	v_mov_b32_e32 v26, s5
	v_add_co_u32_e32 v23, vcc, s4, v23
	v_addc_co_u32_e32 v24, vcc, v26, v24, vcc
	global_store_dword v[23:24], v25, off
.LBB203_19:
	s_or_b64 exec, exec, s[6:7]
	ds_bpermute_b32 v23, v1, v19
	ds_bpermute_b32 v1, v1, v18
	s_waitcnt lgkmcnt(1)
	v_add_f32_e32 v19, v19, v23
	s_waitcnt lgkmcnt(0)
	v_add_f32_e32 v1, v18, v1
	ds_bpermute_b32 v18, v2, v19
	ds_bpermute_b32 v2, v2, v1
	s_waitcnt lgkmcnt(1)
	v_add_f32_e32 v18, v19, v18
	s_waitcnt lgkmcnt(0)
	v_add_f32_e32 v1, v1, v2
	ds_bpermute_b32 v2, v3, v18
	ds_bpermute_b32 v3, v3, v1
	s_waitcnt lgkmcnt(1)
	v_add_f32_e32 v2, v18, v2
	s_waitcnt lgkmcnt(0)
	v_add_f32_e32 v1, v1, v3
	ds_bpermute_b32 v3, v4, v2
	ds_bpermute_b32 v4, v4, v1
	s_waitcnt lgkmcnt(1)
	v_add_f32_e32 v2, v2, v3
	s_waitcnt lgkmcnt(0)
	v_add_f32_e32 v3, v1, v4
	ds_bpermute_b32 v1, v5, v2
	ds_bpermute_b32 v4, v5, v3
	s_waitcnt lgkmcnt(1)
	v_add_f32_e32 v1, v2, v1
	s_waitcnt lgkmcnt(0)
	v_add_f32_e32 v2, v3, v4
	ds_bpermute_b32 v3, v8, v1
	ds_bpermute_b32 v4, v8, v2
	s_and_b64 exec, exec, s[0:1]
	s_cbranch_execz .LBB203_21
; %bb.20:
	s_waitcnt lgkmcnt(1)
	v_add_f32_e32 v1, v1, v3
	v_add_u32_e32 v3, 14, v0
	v_cmp_eq_u32_e32 vcc, 1, v3
	s_waitcnt lgkmcnt(0)
	v_add_f32_e32 v2, v2, v4
	v_cndmask_b32_e32 v4, v6, v7, vcc
	v_cmp_eq_u32_e32 vcc, 2, v3
	v_cndmask_b32_e32 v4, v4, v10, vcc
	v_cmp_eq_u32_e32 vcc, 3, v3
	;; [unrolled: 2-line block ×13, first 2 shown]
	v_cndmask_b32_e32 v4, v4, v1, vcc
	v_mad_u64_u32 v[0:1], s[0:1], s2, 7, v[0:1]
	v_mov_b32_e32 v1, 0
	v_cmp_eq_u32_e32 vcc, 15, v3
	v_lshlrev_b64 v[0:1], 2, v[0:1]
	v_cndmask_b32_e32 v2, v4, v2, vcc
	v_mov_b32_e32 v3, s5
	v_add_co_u32_e32 v0, vcc, s4, v0
	v_addc_co_u32_e32 v1, vcc, v3, v1, vcc
	global_store_dword v[0:1], v2, off
.LBB203_21:
	s_endpgm
	.section	.rodata,"a",@progbits
	.p2align	6, 0x0
	.amdhsa_kernel _ZL13mul_mat_vec_qIL9ggml_type18ELi8ELb0ELb0EEvPKvS2_PKi31ggml_cuda_mm_fusion_args_devicePfj15HIP_vector_typeIjLj3EEjjjS8_jjjS8_jjjj
		.amdhsa_group_segment_fixed_size 0
		.amdhsa_private_segment_fixed_size 0
		.amdhsa_kernarg_size 144
		.amdhsa_user_sgpr_count 6
		.amdhsa_user_sgpr_private_segment_buffer 1
		.amdhsa_user_sgpr_dispatch_ptr 0
		.amdhsa_user_sgpr_queue_ptr 0
		.amdhsa_user_sgpr_kernarg_segment_ptr 1
		.amdhsa_user_sgpr_dispatch_id 0
		.amdhsa_user_sgpr_flat_scratch_init 0
		.amdhsa_user_sgpr_private_segment_size 0
		.amdhsa_uses_dynamic_stack 0
		.amdhsa_system_sgpr_private_segment_wavefront_offset 0
		.amdhsa_system_sgpr_workgroup_id_x 1
		.amdhsa_system_sgpr_workgroup_id_y 1
		.amdhsa_system_sgpr_workgroup_id_z 1
		.amdhsa_system_sgpr_workgroup_info 0
		.amdhsa_system_vgpr_workitem_id 1
		.amdhsa_next_free_vgpr 64
		.amdhsa_next_free_sgpr 32
		.amdhsa_reserve_vcc 1
		.amdhsa_reserve_flat_scratch 0
		.amdhsa_float_round_mode_32 0
		.amdhsa_float_round_mode_16_64 0
		.amdhsa_float_denorm_mode_32 3
		.amdhsa_float_denorm_mode_16_64 3
		.amdhsa_dx10_clamp 1
		.amdhsa_ieee_mode 1
		.amdhsa_fp16_overflow 0
		.amdhsa_exception_fp_ieee_invalid_op 0
		.amdhsa_exception_fp_denorm_src 0
		.amdhsa_exception_fp_ieee_div_zero 0
		.amdhsa_exception_fp_ieee_overflow 0
		.amdhsa_exception_fp_ieee_underflow 0
		.amdhsa_exception_fp_ieee_inexact 0
		.amdhsa_exception_int_div_zero 0
	.end_amdhsa_kernel
	.section	.text._ZL13mul_mat_vec_qIL9ggml_type18ELi8ELb0ELb0EEvPKvS2_PKi31ggml_cuda_mm_fusion_args_devicePfj15HIP_vector_typeIjLj3EEjjjS8_jjjS8_jjjj,"axG",@progbits,_ZL13mul_mat_vec_qIL9ggml_type18ELi8ELb0ELb0EEvPKvS2_PKi31ggml_cuda_mm_fusion_args_devicePfj15HIP_vector_typeIjLj3EEjjjS8_jjjS8_jjjj,comdat
.Lfunc_end203:
	.size	_ZL13mul_mat_vec_qIL9ggml_type18ELi8ELb0ELb0EEvPKvS2_PKi31ggml_cuda_mm_fusion_args_devicePfj15HIP_vector_typeIjLj3EEjjjS8_jjjS8_jjjj, .Lfunc_end203-_ZL13mul_mat_vec_qIL9ggml_type18ELi8ELb0ELb0EEvPKvS2_PKi31ggml_cuda_mm_fusion_args_devicePfj15HIP_vector_typeIjLj3EEjjjS8_jjjS8_jjjj
                                        ; -- End function
	.set _ZL13mul_mat_vec_qIL9ggml_type18ELi8ELb0ELb0EEvPKvS2_PKi31ggml_cuda_mm_fusion_args_devicePfj15HIP_vector_typeIjLj3EEjjjS8_jjjS8_jjjj.num_vgpr, 64
	.set _ZL13mul_mat_vec_qIL9ggml_type18ELi8ELb0ELb0EEvPKvS2_PKi31ggml_cuda_mm_fusion_args_devicePfj15HIP_vector_typeIjLj3EEjjjS8_jjjS8_jjjj.num_agpr, 0
	.set _ZL13mul_mat_vec_qIL9ggml_type18ELi8ELb0ELb0EEvPKvS2_PKi31ggml_cuda_mm_fusion_args_devicePfj15HIP_vector_typeIjLj3EEjjjS8_jjjS8_jjjj.numbered_sgpr, 32
	.set _ZL13mul_mat_vec_qIL9ggml_type18ELi8ELb0ELb0EEvPKvS2_PKi31ggml_cuda_mm_fusion_args_devicePfj15HIP_vector_typeIjLj3EEjjjS8_jjjS8_jjjj.num_named_barrier, 0
	.set _ZL13mul_mat_vec_qIL9ggml_type18ELi8ELb0ELb0EEvPKvS2_PKi31ggml_cuda_mm_fusion_args_devicePfj15HIP_vector_typeIjLj3EEjjjS8_jjjS8_jjjj.private_seg_size, 0
	.set _ZL13mul_mat_vec_qIL9ggml_type18ELi8ELb0ELb0EEvPKvS2_PKi31ggml_cuda_mm_fusion_args_devicePfj15HIP_vector_typeIjLj3EEjjjS8_jjjS8_jjjj.uses_vcc, 1
	.set _ZL13mul_mat_vec_qIL9ggml_type18ELi8ELb0ELb0EEvPKvS2_PKi31ggml_cuda_mm_fusion_args_devicePfj15HIP_vector_typeIjLj3EEjjjS8_jjjS8_jjjj.uses_flat_scratch, 0
	.set _ZL13mul_mat_vec_qIL9ggml_type18ELi8ELb0ELb0EEvPKvS2_PKi31ggml_cuda_mm_fusion_args_devicePfj15HIP_vector_typeIjLj3EEjjjS8_jjjS8_jjjj.has_dyn_sized_stack, 0
	.set _ZL13mul_mat_vec_qIL9ggml_type18ELi8ELb0ELb0EEvPKvS2_PKi31ggml_cuda_mm_fusion_args_devicePfj15HIP_vector_typeIjLj3EEjjjS8_jjjS8_jjjj.has_recursion, 0
	.set _ZL13mul_mat_vec_qIL9ggml_type18ELi8ELb0ELb0EEvPKvS2_PKi31ggml_cuda_mm_fusion_args_devicePfj15HIP_vector_typeIjLj3EEjjjS8_jjjS8_jjjj.has_indirect_call, 0
	.section	.AMDGPU.csdata,"",@progbits
; Kernel info:
; codeLenInByte = 9500
; TotalNumSgprs: 36
; NumVgprs: 64
; ScratchSize: 0
; MemoryBound: 0
; FloatMode: 240
; IeeeMode: 1
; LDSByteSize: 0 bytes/workgroup (compile time only)
; SGPRBlocks: 4
; VGPRBlocks: 15
; NumSGPRsForWavesPerEU: 36
; NumVGPRsForWavesPerEU: 64
; Occupancy: 4
; WaveLimiterHint : 0
; COMPUTE_PGM_RSRC2:SCRATCH_EN: 0
; COMPUTE_PGM_RSRC2:USER_SGPR: 6
; COMPUTE_PGM_RSRC2:TRAP_HANDLER: 0
; COMPUTE_PGM_RSRC2:TGID_X_EN: 1
; COMPUTE_PGM_RSRC2:TGID_Y_EN: 1
; COMPUTE_PGM_RSRC2:TGID_Z_EN: 1
; COMPUTE_PGM_RSRC2:TIDIG_COMP_CNT: 1
	.section	.text._ZL17mul_mat_vec_q_moeIL9ggml_type19ELi2EEvPKvS2_PKiPfj15HIP_vector_typeIjLj3EEjjjjjjjjj,"axG",@progbits,_ZL17mul_mat_vec_q_moeIL9ggml_type19ELi2EEvPKvS2_PKiPfj15HIP_vector_typeIjLj3EEjjjjjjjjj,comdat
	.globl	_ZL17mul_mat_vec_q_moeIL9ggml_type19ELi2EEvPKvS2_PKiPfj15HIP_vector_typeIjLj3EEjjjjjjjjj ; -- Begin function _ZL17mul_mat_vec_q_moeIL9ggml_type19ELi2EEvPKvS2_PKiPfj15HIP_vector_typeIjLj3EEjjjjjjjjj
	.p2align	8
	.type	_ZL17mul_mat_vec_q_moeIL9ggml_type19ELi2EEvPKvS2_PKiPfj15HIP_vector_typeIjLj3EEjjjjjjjjj,@function
_ZL17mul_mat_vec_q_moeIL9ggml_type19ELi2EEvPKvS2_PKiPfj15HIP_vector_typeIjLj3EEjjjjjjjjj: ; @_ZL17mul_mat_vec_q_moeIL9ggml_type19ELi2EEvPKvS2_PKiPfj15HIP_vector_typeIjLj3EEjjjjjjjjj
; %bb.0:
	s_load_dwordx8 s[8:15], s[4:5], 0x30
	s_waitcnt lgkmcnt(0)
	v_cmp_gt_u32_e32 vcc, s15, v1
	s_and_saveexec_b64 s[0:1], vcc
	s_cbranch_execz .LBB204_7
; %bb.1:
	s_load_dword s0, s[4:5], 0x20
	s_load_dword s2, s[4:5], 0x50
	s_load_dwordx8 s[16:23], s[4:5], 0x0
	v_lshrrev_b32_e32 v6, 3, v0
	s_lshl_b32 s6, s6, 1
	s_waitcnt lgkmcnt(0)
	s_lshr_b32 s15, s0, 8
	v_cmp_gt_u32_e32 vcc, s15, v6
	v_mov_b32_e32 v2, 0
	v_mov_b32_e32 v3, 0
	s_and_saveexec_b64 s[0:1], vcc
	s_cbranch_execz .LBB204_5
; %bb.2:
	v_mul_lo_u32 v2, s2, v1
	v_mov_b32_e32 v3, 0
	v_mov_b32_e32 v7, s21
	s_load_dwordx4 s[24:27], s[4:5], 0x24
	v_add_u32_e32 v2, s7, v2
	v_lshlrev_b64 v[4:5], 2, v[2:3]
	v_lshrrev_b32_e32 v8, 3, v0
	v_add_co_u32_e32 v4, vcc, s20, v4
	v_addc_co_u32_e32 v5, vcc, v7, v5, vcc
	global_load_dword v2, v[4:5], off
	v_mul_lo_u32 v4, s10, v1
	s_waitcnt lgkmcnt(0)
	s_movk_i32 s27, 0x120
	v_mov_b32_e32 v9, s19
	v_and_b32_e32 v7, 7, v0
	v_mad_u64_u32 v[4:5], s[4:5], v4, 36, 0
	s_mul_hi_u32 s4, s24, s7
	s_add_i32 s4, s7, s4
	s_lshr_b32 s4, s4, s25
	s_mul_i32 s19, s4, s26
	v_mad_u64_u32 v[4:5], s[4:5], v8, s27, v[4:5]
	s_sub_i32 s4, s7, s19
	s_mul_i32 s4, s4, s13
	v_mad_u64_u32 v[4:5], s[4:5], s4, 36, v[4:5]
	s_add_i32 s21, s6, 1
	s_mul_i32 s20, s6, s9
	v_mad_u64_u32 v[4:5], s[4:5], v7, 36, v[4:5]
	v_lshlrev_b32_e32 v8, 1, v7
	s_mul_i32 s9, s9, s21
	v_add_co_u32_e32 v4, vcc, s18, v4
	v_addc_co_u32_e32 v5, vcc, v9, v5, vcc
	v_add_co_u32_e32 v4, vcc, 32, v4
	s_mov_b64 s[2:3], 0
	s_movk_i32 s10, 0x700
	v_lshlrev_b32_e32 v7, 1, v7
	v_lshlrev_b32_e32 v8, 1, v8
	v_addc_co_u32_e32 v5, vcc, 0, v5, vcc
	s_getpc_b64 s[4:5]
	s_add_u32 s4, s4, _ZL13iq1s_grid_gpu@rel32@lo+4
	s_addc_u32 s5, s5, _ZL13iq1s_grid_gpu@rel32@hi+12
	s_waitcnt vmcnt(0)
	v_mul_lo_u32 v2, v2, s12
	v_add_u32_e32 v9, s20, v2
	v_add_u32_e32 v10, s9, v2
	v_mov_b32_e32 v2, v3
.LBB204_3:                              ; =>This Inner Loop Header: Depth=1
	v_add_u32_e32 v15, v9, v6
	v_mad_i64_i32 v[15:16], s[12:13], v15, 50, s[16:17]
	v_add_u32_e32 v17, v10, v6
	v_mad_i64_i32 v[17:18], s[12:13], v17, 50, s[16:17]
	v_add_co_u32_e32 v19, vcc, v15, v8
	v_addc_co_u32_e32 v20, vcc, 0, v16, vcc
	v_add_co_u32_e32 v21, vcc, v15, v7
	v_addc_co_u32_e32 v22, vcc, 0, v16, vcc
	;; [unrolled: 2-line block ×3, first 2 shown]
	v_add_co_u32_e32 v25, vcc, v17, v7
	global_load_dwordx4 v[11:14], v[4:5], off offset:-32
	v_addc_co_u32_e32 v26, vcc, 0, v18, vcc
	global_load_dword v27, v[19:20], off offset:2
	global_load_ushort v28, v[21:22], off offset:34
	global_load_dword v29, v[23:24], off offset:2
	global_load_ushort v30, v[25:26], off offset:34
	global_load_ushort v31, v[17:18], off
	global_load_ushort v32, v[15:16], off
	v_add_u32_e32 v6, 8, v6
	s_waitcnt vmcnt(5)
	v_and_b32_e32 v16, 0xff, v27
	s_waitcnt vmcnt(4)
	v_lshlrev_b32_e32 v17, 8, v28
	v_bfe_u32 v18, v27, 8, 8
	v_lshlrev_b32_e32 v19, 5, v28
	v_bfe_u32 v20, v27, 16, 8
	v_lshlrev_b32_e32 v21, 2, v28
	v_lshrrev_b32_e32 v15, 24, v27
	v_lshrrev_b32_e32 v22, 1, v28
	s_waitcnt vmcnt(3)
	v_and_b32_e32 v23, 0xff, v29
	v_and_or_b32 v16, v17, s10, v16
	s_waitcnt vmcnt(2)
	v_lshlrev_b32_e32 v17, 8, v30
	v_and_or_b32 v18, v19, s10, v18
	v_bfe_u32 v19, v29, 8, 8
	v_and_or_b32 v20, v21, s10, v20
	v_lshlrev_b32_e32 v21, 5, v30
	v_and_or_b32 v15, v22, s10, v15
	v_bfe_u32 v22, v29, 16, 8
	v_and_or_b32 v23, v17, s10, v23
	v_lshlrev_b32_e32 v17, 2, v30
	v_lshrrev_b32_e32 v24, 24, v29
	v_and_or_b32 v19, v21, s10, v19
	v_lshrrev_b32_e32 v21, 1, v30
	v_lshlrev_b32_e32 v16, 2, v16
	v_and_or_b32 v22, v17, s10, v22
	v_and_or_b32 v21, v21, s10, v24
	v_lshlrev_b32_e32 v17, 2, v18
	v_lshlrev_b32_e32 v18, 2, v20
	;; [unrolled: 1-line block ×3, first 2 shown]
	global_load_dword v20, v16, s[4:5]
	global_load_dword v24, v17, s[4:5]
	;; [unrolled: 1-line block ×4, first 2 shown]
	v_lshlrev_b32_e32 v23, 2, v23
	v_lshlrev_b32_e32 v19, 2, v19
	v_lshlrev_b32_e32 v22, 2, v22
	v_lshlrev_b32_e32 v21, 2, v21
	s_waitcnt vmcnt(3)
	v_and_b32_e32 v27, 0xf0f0f0f, v20
	v_lshrrev_b32_e32 v15, 4, v20
	v_and_b32_e32 v20, 0xf0f0f0f, v15
	v_dot4_i32_i8 v27, v27, v12, 0
	global_load_dwordx4 v[15:18], v[4:5], off offset:-16
	v_dot4_i32_i8 v20, v20, v13, v27
	global_load_dword v27, v23, s[4:5]
	global_load_dword v29, v19, s[4:5]
	;; [unrolled: 1-line block ×4, first 2 shown]
	v_and_b32_e32 v22, 0x8000, v28
	v_and_b32_e32 v23, 0x8000, v30
	v_cvt_f32_u32_e32 v22, v22
	v_cvt_f32_u32_e32 v23, v23
	s_waitcnt vmcnt(3)
	v_and_b32_e32 v19, 0xf0f0f0f, v27
	v_lshrrev_b32_e32 v21, 4, v27
	v_and_b32_e32 v21, 0xf0f0f0f, v21
	v_dot4_i32_i8 v12, v19, v12, 0
	v_dot4_i32_i8 v12, v21, v13, v12
	v_and_b32_e32 v13, 0xf0f0f0f, v24
	s_waitcnt vmcnt(2)
	v_and_b32_e32 v19, 0xf0f0f0f, v29
	v_dot4_i32_i8 v13, v13, v14, v20
	v_dot4_i32_i8 v12, v19, v14, v12
	v_lshrrev_b32_e32 v14, 4, v24
	v_and_b32_e32 v14, 0xf0f0f0f, v14
	v_dot4_i32_i8 v13, v14, v15, v13
	v_lshrrev_b32_e32 v14, 4, v29
	v_and_b32_e32 v14, 0xf0f0f0f, v14
	v_dot4_i32_i8 v12, v14, v15, v12
	v_and_b32_e32 v14, 0xf0f0f0f, v25
	v_dot4_i32_i8 v13, v14, v16, v13
	s_waitcnt vmcnt(1)
	v_and_b32_e32 v14, 0xf0f0f0f, v33
	v_dot4_i32_i8 v12, v14, v16, v12
	v_lshrrev_b32_e32 v14, 4, v25
	v_and_b32_e32 v14, 0xf0f0f0f, v14
	v_dot4_i32_i8 v13, v14, v17, v13
	global_load_dword v14, v[4:5], off
	v_lshrrev_b32_e32 v15, 4, v33
	v_and_b32_e32 v15, 0xf0f0f0f, v15
	v_dot4_i32_i8 v12, v15, v17, v12
	v_and_b32_e32 v15, 0xf0f0f0f, v26
	v_dot4_i32_i8 v13, v15, v18, v13
	s_waitcnt vmcnt(1)
	v_and_b32_e32 v15, 0xf0f0f0f, v34
	v_dot4_i32_i8 v12, v15, v18, v12
	v_cvt_f32_f16_e32 v18, v32
	v_cvt_f32_f16_e32 v20, v31
	v_lshrrev_b32_e32 v19, 11, v28
	v_lshrrev_b32_e32 v21, 11, v30
	v_and_or_b32 v19, v19, 14, 1
	v_and_or_b32 v21, v21, 14, 1
	v_cvt_f32_ubyte0_e32 v19, v19
	v_cvt_f32_ubyte0_e32 v21, v21
	v_mul_f32_e32 v18, v19, v18
	v_mul_f32_e32 v19, v21, v20
	v_lshrrev_b32_e32 v20, 4, v26
	v_lshrrev_b32_e32 v21, 4, v34
	v_and_b32_e32 v20, 0xf0f0f0f, v20
	v_and_b32_e32 v21, 0xf0f0f0f, v21
	v_cvt_f32_f16_sdwa v17, v11 dst_sel:DWORD dst_unused:UNUSED_PAD src0_sel:WORD_1
	v_mov_b32_e32 v15, 0xbf600000
	v_mov_b32_e32 v16, 0xbf600000
	v_add_co_u32_e32 v4, vcc, 0x900, v4
	v_fmac_f32_e32 v15, 0xb7000000, v22
	v_fmac_f32_e32 v16, 0xb7000000, v23
	v_addc_co_u32_e32 v5, vcc, 0, v5, vcc
	v_mul_f32_e32 v15, v15, v17
	v_cmp_le_u32_e32 vcc, s15, v6
	s_or_b64 s[2:3], vcc, s[2:3]
	s_waitcnt vmcnt(0)
	v_dot4_i32_i8 v13, v20, v14, v13
	v_dot4_i32_i8 v12, v21, v14, v12
	v_cvt_f32_i32_e32 v13, v13
	v_cvt_f32_i32_e32 v12, v12
	v_mul_f32_e32 v14, v16, v17
	v_fma_mix_f32 v13, v13, v11, v15 op_sel_hi:[0,1,0]
	v_fma_mix_f32 v11, v12, v11, v14 op_sel_hi:[0,1,0]
	v_fmac_f32_e32 v3, v18, v13
	v_fmac_f32_e32 v2, v19, v11
	s_andn2_b64 exec, exec, s[2:3]
	s_cbranch_execnz .LBB204_3
; %bb.4:
	s_or_b64 exec, exec, s[2:3]
.LBB204_5:
	s_or_b64 exec, exec, s[0:1]
	v_mbcnt_lo_u32_b32 v4, -1, 0
	v_mbcnt_hi_u32_b32 v4, -1, v4
	v_and_b32_e32 v5, 64, v4
	v_add_u32_e32 v5, 64, v5
	v_xor_b32_e32 v6, 32, v4
	v_cmp_lt_i32_e32 vcc, v6, v5
	v_cndmask_b32_e32 v6, v4, v6, vcc
	v_lshlrev_b32_e32 v6, 2, v6
	ds_bpermute_b32 v9, v6, v3
	ds_bpermute_b32 v6, v6, v2
	v_xor_b32_e32 v7, 16, v4
	v_cmp_lt_i32_e32 vcc, v7, v5
	v_cndmask_b32_e32 v7, v4, v7, vcc
	v_lshlrev_b32_e32 v7, 2, v7
	s_waitcnt lgkmcnt(1)
	v_add_f32_e32 v3, v3, v9
	s_waitcnt lgkmcnt(0)
	v_add_f32_e32 v2, v2, v6
	ds_bpermute_b32 v9, v7, v3
	ds_bpermute_b32 v6, v7, v2
	v_xor_b32_e32 v8, 8, v4
	v_cmp_lt_i32_e32 vcc, v8, v5
	v_cndmask_b32_e32 v8, v4, v8, vcc
	v_lshlrev_b32_e32 v8, 2, v8
	s_waitcnt lgkmcnt(1)
	v_add_f32_e32 v3, v3, v9
	s_waitcnt lgkmcnt(0)
	v_add_f32_e32 v2, v2, v6
	;; [unrolled: 10-line block ×5, first 2 shown]
	ds_bpermute_b32 v3, v5, v2
	ds_bpermute_b32 v5, v5, v4
	v_add_u32_e32 v6, s6, v0
	v_cmp_gt_u32_e32 vcc, 2, v0
	v_cmp_gt_u32_e64 s[0:1], s8, v6
	s_and_b64 s[0:1], vcc, s[0:1]
	s_and_b64 exec, exec, s[0:1]
	s_cbranch_execz .LBB204_7
; %bb.6:
	v_mul_lo_u32 v1, s11, v1
	v_cmp_eq_u32_e32 vcc, 1, v0
	s_mul_i32 s0, s14, s7
	v_or_b32_e32 v0, s6, v0
	v_add3_u32 v0, v0, v1, s0
	v_mov_b32_e32 v1, 0
	v_lshlrev_b64 v[0:1], 2, v[0:1]
	s_waitcnt lgkmcnt(1)
	v_add_f32_e32 v2, v2, v3
	s_waitcnt lgkmcnt(0)
	v_add_f32_e32 v3, v4, v5
	v_cndmask_b32_e32 v2, v2, v3, vcc
	v_mov_b32_e32 v3, s23
	v_add_co_u32_e32 v0, vcc, s22, v0
	v_addc_co_u32_e32 v1, vcc, v3, v1, vcc
	global_store_dword v[0:1], v2, off
.LBB204_7:
	s_endpgm
	.section	.rodata,"a",@progbits
	.p2align	6, 0x0
	.amdhsa_kernel _ZL17mul_mat_vec_q_moeIL9ggml_type19ELi2EEvPKvS2_PKiPfj15HIP_vector_typeIjLj3EEjjjjjjjjj
		.amdhsa_group_segment_fixed_size 0
		.amdhsa_private_segment_fixed_size 0
		.amdhsa_kernarg_size 84
		.amdhsa_user_sgpr_count 6
		.amdhsa_user_sgpr_private_segment_buffer 1
		.amdhsa_user_sgpr_dispatch_ptr 0
		.amdhsa_user_sgpr_queue_ptr 0
		.amdhsa_user_sgpr_kernarg_segment_ptr 1
		.amdhsa_user_sgpr_dispatch_id 0
		.amdhsa_user_sgpr_flat_scratch_init 0
		.amdhsa_user_sgpr_private_segment_size 0
		.amdhsa_uses_dynamic_stack 0
		.amdhsa_system_sgpr_private_segment_wavefront_offset 0
		.amdhsa_system_sgpr_workgroup_id_x 1
		.amdhsa_system_sgpr_workgroup_id_y 1
		.amdhsa_system_sgpr_workgroup_id_z 0
		.amdhsa_system_sgpr_workgroup_info 0
		.amdhsa_system_vgpr_workitem_id 1
		.amdhsa_next_free_vgpr 35
		.amdhsa_next_free_sgpr 28
		.amdhsa_reserve_vcc 1
		.amdhsa_reserve_flat_scratch 0
		.amdhsa_float_round_mode_32 0
		.amdhsa_float_round_mode_16_64 0
		.amdhsa_float_denorm_mode_32 3
		.amdhsa_float_denorm_mode_16_64 3
		.amdhsa_dx10_clamp 1
		.amdhsa_ieee_mode 1
		.amdhsa_fp16_overflow 0
		.amdhsa_exception_fp_ieee_invalid_op 0
		.amdhsa_exception_fp_denorm_src 0
		.amdhsa_exception_fp_ieee_div_zero 0
		.amdhsa_exception_fp_ieee_overflow 0
		.amdhsa_exception_fp_ieee_underflow 0
		.amdhsa_exception_fp_ieee_inexact 0
		.amdhsa_exception_int_div_zero 0
	.end_amdhsa_kernel
	.section	.text._ZL17mul_mat_vec_q_moeIL9ggml_type19ELi2EEvPKvS2_PKiPfj15HIP_vector_typeIjLj3EEjjjjjjjjj,"axG",@progbits,_ZL17mul_mat_vec_q_moeIL9ggml_type19ELi2EEvPKvS2_PKiPfj15HIP_vector_typeIjLj3EEjjjjjjjjj,comdat
.Lfunc_end204:
	.size	_ZL17mul_mat_vec_q_moeIL9ggml_type19ELi2EEvPKvS2_PKiPfj15HIP_vector_typeIjLj3EEjjjjjjjjj, .Lfunc_end204-_ZL17mul_mat_vec_q_moeIL9ggml_type19ELi2EEvPKvS2_PKiPfj15HIP_vector_typeIjLj3EEjjjjjjjjj
                                        ; -- End function
	.set _ZL17mul_mat_vec_q_moeIL9ggml_type19ELi2EEvPKvS2_PKiPfj15HIP_vector_typeIjLj3EEjjjjjjjjj.num_vgpr, 35
	.set _ZL17mul_mat_vec_q_moeIL9ggml_type19ELi2EEvPKvS2_PKiPfj15HIP_vector_typeIjLj3EEjjjjjjjjj.num_agpr, 0
	.set _ZL17mul_mat_vec_q_moeIL9ggml_type19ELi2EEvPKvS2_PKiPfj15HIP_vector_typeIjLj3EEjjjjjjjjj.numbered_sgpr, 28
	.set _ZL17mul_mat_vec_q_moeIL9ggml_type19ELi2EEvPKvS2_PKiPfj15HIP_vector_typeIjLj3EEjjjjjjjjj.num_named_barrier, 0
	.set _ZL17mul_mat_vec_q_moeIL9ggml_type19ELi2EEvPKvS2_PKiPfj15HIP_vector_typeIjLj3EEjjjjjjjjj.private_seg_size, 0
	.set _ZL17mul_mat_vec_q_moeIL9ggml_type19ELi2EEvPKvS2_PKiPfj15HIP_vector_typeIjLj3EEjjjjjjjjj.uses_vcc, 1
	.set _ZL17mul_mat_vec_q_moeIL9ggml_type19ELi2EEvPKvS2_PKiPfj15HIP_vector_typeIjLj3EEjjjjjjjjj.uses_flat_scratch, 0
	.set _ZL17mul_mat_vec_q_moeIL9ggml_type19ELi2EEvPKvS2_PKiPfj15HIP_vector_typeIjLj3EEjjjjjjjjj.has_dyn_sized_stack, 0
	.set _ZL17mul_mat_vec_q_moeIL9ggml_type19ELi2EEvPKvS2_PKiPfj15HIP_vector_typeIjLj3EEjjjjjjjjj.has_recursion, 0
	.set _ZL17mul_mat_vec_q_moeIL9ggml_type19ELi2EEvPKvS2_PKiPfj15HIP_vector_typeIjLj3EEjjjjjjjjj.has_indirect_call, 0
	.section	.AMDGPU.csdata,"",@progbits
; Kernel info:
; codeLenInByte = 1616
; TotalNumSgprs: 32
; NumVgprs: 35
; ScratchSize: 0
; MemoryBound: 0
; FloatMode: 240
; IeeeMode: 1
; LDSByteSize: 0 bytes/workgroup (compile time only)
; SGPRBlocks: 3
; VGPRBlocks: 8
; NumSGPRsForWavesPerEU: 32
; NumVGPRsForWavesPerEU: 35
; Occupancy: 7
; WaveLimiterHint : 1
; COMPUTE_PGM_RSRC2:SCRATCH_EN: 0
; COMPUTE_PGM_RSRC2:USER_SGPR: 6
; COMPUTE_PGM_RSRC2:TRAP_HANDLER: 0
; COMPUTE_PGM_RSRC2:TGID_X_EN: 1
; COMPUTE_PGM_RSRC2:TGID_Y_EN: 1
; COMPUTE_PGM_RSRC2:TGID_Z_EN: 0
; COMPUTE_PGM_RSRC2:TIDIG_COMP_CNT: 1
	.section	.text._ZL13mul_mat_vec_qIL9ggml_type19ELi1ELb1ELb1EEvPKvS2_PKi31ggml_cuda_mm_fusion_args_devicePfj15HIP_vector_typeIjLj3EEjjjS8_jjjS8_jjjj,"axG",@progbits,_ZL13mul_mat_vec_qIL9ggml_type19ELi1ELb1ELb1EEvPKvS2_PKi31ggml_cuda_mm_fusion_args_devicePfj15HIP_vector_typeIjLj3EEjjjS8_jjjS8_jjjj,comdat
	.globl	_ZL13mul_mat_vec_qIL9ggml_type19ELi1ELb1ELb1EEvPKvS2_PKi31ggml_cuda_mm_fusion_args_devicePfj15HIP_vector_typeIjLj3EEjjjS8_jjjS8_jjjj ; -- Begin function _ZL13mul_mat_vec_qIL9ggml_type19ELi1ELb1ELb1EEvPKvS2_PKi31ggml_cuda_mm_fusion_args_devicePfj15HIP_vector_typeIjLj3EEjjjS8_jjjS8_jjjj
	.p2align	8
	.type	_ZL13mul_mat_vec_qIL9ggml_type19ELi1ELb1ELb1EEvPKvS2_PKi31ggml_cuda_mm_fusion_args_devicePfj15HIP_vector_typeIjLj3EEjjjS8_jjjS8_jjjj,@function
_ZL13mul_mat_vec_qIL9ggml_type19ELi1ELb1ELb1EEvPKvS2_PKi31ggml_cuda_mm_fusion_args_devicePfj15HIP_vector_typeIjLj3EEjjjS8_jjjS8_jjjj: ; @_ZL13mul_mat_vec_qIL9ggml_type19ELi1ELb1ELb1EEvPKvS2_PKi31ggml_cuda_mm_fusion_args_devicePfj15HIP_vector_typeIjLj3EEjjjS8_jjjS8_jjjj
; %bb.0:
	s_load_dwordx8 s[12:19], s[4:5], 0x0
	s_load_dwordx4 s[28:31], s[4:5], 0x20
	s_load_dwordx4 s[36:39], s[4:5], 0x40
	s_load_dwordx4 s[20:23], s[4:5], 0x68
	s_mov_b32 s34, s7
	s_waitcnt lgkmcnt(0)
	s_cmp_lg_u64 s[16:17], 0
	s_cselect_b64 s[0:1], -1, 0
	s_cmp_eq_u64 s[16:17], 0
	s_mov_b64 s[2:3], 0
	s_cbranch_scc1 .LBB205_5
; %bb.1:
	s_mov_b32 s35, 0
	s_lshl_b64 s[10:11], s[34:35], 2
	s_add_u32 s10, s16, s10
	s_addc_u32 s11, s17, s11
	s_load_dword s35, s[10:11], 0x0
	s_load_dword s33, s[4:5], 0x50
	;; [unrolled: 1-line block ×3, first 2 shown]
	s_andn2_b64 vcc, exec, s[2:3]
	s_cbranch_vccnz .LBB205_3
.LBB205_2:
	s_load_dwordx2 s[2:3], s[4:5], 0x5c
	s_waitcnt lgkmcnt(0)
	s_mul_hi_u32 s2, s2, s34
	s_add_i32 s2, s34, s2
	s_lshr_b32 s35, s2, s3
.LBB205_3:
	s_andn2_b64 vcc, exec, s[0:1]
	s_cbranch_vccnz .LBB205_6
; %bb.4:
	s_mul_hi_u32 s0, s37, s34
	s_add_i32 s0, s34, s0
	s_lshr_b32 s0, s0, s38
	s_mul_i32 s0, s0, s39
	s_sub_i32 s37, s34, s0
	s_waitcnt lgkmcnt(0)
	s_mov_b32 s43, s35
	s_branch .LBB205_7
.LBB205_5:
                                        ; implicit-def: $sgpr35
	s_load_dword s33, s[4:5], 0x50
	s_load_dword s42, s[4:5], 0x78
	s_branch .LBB205_2
.LBB205_6:
	s_mov_b32 s43, s34
	s_mov_b32 s37, s34
.LBB205_7:
	s_load_dword s9, s[4:5], 0x58
	s_load_dwordx4 s[24:27], s[4:5], 0x80
	s_lshl_b32 s16, s6, 1
	s_cmp_eq_u64 s[18:19], 0
	s_cselect_b64 s[0:1], -1, 0
	v_mov_b32_e32 v16, 0
	s_and_b64 vcc, exec, s[0:1]
	v_cmp_gt_u32_e64 s[2:3], 2, v0
	v_cmp_eq_u32_e64 s[6:7], 0, v1
	v_add_u32_e32 v15, s16, v0
	v_mov_b32_e32 v17, 0
	s_cbranch_vccnz .LBB205_11
; %bb.8:
	s_waitcnt lgkmcnt(0)
	v_cmp_gt_u32_e32 vcc, s9, v15
	s_and_b64 s[2:3], s[2:3], vcc
	s_mov_b32 s11, 0
	s_and_b64 s[6:7], s[2:3], s[6:7]
	v_mov_b32_e32 v17, 0
	s_and_saveexec_b64 s[2:3], s[6:7]
	s_cbranch_execz .LBB205_10
; %bb.9:
	s_mul_i32 s10, s26, s8
	s_lshl_b64 s[6:7], s[10:11], 2
	s_add_u32 s17, s18, s6
	s_mul_i32 s10, s43, s22
	s_addc_u32 s18, s19, s7
	s_lshl_b64 s[6:7], s[10:11], 2
	s_add_u32 s10, s17, s6
	s_addc_u32 s11, s18, s7
	s_ashr_i32 s17, s16, 31
	s_lshl_b64 s[6:7], s[16:17], 2
	s_add_u32 s6, s10, s6
	s_addc_u32 s7, s11, s7
	v_lshlrev_b32_e32 v2, 2, v0
	global_load_dword v17, v2, s[6:7]
.LBB205_10:
	s_or_b64 exec, exec, s[2:3]
.LBB205_11:
	s_cmp_lg_u64 s[28:29], 0
	s_cselect_b64 s[18:19], -1, 0
	s_cmp_eq_u64 s[28:29], 0
	s_cselect_b64 s[38:39], -1, 0
	s_cmp_lg_u64 s[30:31], 0
	s_cselect_b64 s[2:3], -1, 0
	s_and_b64 s[6:7], s[2:3], s[18:19]
	s_andn2_b64 vcc, exec, s[6:7]
	s_waitcnt lgkmcnt(0)
	v_cmp_gt_u32_e64 s[6:7], s9, v15
	s_cbranch_vccnz .LBB205_15
; %bb.12:
	v_cmp_gt_u32_e32 vcc, 2, v0
	v_cmp_eq_u32_e64 s[10:11], 0, v1
	s_and_b64 s[6:7], vcc, s[6:7]
	s_mov_b32 s41, 0
	s_and_b64 s[10:11], s[6:7], s[10:11]
	v_mov_b32_e32 v16, 0
	s_and_saveexec_b64 s[6:7], s[10:11]
	s_cbranch_execz .LBB205_14
; %bb.13:
	s_mul_i32 s40, s26, s8
	s_lshl_b64 s[10:11], s[40:41], 2
	s_add_u32 s17, s30, s10
	s_mul_i32 s40, s43, s22
	s_addc_u32 s27, s31, s11
	s_lshl_b64 s[10:11], s[40:41], 2
	s_add_u32 s30, s17, s10
	s_addc_u32 s27, s27, s11
	s_ashr_i32 s17, s16, 31
	s_lshl_b64 s[10:11], s[16:17], 2
	s_add_u32 s10, s30, s10
	s_addc_u32 s11, s27, s11
	v_lshlrev_b32_e32 v2, 2, v0
	global_load_dword v16, v2, s[10:11]
.LBB205_14:
	s_or_b64 exec, exec, s[6:7]
.LBB205_15:
	v_lshl_add_u32 v2, v1, 6, v0
	v_mov_b32_e32 v12, 0
	s_lshr_b32 s17, s36, 8
	v_lshrrev_b32_e32 v20, 3, v2
	v_mov_b32_e32 v13, v12
	v_mov_b32_e32 v10, v12
	v_cmp_gt_u32_e32 vcc, s17, v20
	v_cndmask_b32_e64 v18, 0, 1, s[18:19]
	v_mov_b32_e32 v19, v12
	v_mov_b32_e32 v11, v13
	s_and_saveexec_b64 s[30:31], vcc
	s_cbranch_execz .LBB205_23
; %bb.16:
	s_mul_hi_u32 s6, s23, s8
	s_add_i32 s6, s8, s6
	s_lshr_b32 s6, s6, s42
	s_mul_i32 s7, s35, s20
	s_mul_i32 s6, s6, s24
	;; [unrolled: 1-line block ×3, first 2 shown]
	s_add_i32 s21, s7, s6
	s_mul_hi_u32 s6, s11, 36
	s_mul_i32 s11, s11, 36
	v_lshrrev_b32_e32 v6, 3, v2
	v_mov_b32_e32 v2, s11
	v_mov_b32_e32 v3, s6
	s_movk_i32 s6, 0x120
	v_mad_u64_u32 v[2:3], s[6:7], v6, s6, v[2:3]
	s_mul_i32 s10, s25, s8
	s_mul_i32 s6, s16, s33
	s_add_i32 s20, s21, s6
	v_mad_u64_u32 v[2:3], s[6:7], s10, 36, v[2:3]
	v_and_b32_e32 v4, 7, v0
	s_add_i32 s6, s16, 1
	s_mul_i32 s33, s33, s6
	v_mad_u64_u32 v[2:3], s[6:7], v4, 36, v[2:3]
	v_mov_b32_e32 v6, s15
	v_lshlrev_b32_e32 v5, 1, v4
	v_add_co_u32_e32 v2, vcc, s14, v2
	v_addc_co_u32_e32 v3, vcc, v6, v3, vcc
	v_mov_b32_e32 v10, 0
	v_add_co_u32_e32 v13, vcc, 32, v2
	s_add_i32 s21, s21, s33
	v_addc_co_u32_e32 v14, vcc, 0, v3, vcc
	v_mov_b32_e32 v11, v10
	s_mov_b64 s[14:15], 0
	v_lshlrev_b32_e32 v21, 1, v4
	s_movk_i32 s23, 0x700
	v_lshlrev_b32_e32 v22, 1, v5
	v_cmp_ne_u32_e64 s[6:7], 1, v18
	v_mov_b32_e32 v19, v10
	v_mov_b32_e32 v12, v10
	s_branch .LBB205_18
.LBB205_17:                             ;   in Loop: Header=BB205_18 Depth=1
	v_and_b32_e32 v37, 0xf0f0f0f, v30
	v_lshrrev_b32_e32 v30, 4, v30
	v_and_b32_e32 v30, 0xf0f0f0f, v30
	v_dot4_i32_i8 v37, v37, v7, 0
	v_dot4_i32_i8 v30, v30, v8, v37
	v_and_b32_e32 v37, 0xf0f0f0f, v29
	v_lshrrev_b32_e32 v29, 4, v29
	v_and_b32_e32 v29, 0xf0f0f0f, v29
	v_dot4_i32_i8 v30, v37, v9, v30
	v_dot4_i32_i8 v29, v29, v2, v30
	;; [unrolled: 5-line block ×4, first 2 shown]
	v_cvt_f32_f16_e32 v26, v26
	v_lshrrev_b32_e32 v28, 11, v23
	v_and_b32_e32 v23, 0x8000, v23
	v_cvt_f32_u32_e32 v23, v23
	v_and_or_b32 v28, v28, 14, 1
	v_cvt_f32_ubyte0_e32 v28, v28
	v_cvt_f32_i32_e32 v27, v27
	v_mul_f32_e32 v26, v28, v26
	v_mov_b32_e32 v28, 0xbf600000
	v_fmac_f32_e32 v28, 0xb7000000, v23
	v_mul_f32_e32 v23, v28, v24
	v_fmac_f32_e32 v23, v6, v27
	v_fmac_f32_e32 v19, v26, v23
	s_waitcnt vmcnt(3)
	v_and_b32_e32 v23, 0xf0f0f0f, v36
	v_lshrrev_b32_e32 v26, 4, v36
	v_and_b32_e32 v26, 0xf0f0f0f, v26
	v_dot4_i32_i8 v7, v23, v7, 0
	v_dot4_i32_i8 v7, v26, v8, v7
	s_waitcnt vmcnt(2)
	v_and_b32_e32 v8, 0xf0f0f0f, v35
	v_lshrrev_b32_e32 v23, 4, v35
	v_and_b32_e32 v23, 0xf0f0f0f, v23
	v_dot4_i32_i8 v7, v8, v9, v7
	v_dot4_i32_i8 v2, v23, v2, v7
	;; [unrolled: 6-line block ×3, first 2 shown]
	s_waitcnt vmcnt(0)
	v_and_b32_e32 v3, 0xf0f0f0f, v33
	v_lshrrev_b32_e32 v4, 4, v33
	v_and_b32_e32 v4, 0xf0f0f0f, v4
	v_dot4_i32_i8 v2, v3, v5, v2
	v_cvt_f32_f16_e32 v3, v32
	v_and_b32_e32 v5, 0x8000, v31
	v_dot4_i32_i8 v2, v4, v25, v2
	v_lshrrev_b32_e32 v4, 11, v31
	v_cvt_f32_u32_e32 v5, v5
	v_and_or_b32 v4, v4, 14, 1
	v_cvt_f32_ubyte0_e32 v4, v4
	v_cvt_f32_i32_e32 v2, v2
	v_mul_f32_e32 v3, v4, v3
	v_mov_b32_e32 v4, 0xbf600000
	v_fmac_f32_e32 v4, 0xb7000000, v5
	v_mul_f32_e32 v4, v4, v24
	v_add_u32_e32 v20, 16, v20
	v_fmac_f32_e32 v4, v6, v2
	v_add_co_u32_e32 v13, vcc, 0x1200, v13
	v_cmp_le_u32_e64 s[10:11], s17, v20
	v_fmac_f32_e32 v12, v3, v4
	s_or_b64 s[14:15], s[10:11], s[14:15]
	v_addc_co_u32_e32 v14, vcc, 0, v14, vcc
	s_andn2_b64 exec, exec, s[14:15]
	s_cbranch_execz .LBB205_22
.LBB205_18:                             ; =>This Inner Loop Header: Depth=1
	v_add_u32_e32 v31, s20, v20
	v_mad_i64_i32 v[24:25], s[10:11], v31, 50, s[12:13]
	s_getpc_b64 s[10:11]
	s_add_u32 s10, s10, _ZL13iq1s_grid_gpu@rel32@lo+4
	s_addc_u32 s11, s11, _ZL13iq1s_grid_gpu@rel32@hi+12
	v_add_co_u32_e32 v2, vcc, v24, v22
	v_addc_co_u32_e32 v3, vcc, 0, v25, vcc
	global_load_dword v28, v[2:3], off offset:2
	v_add_co_u32_e32 v26, vcc, v24, v21
	v_addc_co_u32_e32 v27, vcc, 0, v25, vcc
	global_load_ushort v23, v[26:27], off offset:34
	global_load_dwordx4 v[6:9], v[13:14], off offset:-32
	global_load_dwordx4 v[2:5], v[13:14], off offset:-16
	s_and_b64 vcc, exec, s[6:7]
	global_load_ushort v26, v[24:25], off
	s_waitcnt vmcnt(4)
	v_and_b32_e32 v25, 0xff, v28
	v_lshrrev_b32_e32 v24, 24, v28
	v_bfe_u32 v29, v28, 8, 8
	s_waitcnt vmcnt(3)
	v_lshlrev_b32_e32 v27, 8, v23
	v_lshlrev_b32_e32 v30, 5, v23
	v_bfe_u32 v28, v28, 16, 8
	v_lshlrev_b32_e32 v32, 2, v23
	v_lshrrev_b32_e32 v33, 1, v23
	v_and_or_b32 v25, v27, s23, v25
	v_and_or_b32 v27, v30, s23, v29
	;; [unrolled: 1-line block ×4, first 2 shown]
	v_lshlrev_b32_e32 v32, 2, v25
	v_lshlrev_b32_e32 v33, 2, v27
	;; [unrolled: 1-line block ×4, first 2 shown]
	global_load_dword v30, v32, s[10:11]
	global_load_dword v29, v33, s[10:11]
	;; [unrolled: 1-line block ×4, first 2 shown]
	global_load_dword v25, v[13:14], off
	s_waitcnt vmcnt(7)
	v_cvt_f32_f16_sdwa v24, v6 dst_sel:DWORD dst_unused:UNUSED_PAD src0_sel:WORD_1
	v_cvt_f32_f16_e32 v6, v6
	s_cbranch_vccnz .LBB205_20
; %bb.19:                               ;   in Loop: Header=BB205_18 Depth=1
	v_mad_i64_i32 v[31:32], s[24:25], v31, 50, s[28:29]
	v_add_co_u32_e32 v33, vcc, v31, v22
	v_addc_co_u32_e32 v34, vcc, 0, v32, vcc
	global_load_dword v35, v[33:34], off offset:2
	v_add_co_u32_e32 v33, vcc, v31, v21
	v_addc_co_u32_e32 v34, vcc, 0, v32, vcc
	global_load_ushort v33, v[33:34], off offset:34
	s_waitcnt vmcnt(1)
	v_lshrrev_b32_e32 v36, 24, v35
	global_load_ushort v31, v[31:32], off
	v_and_b32_e32 v34, 0xff, v35
	s_waitcnt vmcnt(1)
	v_lshlrev_b32_e32 v37, 8, v33
	v_and_or_b32 v34, v37, s23, v34
	v_lshlrev_b32_e32 v34, 2, v34
	global_load_dword v34, v34, s[10:11]
	v_lshlrev_b32_e32 v38, 5, v33
	v_lshrrev_b32_e32 v32, 11, v33
	v_and_or_b32 v32, v32, 14, 1
	v_cvt_f32_ubyte0_e32 v32, v32
	s_waitcnt vmcnt(1)
	v_cvt_f32_f16_e32 v31, v31
	v_mul_f32_e32 v31, v32, v31
	v_and_b32_e32 v32, 0x8000, v33
	v_cvt_f32_u32_e32 v32, v32
	s_waitcnt vmcnt(0)
	v_and_b32_e32 v37, 0xf0f0f0f, v34
	v_lshrrev_b32_e32 v34, 4, v34
	v_and_b32_e32 v34, 0xf0f0f0f, v34
	v_dot4_i32_i8 v37, v37, v7, 0
	v_dot4_i32_i8 v34, v34, v8, v37
	v_bfe_u32 v37, v35, 8, 8
	v_and_or_b32 v37, v38, s23, v37
	v_lshlrev_b32_e32 v37, 2, v37
	global_load_dword v37, v37, s[10:11]
	v_bfe_u32 v35, v35, 16, 8
	s_waitcnt vmcnt(0)
	v_and_b32_e32 v38, 0xf0f0f0f, v37
	v_lshrrev_b32_e32 v37, 4, v37
	v_and_b32_e32 v37, 0xf0f0f0f, v37
	v_dot4_i32_i8 v34, v38, v9, v34
	v_dot4_i32_i8 v34, v37, v2, v34
	v_lshlrev_b32_e32 v37, 2, v33
	v_and_or_b32 v35, v37, s23, v35
	v_lshlrev_b32_e32 v35, 2, v35
	global_load_dword v35, v35, s[10:11]
	s_waitcnt vmcnt(0)
	v_and_b32_e32 v37, 0xf0f0f0f, v35
	v_lshrrev_b32_e32 v35, 4, v35
	v_and_b32_e32 v35, 0xf0f0f0f, v35
	v_dot4_i32_i8 v34, v37, v3, v34
	v_dot4_i32_i8 v34, v35, v4, v34
	v_lshrrev_b32_e32 v35, 1, v33
	v_and_or_b32 v35, v35, s23, v36
	v_lshlrev_b32_e32 v35, 2, v35
	global_load_dword v35, v35, s[10:11]
	v_mov_b32_e32 v33, 0xbf600000
	v_fmac_f32_e32 v33, 0xb7000000, v32
	s_waitcnt vmcnt(0)
	v_and_b32_e32 v36, 0xf0f0f0f, v35
	v_lshrrev_b32_e32 v35, 4, v35
	v_and_b32_e32 v35, 0xf0f0f0f, v35
	v_dot4_i32_i8 v34, v36, v5, v34
	v_dot4_i32_i8 v34, v35, v25, v34
	v_cvt_f32_i32_e32 v32, v34
	v_mul_f32_e32 v32, v6, v32
	v_fmac_f32_e32 v32, v33, v24
	v_fma_f32 v10, v31, v32, v10
.LBB205_20:                             ;   in Loop: Header=BB205_18 Depth=1
	v_add_u32_e32 v37, s21, v20
	v_mad_i64_i32 v[33:34], s[24:25], v37, 50, s[12:13]
	v_add_co_u32_e32 v31, vcc, v33, v22
	v_addc_co_u32_e32 v32, vcc, 0, v34, vcc
	v_add_co_u32_e32 v35, vcc, v33, v21
	global_load_dword v38, v[31:32], off offset:2
	v_addc_co_u32_e32 v36, vcc, 0, v34, vcc
	global_load_ushort v31, v[35:36], off offset:34
	global_load_ushort v32, v[33:34], off
	s_and_b64 vcc, exec, s[6:7]
	s_waitcnt vmcnt(2)
	v_and_b32_e32 v34, 0xff, v38
	v_lshrrev_b32_e32 v33, 24, v38
	s_waitcnt vmcnt(1)
	v_lshlrev_b32_e32 v35, 8, v31
	v_bfe_u32 v36, v38, 8, 8
	v_lshlrev_b32_e32 v39, 5, v31
	v_bfe_u32 v38, v38, 16, 8
	v_lshlrev_b32_e32 v40, 2, v31
	v_lshrrev_b32_e32 v41, 1, v31
	v_and_or_b32 v34, v35, s23, v34
	v_and_or_b32 v35, v39, s23, v36
	;; [unrolled: 1-line block ×4, first 2 shown]
	v_lshlrev_b32_e32 v38, 2, v34
	v_lshlrev_b32_e32 v39, 2, v35
	;; [unrolled: 1-line block ×4, first 2 shown]
	global_load_dword v36, v38, s[10:11]
	global_load_dword v35, v39, s[10:11]
	;; [unrolled: 1-line block ×4, first 2 shown]
	s_cbranch_vccnz .LBB205_17
; %bb.21:                               ;   in Loop: Header=BB205_18 Depth=1
	v_mad_i64_i32 v[37:38], s[10:11], v37, 50, s[28:29]
	s_getpc_b64 s[10:11]
	s_add_u32 s10, s10, _ZL13iq1s_grid_gpu@rel32@lo+4
	s_addc_u32 s11, s11, _ZL13iq1s_grid_gpu@rel32@hi+12
	v_add_co_u32_e32 v39, vcc, v37, v22
	v_addc_co_u32_e32 v40, vcc, 0, v38, vcc
	global_load_dword v41, v[39:40], off offset:2
	v_add_co_u32_e32 v39, vcc, v37, v21
	v_addc_co_u32_e32 v40, vcc, 0, v38, vcc
	global_load_ushort v39, v[39:40], off offset:34
	s_waitcnt vmcnt(1)
	v_lshrrev_b32_e32 v42, 24, v41
	global_load_ushort v37, v[37:38], off
	v_and_b32_e32 v40, 0xff, v41
	s_waitcnt vmcnt(1)
	v_lshlrev_b32_e32 v43, 8, v39
	v_and_or_b32 v40, v43, s23, v40
	v_lshlrev_b32_e32 v40, 2, v40
	global_load_dword v40, v40, s[10:11]
	v_lshlrev_b32_e32 v44, 5, v39
	v_lshrrev_b32_e32 v38, 11, v39
	v_and_or_b32 v38, v38, 14, 1
	v_cvt_f32_ubyte0_e32 v38, v38
	s_waitcnt vmcnt(1)
	v_cvt_f32_f16_e32 v37, v37
	v_mul_f32_e32 v37, v38, v37
	v_and_b32_e32 v38, 0x8000, v39
	v_cvt_f32_u32_e32 v38, v38
	s_waitcnt vmcnt(0)
	v_and_b32_e32 v43, 0xf0f0f0f, v40
	v_lshrrev_b32_e32 v40, 4, v40
	v_and_b32_e32 v40, 0xf0f0f0f, v40
	v_dot4_i32_i8 v43, v43, v7, 0
	v_dot4_i32_i8 v40, v40, v8, v43
	v_bfe_u32 v43, v41, 8, 8
	v_and_or_b32 v43, v44, s23, v43
	v_lshlrev_b32_e32 v43, 2, v43
	global_load_dword v43, v43, s[10:11]
	v_bfe_u32 v41, v41, 16, 8
	s_waitcnt vmcnt(0)
	v_and_b32_e32 v44, 0xf0f0f0f, v43
	v_lshrrev_b32_e32 v43, 4, v43
	v_and_b32_e32 v43, 0xf0f0f0f, v43
	v_dot4_i32_i8 v40, v44, v9, v40
	v_dot4_i32_i8 v40, v43, v2, v40
	v_lshlrev_b32_e32 v43, 2, v39
	v_and_or_b32 v41, v43, s23, v41
	v_lshlrev_b32_e32 v41, 2, v41
	global_load_dword v41, v41, s[10:11]
	s_waitcnt vmcnt(0)
	v_and_b32_e32 v43, 0xf0f0f0f, v41
	v_lshrrev_b32_e32 v41, 4, v41
	v_and_b32_e32 v41, 0xf0f0f0f, v41
	v_dot4_i32_i8 v40, v43, v3, v40
	v_dot4_i32_i8 v40, v41, v4, v40
	v_lshrrev_b32_e32 v41, 1, v39
	v_and_or_b32 v41, v41, s23, v42
	v_lshlrev_b32_e32 v41, 2, v41
	global_load_dword v41, v41, s[10:11]
	v_mov_b32_e32 v39, 0xbf600000
	v_fmac_f32_e32 v39, 0xb7000000, v38
	s_waitcnt vmcnt(0)
	v_and_b32_e32 v42, 0xf0f0f0f, v41
	v_lshrrev_b32_e32 v41, 4, v41
	v_and_b32_e32 v41, 0xf0f0f0f, v41
	v_dot4_i32_i8 v40, v42, v5, v40
	v_dot4_i32_i8 v40, v41, v25, v40
	v_cvt_f32_i32_e32 v38, v40
	v_mul_f32_e32 v38, v38, v6
	v_fmac_f32_e32 v38, v39, v24
	v_fma_f32 v11, v37, v38, v11
	s_branch .LBB205_17
.LBB205_22:
	s_or_b64 exec, exec, s[14:15]
.LBB205_23:
	s_or_b64 exec, exec, s[30:31]
	s_load_dword s14, s[4:5], 0x30
	v_cmp_eq_u32_e64 s[6:7], 0, v1
	v_cmp_ne_u32_e32 vcc, 0, v1
	v_lshlrev_b32_e32 v2, 2, v0
	s_and_saveexec_b64 s[10:11], vcc
	s_cbranch_execz .LBB205_28
; %bb.24:
	v_lshl_or_b32 v1, v1, 9, v2
	v_add_u32_e32 v3, 0xfffffe00, v1
	s_mov_b64 s[12:13], -1
	s_and_b64 vcc, exec, s[38:39]
	ds_write_b32 v3, v19
	s_cbranch_vccz .LBB205_26
; %bb.25:
	ds_write_b32 v3, v12 offset:256
	s_mov_b64 s[12:13], 0
.LBB205_26:
	s_andn2_b64 vcc, exec, s[12:13]
	s_cbranch_vccnz .LBB205_28
; %bb.27:
	ds_write_b32 v3, v12 offset:256
	ds_write2st64_b32 v1, v10, v11 offset1:1
.LBB205_28:
	s_or_b64 exec, exec, s[10:11]
	s_waitcnt vmcnt(0) lgkmcnt(0)
	s_barrier
	s_and_saveexec_b64 s[10:11], s[6:7]
	s_cbranch_execz .LBB205_61
; %bb.29:
	ds_read_b32 v4, v2
	v_cmp_ne_u32_e64 s[6:7], 1, v18
	s_andn2_b64 vcc, exec, s[18:19]
	v_or_b32_e32 v3, 0x200, v2
	s_cbranch_vccnz .LBB205_31
; %bb.30:
	ds_read_b32 v1, v3
	s_waitcnt lgkmcnt(0)
	v_add_f32_e32 v10, v10, v1
.LBB205_31:
	v_mbcnt_lo_u32_b32 v1, -1, 0
	v_mbcnt_hi_u32_b32 v5, -1, v1
	v_and_b32_e32 v1, 64, v5
	v_add_u32_e32 v13, 64, v1
	v_xor_b32_e32 v1, 32, v5
	v_cmp_lt_i32_e32 vcc, v1, v13
	v_cndmask_b32_e32 v1, v5, v1, vcc
	v_lshlrev_b32_e32 v1, 2, v1
	s_waitcnt lgkmcnt(0)
	v_add_f32_e32 v4, v19, v4
	ds_bpermute_b32 v7, v1, v4
	v_xor_b32_e32 v6, 16, v5
	v_cmp_lt_i32_e32 vcc, v6, v13
	v_cndmask_b32_e32 v6, v5, v6, vcc
	v_lshlrev_b32_e32 v6, 2, v6
	s_waitcnt lgkmcnt(0)
	v_add_f32_e32 v4, v4, v7
	ds_bpermute_b32 v8, v6, v4
	;; [unrolled: 7-line block ×6, first 2 shown]
	s_and_b64 vcc, exec, s[6:7]
	s_cbranch_vccnz .LBB205_33
; %bb.32:
	ds_bpermute_b32 v14, v1, v10
	s_waitcnt lgkmcnt(0)
	v_add_f32_e32 v10, v10, v14
	ds_bpermute_b32 v14, v6, v10
	s_waitcnt lgkmcnt(0)
	v_add_f32_e32 v10, v10, v14
	;; [unrolled: 3-line block ×6, first 2 shown]
.LBB205_33:
	ds_read_b32 v14, v2 offset:256
	s_and_b64 vcc, exec, s[6:7]
	s_cbranch_vccnz .LBB205_35
; %bb.34:
	ds_read_b32 v3, v3 offset:256
	s_waitcnt lgkmcnt(0)
	v_add_f32_e32 v11, v11, v3
.LBB205_35:
	s_waitcnt lgkmcnt(0)
	v_add_f32_e32 v3, v12, v14
	ds_bpermute_b32 v12, v1, v3
	s_and_b64 vcc, exec, s[6:7]
	s_waitcnt lgkmcnt(0)
	v_add_f32_e32 v3, v3, v12
	ds_bpermute_b32 v12, v6, v3
	s_waitcnt lgkmcnt(0)
	v_add_f32_e32 v3, v3, v12
	ds_bpermute_b32 v12, v7, v3
	;; [unrolled: 3-line block ×5, first 2 shown]
	s_cbranch_vccnz .LBB205_37
; %bb.36:
	ds_bpermute_b32 v1, v1, v11
	s_waitcnt lgkmcnt(0)
	v_add_f32_e32 v1, v11, v1
	ds_bpermute_b32 v6, v6, v1
	s_waitcnt lgkmcnt(0)
	v_add_f32_e32 v1, v1, v6
	;; [unrolled: 3-line block ×6, first 2 shown]
.LBB205_37:
	v_cmp_gt_u32_e32 vcc, s9, v15
	v_cmp_gt_u32_e64 s[10:11], 2, v0
	s_and_b64 s[10:11], s[10:11], vcc
	s_and_b64 exec, exec, s[10:11]
	s_cbranch_execz .LBB205_61
; %bb.38:
	v_add_f32_e32 v1, v4, v5
	s_waitcnt lgkmcnt(0)
	v_add_f32_e32 v3, v3, v12
	v_cmp_eq_u32_e64 s[10:11], 1, v0
	v_cndmask_b32_e64 v0, v1, v3, s[10:11]
	v_add_f32_e32 v1, v17, v0
	s_and_b64 vcc, exec, s[6:7]
	v_cndmask_b32_e64 v0, v1, v0, s[0:1]
	s_cbranch_vccnz .LBB205_60
; %bb.39:
	v_cndmask_b32_e64 v1, v10, v11, s[10:11]
	v_add_f32_e32 v3, v16, v1
	v_cndmask_b32_e64 v1, v1, v3, s[2:3]
	s_cmp_lt_i32 s14, 2
	s_mov_b64 s[0:1], 0
	s_cbranch_scc1 .LBB205_43
; %bb.40:
	s_cmp_gt_i32 s14, 2
	s_cbranch_scc0 .LBB205_44
; %bb.41:
	s_cmp_eq_u32 s14, 3
	s_cbranch_scc0 .LBB205_45
; %bb.42:
	v_max_f32_e32 v3, v1, v1
	v_min_f32_e32 v3, 0x40e00000, v3
	v_mul_f32_e32 v4, 0xbfd9db23, v3
	s_mov_b32 s2, 0x3fb8aa3b
	v_mul_f32_e32 v5, 0x3fb8aa3b, v4
	v_fma_f32 v6, v4, s2, -v5
	v_rndne_f32_e32 v7, v5
	v_fmac_f32_e32 v6, 0x32a5705f, v4
	v_sub_f32_e32 v5, v5, v7
	v_add_f32_e32 v5, v5, v6
	v_exp_f32_e32 v5, v5
	v_cvt_i32_f32_e32 v6, v7
	s_mov_b32 s2, 0xc2ce8ed0
	v_cmp_ngt_f32_e32 vcc, s2, v4
	s_mov_b32 s2, 0x42b17218
	v_ldexp_f32 v5, v5, v6
	v_cndmask_b32_e32 v5, 0, v5, vcc
	v_mov_b32_e32 v6, 0x7f800000
	v_cmp_nlt_f32_e32 vcc, s2, v4
	v_cndmask_b32_e32 v4, v6, v5, vcc
	v_add_f32_e32 v4, 1.0, v4
	v_div_scale_f32 v5, s[2:3], v4, v4, v3
	v_div_scale_f32 v6, vcc, v3, v4, v3
	s_mov_b64 s[2:3], 0
	v_rcp_f32_e32 v7, v5
	v_fma_f32 v8, -v5, v7, 1.0
	v_fmac_f32_e32 v7, v8, v7
	v_mul_f32_e32 v8, v6, v7
	v_fma_f32 v9, -v5, v8, v6
	v_fmac_f32_e32 v8, v9, v7
	v_fma_f32 v5, -v5, v8, v6
	v_div_fmas_f32 v5, v5, v7, v8
	v_max_f32_e32 v6, v0, v0
	v_min_f32_e32 v6, 0x40e00000, v6
	v_max_f32_e32 v6, 0xc0e00000, v6
	v_add_f32_e32 v6, 1.0, v6
	v_div_fixup_f32 v3, v5, v4, v3
	v_mul_f32_e32 v3, v6, v3
	s_branch .LBB205_46
.LBB205_43:
                                        ; implicit-def: $vgpr3
	s_mov_b64 s[2:3], 0
	s_cbranch_execnz .LBB205_50
	s_branch .LBB205_51
.LBB205_44:
	s_mov_b64 s[6:7], -1
	s_mov_b64 s[2:3], 0
                                        ; implicit-def: $vgpr3
	s_branch .LBB205_47
.LBB205_45:
	s_mov_b64 s[2:3], -1
                                        ; implicit-def: $vgpr3
.LBB205_46:
	s_mov_b64 s[6:7], 0
.LBB205_47:
	s_and_b64 vcc, exec, s[6:7]
	s_cbranch_vccz .LBB205_49
; %bb.48:
	v_mul_f32_e32 v3, 0xbfb8aa3b, v1
	s_mov_b32 s6, 0xbfb8aa3b
	v_rndne_f32_e32 v4, v3
	v_sub_f32_e32 v5, v3, v4
	v_fma_f32 v3, v1, s6, -v3
	v_fmac_f32_e32 v3, 0xb2a5705f, v1
	v_add_f32_e32 v3, v5, v3
	v_exp_f32_e32 v3, v3
	v_cvt_i32_f32_e32 v4, v4
	s_mov_b32 s6, 0x42ce8ed0
	v_cmp_nlt_f32_e32 vcc, s6, v1
	s_mov_b32 s6, 0xc2b17218
	v_ldexp_f32 v3, v3, v4
	v_cndmask_b32_e32 v3, 0, v3, vcc
	v_mov_b32_e32 v4, 0x7f800000
	v_cmp_ngt_f32_e32 vcc, s6, v1
	v_cndmask_b32_e32 v3, v4, v3, vcc
	v_add_f32_e32 v3, 1.0, v3
	v_div_scale_f32 v4, s[6:7], v3, v3, v1
	v_div_scale_f32 v5, vcc, v1, v3, v1
	v_rcp_f32_e32 v6, v4
	v_fma_f32 v7, -v4, v6, 1.0
	v_fmac_f32_e32 v6, v7, v6
	v_mul_f32_e32 v7, v5, v6
	v_fma_f32 v8, -v4, v7, v5
	v_fmac_f32_e32 v7, v8, v6
	v_fma_f32 v4, -v4, v7, v5
	v_div_fmas_f32 v4, v4, v6, v7
	v_div_fixup_f32 v3, v4, v3, v1
	v_mul_f32_e32 v3, v0, v3
.LBB205_49:
	s_branch .LBB205_51
.LBB205_50:
	s_cmp_lg_u32 s14, 1
	s_mov_b64 s[0:1], -1
	s_cselect_b64 s[2:3], -1, 0
.LBB205_51:
	s_andn2_b64 vcc, exec, s[2:3]
	s_cbranch_vccz .LBB205_53
; %bb.52:
	s_andn2_b64 vcc, exec, s[0:1]
	s_cbranch_vccz .LBB205_54
	s_branch .LBB205_59
.LBB205_53:
	v_mul_f32_e32 v3, v1, v0
	s_cbranch_execnz .LBB205_59
.LBB205_54:
	v_mul_f32_e32 v4, 0x3d372713, v1
	v_mul_f32_e32 v3, 0x3f4c422a, v1
	v_fma_f32 v4, v1, v4, 1.0
	v_mul_f32_e32 v3, v3, v4
	s_mov_b32 s0, 0x3f200000
	v_cmp_nlt_f32_e64 s[0:1], |v3|, s0
                                        ; implicit-def: $vgpr4
	s_and_saveexec_b64 s[2:3], s[0:1]
	s_xor_b64 s[0:1], exec, s[2:3]
	s_cbranch_execz .LBB205_56
; %bb.55:
	v_add_f32_e64 v4, |v3|, |v3|
	v_mul_f32_e32 v5, 0x3fb8aa3b, v4
	s_mov_b32 s2, 0x3fb8aa3b
	v_rndne_f32_e32 v6, v5
	v_sub_f32_e32 v7, v5, v6
	v_fma_f32 v5, v4, s2, -v5
	v_fmac_f32_e32 v5, 0x32a5705f, v4
	v_add_f32_e32 v5, v7, v5
	v_exp_f32_e32 v5, v5
	v_cvt_i32_f32_e32 v6, v6
	s_mov_b32 s2, 0xc2ce8ed0
	v_cmp_ngt_f32_e32 vcc, s2, v4
	s_mov_b32 s2, 0x42b17218
	v_ldexp_f32 v5, v5, v6
	v_cndmask_b32_e32 v5, 0, v5, vcc
	v_mov_b32_e32 v6, 0x7f800000
	v_cmp_nlt_f32_e32 vcc, s2, v4
	v_cndmask_b32_e32 v4, v6, v5, vcc
	v_add_f32_e32 v4, 1.0, v4
	v_rcp_f32_e32 v4, v4
	v_fma_f32 v4, v4, -2.0, 1.0
.LBB205_56:
	s_andn2_saveexec_b64 s[0:1], s[0:1]
	s_cbranch_execz .LBB205_58
; %bb.57:
	v_mul_f32_e32 v4, v3, v3
	v_mov_b32_e32 v5, 0x3ca908c9
	v_fmac_f32_e32 v5, 0xbbbac73d, v4
	v_mov_b32_e32 v6, 0xbd5c1c4e
	v_fmac_f32_e32 v6, v4, v5
	;; [unrolled: 2-line block ×4, first 2 shown]
	v_mul_f32_e64 v5, |v3|, v6
	v_fma_f32 v4, v4, v5, |v3|
.LBB205_58:
	s_or_b64 exec, exec, s[0:1]
	s_brev_b32 s0, -2
	v_bfi_b32 v3, s0, v4, v3
	v_mul_f32_e32 v1, 0.5, v1
	v_add_f32_e32 v3, 1.0, v3
	v_mul_f32_e32 v1, v1, v3
	v_mul_f32_e32 v3, v0, v1
.LBB205_59:
	v_mov_b32_e32 v0, v3
.LBB205_60:
	s_load_dwordx2 s[0:1], s[4:5], 0x38
	s_mul_i32 s3, s22, s34
	s_mul_i32 s2, s26, s8
	s_add_i32 s3, s3, s16
	s_add_i32 s2, s3, s2
	s_mov_b32 s3, 0
	s_lshl_b64 s[2:3], s[2:3], 2
	s_waitcnt lgkmcnt(0)
	s_add_u32 s0, s0, s2
	s_addc_u32 s1, s1, s3
	global_store_dword v2, v0, s[0:1]
.LBB205_61:
	s_endpgm
	.section	.rodata,"a",@progbits
	.p2align	6, 0x0
	.amdhsa_kernel _ZL13mul_mat_vec_qIL9ggml_type19ELi1ELb1ELb1EEvPKvS2_PKi31ggml_cuda_mm_fusion_args_devicePfj15HIP_vector_typeIjLj3EEjjjS8_jjjS8_jjjj
		.amdhsa_group_segment_fixed_size 1024
		.amdhsa_private_segment_fixed_size 0
		.amdhsa_kernarg_size 144
		.amdhsa_user_sgpr_count 6
		.amdhsa_user_sgpr_private_segment_buffer 1
		.amdhsa_user_sgpr_dispatch_ptr 0
		.amdhsa_user_sgpr_queue_ptr 0
		.amdhsa_user_sgpr_kernarg_segment_ptr 1
		.amdhsa_user_sgpr_dispatch_id 0
		.amdhsa_user_sgpr_flat_scratch_init 0
		.amdhsa_user_sgpr_private_segment_size 0
		.amdhsa_uses_dynamic_stack 0
		.amdhsa_system_sgpr_private_segment_wavefront_offset 0
		.amdhsa_system_sgpr_workgroup_id_x 1
		.amdhsa_system_sgpr_workgroup_id_y 1
		.amdhsa_system_sgpr_workgroup_id_z 1
		.amdhsa_system_sgpr_workgroup_info 0
		.amdhsa_system_vgpr_workitem_id 1
		.amdhsa_next_free_vgpr 45
		.amdhsa_next_free_sgpr 44
		.amdhsa_reserve_vcc 1
		.amdhsa_reserve_flat_scratch 0
		.amdhsa_float_round_mode_32 0
		.amdhsa_float_round_mode_16_64 0
		.amdhsa_float_denorm_mode_32 3
		.amdhsa_float_denorm_mode_16_64 3
		.amdhsa_dx10_clamp 1
		.amdhsa_ieee_mode 1
		.amdhsa_fp16_overflow 0
		.amdhsa_exception_fp_ieee_invalid_op 0
		.amdhsa_exception_fp_denorm_src 0
		.amdhsa_exception_fp_ieee_div_zero 0
		.amdhsa_exception_fp_ieee_overflow 0
		.amdhsa_exception_fp_ieee_underflow 0
		.amdhsa_exception_fp_ieee_inexact 0
		.amdhsa_exception_int_div_zero 0
	.end_amdhsa_kernel
	.section	.text._ZL13mul_mat_vec_qIL9ggml_type19ELi1ELb1ELb1EEvPKvS2_PKi31ggml_cuda_mm_fusion_args_devicePfj15HIP_vector_typeIjLj3EEjjjS8_jjjS8_jjjj,"axG",@progbits,_ZL13mul_mat_vec_qIL9ggml_type19ELi1ELb1ELb1EEvPKvS2_PKi31ggml_cuda_mm_fusion_args_devicePfj15HIP_vector_typeIjLj3EEjjjS8_jjjS8_jjjj,comdat
.Lfunc_end205:
	.size	_ZL13mul_mat_vec_qIL9ggml_type19ELi1ELb1ELb1EEvPKvS2_PKi31ggml_cuda_mm_fusion_args_devicePfj15HIP_vector_typeIjLj3EEjjjS8_jjjS8_jjjj, .Lfunc_end205-_ZL13mul_mat_vec_qIL9ggml_type19ELi1ELb1ELb1EEvPKvS2_PKi31ggml_cuda_mm_fusion_args_devicePfj15HIP_vector_typeIjLj3EEjjjS8_jjjS8_jjjj
                                        ; -- End function
	.set _ZL13mul_mat_vec_qIL9ggml_type19ELi1ELb1ELb1EEvPKvS2_PKi31ggml_cuda_mm_fusion_args_devicePfj15HIP_vector_typeIjLj3EEjjjS8_jjjS8_jjjj.num_vgpr, 45
	.set _ZL13mul_mat_vec_qIL9ggml_type19ELi1ELb1ELb1EEvPKvS2_PKi31ggml_cuda_mm_fusion_args_devicePfj15HIP_vector_typeIjLj3EEjjjS8_jjjS8_jjjj.num_agpr, 0
	.set _ZL13mul_mat_vec_qIL9ggml_type19ELi1ELb1ELb1EEvPKvS2_PKi31ggml_cuda_mm_fusion_args_devicePfj15HIP_vector_typeIjLj3EEjjjS8_jjjS8_jjjj.numbered_sgpr, 44
	.set _ZL13mul_mat_vec_qIL9ggml_type19ELi1ELb1ELb1EEvPKvS2_PKi31ggml_cuda_mm_fusion_args_devicePfj15HIP_vector_typeIjLj3EEjjjS8_jjjS8_jjjj.num_named_barrier, 0
	.set _ZL13mul_mat_vec_qIL9ggml_type19ELi1ELb1ELb1EEvPKvS2_PKi31ggml_cuda_mm_fusion_args_devicePfj15HIP_vector_typeIjLj3EEjjjS8_jjjS8_jjjj.private_seg_size, 0
	.set _ZL13mul_mat_vec_qIL9ggml_type19ELi1ELb1ELb1EEvPKvS2_PKi31ggml_cuda_mm_fusion_args_devicePfj15HIP_vector_typeIjLj3EEjjjS8_jjjS8_jjjj.uses_vcc, 1
	.set _ZL13mul_mat_vec_qIL9ggml_type19ELi1ELb1ELb1EEvPKvS2_PKi31ggml_cuda_mm_fusion_args_devicePfj15HIP_vector_typeIjLj3EEjjjS8_jjjS8_jjjj.uses_flat_scratch, 0
	.set _ZL13mul_mat_vec_qIL9ggml_type19ELi1ELb1ELb1EEvPKvS2_PKi31ggml_cuda_mm_fusion_args_devicePfj15HIP_vector_typeIjLj3EEjjjS8_jjjS8_jjjj.has_dyn_sized_stack, 0
	.set _ZL13mul_mat_vec_qIL9ggml_type19ELi1ELb1ELb1EEvPKvS2_PKi31ggml_cuda_mm_fusion_args_devicePfj15HIP_vector_typeIjLj3EEjjjS8_jjjS8_jjjj.has_recursion, 0
	.set _ZL13mul_mat_vec_qIL9ggml_type19ELi1ELb1ELb1EEvPKvS2_PKi31ggml_cuda_mm_fusion_args_devicePfj15HIP_vector_typeIjLj3EEjjjS8_jjjS8_jjjj.has_indirect_call, 0
	.section	.AMDGPU.csdata,"",@progbits
; Kernel info:
; codeLenInByte = 4212
; TotalNumSgprs: 48
; NumVgprs: 45
; ScratchSize: 0
; MemoryBound: 0
; FloatMode: 240
; IeeeMode: 1
; LDSByteSize: 1024 bytes/workgroup (compile time only)
; SGPRBlocks: 5
; VGPRBlocks: 11
; NumSGPRsForWavesPerEU: 48
; NumVGPRsForWavesPerEU: 45
; Occupancy: 5
; WaveLimiterHint : 0
; COMPUTE_PGM_RSRC2:SCRATCH_EN: 0
; COMPUTE_PGM_RSRC2:USER_SGPR: 6
; COMPUTE_PGM_RSRC2:TRAP_HANDLER: 0
; COMPUTE_PGM_RSRC2:TGID_X_EN: 1
; COMPUTE_PGM_RSRC2:TGID_Y_EN: 1
; COMPUTE_PGM_RSRC2:TGID_Z_EN: 1
; COMPUTE_PGM_RSRC2:TIDIG_COMP_CNT: 1
	.section	.text._ZL13mul_mat_vec_qIL9ggml_type19ELi1ELb0ELb1EEvPKvS2_PKi31ggml_cuda_mm_fusion_args_devicePfj15HIP_vector_typeIjLj3EEjjjS8_jjjS8_jjjj,"axG",@progbits,_ZL13mul_mat_vec_qIL9ggml_type19ELi1ELb0ELb1EEvPKvS2_PKi31ggml_cuda_mm_fusion_args_devicePfj15HIP_vector_typeIjLj3EEjjjS8_jjjS8_jjjj,comdat
	.globl	_ZL13mul_mat_vec_qIL9ggml_type19ELi1ELb0ELb1EEvPKvS2_PKi31ggml_cuda_mm_fusion_args_devicePfj15HIP_vector_typeIjLj3EEjjjS8_jjjS8_jjjj ; -- Begin function _ZL13mul_mat_vec_qIL9ggml_type19ELi1ELb0ELb1EEvPKvS2_PKi31ggml_cuda_mm_fusion_args_devicePfj15HIP_vector_typeIjLj3EEjjjS8_jjjS8_jjjj
	.p2align	8
	.type	_ZL13mul_mat_vec_qIL9ggml_type19ELi1ELb0ELb1EEvPKvS2_PKi31ggml_cuda_mm_fusion_args_devicePfj15HIP_vector_typeIjLj3EEjjjS8_jjjS8_jjjj,@function
_ZL13mul_mat_vec_qIL9ggml_type19ELi1ELb0ELb1EEvPKvS2_PKi31ggml_cuda_mm_fusion_args_devicePfj15HIP_vector_typeIjLj3EEjjjS8_jjjS8_jjjj: ; @_ZL13mul_mat_vec_qIL9ggml_type19ELi1ELb0ELb1EEvPKvS2_PKi31ggml_cuda_mm_fusion_args_devicePfj15HIP_vector_typeIjLj3EEjjjS8_jjjS8_jjjj
; %bb.0:
	s_load_dwordx2 s[0:1], s[4:5], 0x10
	s_load_dwordx4 s[16:19], s[4:5], 0x40
	s_mov_b32 s10, s7
	s_mov_b64 s[14:15], 0
	s_waitcnt lgkmcnt(0)
	s_cmp_lg_u64 s[0:1], 0
	s_cselect_b64 s[12:13], -1, 0
	s_cmp_eq_u64 s[0:1], 0
	s_cbranch_scc1 .LBB206_5
; %bb.1:
	s_mov_b32 s11, 0
	s_lshl_b64 s[2:3], s[10:11], 2
	s_add_u32 s0, s0, s2
	s_addc_u32 s1, s1, s3
	s_load_dword s21, s[0:1], 0x0
	s_nop 0
	s_load_dwordx4 s[0:3], s[4:5], 0x68
	s_load_dword s20, s[4:5], 0x50
	s_andn2_b64 vcc, exec, s[14:15]
	s_cbranch_vccnz .LBB206_3
.LBB206_2:
	s_load_dwordx2 s[14:15], s[4:5], 0x5c
	s_waitcnt lgkmcnt(0)
	s_mul_hi_u32 s7, s14, s10
	s_add_i32 s7, s10, s7
	s_lshr_b32 s21, s7, s15
.LBB206_3:
	s_load_dword s22, s[4:5], 0x78
	s_andn2_b64 vcc, exec, s[12:13]
	s_cbranch_vccnz .LBB206_6
; %bb.4:
	s_mul_hi_u32 s7, s17, s10
	s_add_i32 s7, s10, s7
	s_lshr_b32 s7, s7, s18
	s_mul_i32 s7, s7, s19
	s_sub_i32 s23, s10, s7
	s_branch .LBB206_7
.LBB206_5:
                                        ; implicit-def: $sgpr21
	s_load_dwordx4 s[0:3], s[4:5], 0x68
	s_load_dword s20, s[4:5], 0x50
	s_branch .LBB206_2
.LBB206_6:
	s_mov_b32 s23, s10
.LBB206_7:
	s_load_dwordx4 s[12:15], s[4:5], 0x80
	v_lshl_add_u32 v2, v1, 6, v0
	s_lshr_b32 s11, s16, 8
	v_lshrrev_b32_e32 v6, 3, v2
	s_lshl_b32 s9, s6, 1
	v_cmp_gt_u32_e32 vcc, s11, v6
	v_mov_b32_e32 v5, 0
	v_mov_b32_e32 v4, 0
	s_and_saveexec_b64 s[6:7], vcc
	s_cbranch_execz .LBB206_11
; %bb.8:
	s_waitcnt lgkmcnt(0)
	s_mul_hi_u32 s3, s3, s8
	s_add_i32 s3, s8, s3
	s_lshr_b32 s3, s3, s22
	s_mul_i32 s0, s21, s0
	s_mul_i32 s3, s3, s12
	;; [unrolled: 1-line block ×3, first 2 shown]
	s_add_i32 s15, s0, s3
	s_mul_hi_u32 s0, s1, 36
	s_mul_i32 s1, s1, 36
	v_lshrrev_b32_e32 v8, 3, v2
	v_mov_b32_e32 v2, s1
	v_mov_b32_e32 v3, s0
	s_movk_i32 s0, 0x120
	v_mad_u64_u32 v[2:3], s[0:1], v8, s0, v[2:3]
	s_mul_i32 s12, s13, s8
	s_mul_i32 s0, s9, s20
	s_add_i32 s3, s15, s0
	v_mad_u64_u32 v[2:3], s[0:1], s12, 36, v[2:3]
	s_load_dwordx4 s[16:19], s[4:5], 0x0
	v_and_b32_e32 v5, 7, v0
	s_add_i32 s0, s9, 1
	s_mul_i32 s20, s20, s0
	v_mad_u64_u32 v[2:3], s[0:1], v5, 36, v[2:3]
	s_waitcnt lgkmcnt(0)
	v_mov_b32_e32 v8, s19
	v_lshlrev_b32_e32 v7, 1, v5
	v_add_co_u32_e32 v2, vcc, s18, v2
	v_addc_co_u32_e32 v3, vcc, v8, v3, vcc
	v_add_co_u32_e32 v2, vcc, 32, v2
	v_mov_b32_e32 v4, 0
	s_add_i32 s15, s15, s20
	v_addc_co_u32_e32 v3, vcc, 0, v3, vcc
	s_mov_b64 s[0:1], 0
	v_lshlrev_b32_e32 v7, 1, v7
	v_lshlrev_b32_e32 v8, 1, v5
	s_movk_i32 s18, 0x700
	v_mov_b32_e32 v5, 0
.LBB206_9:                              ; =>This Inner Loop Header: Depth=1
	v_add_u32_e32 v9, s3, v6
	v_mad_i64_i32 v[9:10], s[20:21], v9, 50, s[16:17]
	v_add_u32_e32 v11, s15, v6
	v_mad_i64_i32 v[11:12], s[20:21], v11, 50, s[16:17]
	v_add_co_u32_e32 v13, vcc, v9, v7
	v_addc_co_u32_e32 v14, vcc, 0, v10, vcc
	v_add_co_u32_e32 v15, vcc, v9, v8
	v_addc_co_u32_e32 v16, vcc, 0, v10, vcc
	;; [unrolled: 2-line block ×4, first 2 shown]
	global_load_dword v21, v[13:14], off offset:2
	global_load_ushort v22, v[15:16], off offset:34
	global_load_dword v23, v[17:18], off offset:2
	global_load_ushort v24, v[19:20], off offset:34
	global_load_ushort v25, v[11:12], off
	global_load_ushort v26, v[9:10], off
	s_getpc_b64 s[12:13]
	s_add_u32 s12, s12, _ZL13iq1s_grid_gpu@rel32@lo+4
	s_addc_u32 s13, s13, _ZL13iq1s_grid_gpu@rel32@hi+12
	v_add_u32_e32 v6, 16, v6
	s_waitcnt vmcnt(5)
	v_bfe_u32 v12, v21, 8, 8
	s_waitcnt vmcnt(4)
	v_lshlrev_b32_e32 v13, 5, v22
	v_bfe_u32 v14, v21, 16, 8
	v_lshlrev_b32_e32 v15, 2, v22
	v_lshrrev_b32_e32 v9, 24, v21
	v_lshrrev_b32_e32 v16, 1, v22
	v_and_or_b32 v12, v13, s18, v12
	s_waitcnt vmcnt(3)
	v_and_b32_e32 v13, 0xff, v23
	v_and_or_b32 v14, v15, s18, v14
	s_waitcnt vmcnt(2)
	v_lshlrev_b32_e32 v15, 8, v24
	v_and_b32_e32 v10, 0xff, v21
	v_lshlrev_b32_e32 v11, 8, v22
	v_and_or_b32 v9, v16, s18, v9
	v_bfe_u32 v16, v23, 8, 8
	v_and_or_b32 v13, v15, s18, v13
	v_lshlrev_b32_e32 v15, 5, v24
	v_and_or_b32 v10, v11, s18, v10
	v_bfe_u32 v17, v23, 16, 8
	v_and_or_b32 v15, v15, s18, v16
	v_lshlrev_b32_e32 v16, 2, v24
	v_lshrrev_b32_e32 v11, 24, v23
	v_and_or_b32 v16, v16, s18, v17
	v_lshrrev_b32_e32 v17, 1, v24
	v_lshlrev_b32_e32 v10, 2, v10
	v_and_or_b32 v17, v17, s18, v11
	v_lshlrev_b32_e32 v11, 2, v12
	v_lshlrev_b32_e32 v12, 2, v14
	v_lshlrev_b32_e32 v9, 2, v9
	global_load_dword v14, v10, s[12:13]
	global_load_dword v18, v11, s[12:13]
	;; [unrolled: 1-line block ×4, first 2 shown]
	v_lshlrev_b32_e32 v13, 2, v13
	v_lshlrev_b32_e32 v15, 2, v15
	v_lshlrev_b32_e32 v16, 2, v16
	v_lshlrev_b32_e32 v17, 2, v17
	s_waitcnt vmcnt(3)
	v_lshrrev_b32_e32 v9, 4, v14
	v_and_b32_e32 v21, 0xf0f0f0f, v14
	v_and_b32_e32 v14, 0xf0f0f0f, v9
	global_load_dwordx4 v[9:12], v[2:3], off offset:-32
	s_waitcnt vmcnt(0)
	v_dot4_i32_i8 v21, v21, v10, 0
	v_dot4_i32_i8 v14, v14, v11, v21
	global_load_dword v21, v13, s[12:13]
	global_load_dword v23, v15, s[12:13]
	;; [unrolled: 1-line block ×3, first 2 shown]
                                        ; kill: killed $vgpr13
                                        ; kill: killed $vgpr15
                                        ; kill: killed $vgpr16
	s_nop 0
	global_load_dword v15, v17, s[12:13]
	s_waitcnt vmcnt(3)
	v_and_b32_e32 v13, 0xf0f0f0f, v21
	v_lshrrev_b32_e32 v16, 4, v21
	v_and_b32_e32 v16, 0xf0f0f0f, v16
	v_dot4_i32_i8 v10, v13, v10, 0
	v_dot4_i32_i8 v10, v16, v11, v10
	v_and_b32_e32 v11, 0xf0f0f0f, v18
	v_dot4_i32_i8 v14, v11, v12, v14
	s_waitcnt vmcnt(2)
	v_and_b32_e32 v11, 0xf0f0f0f, v23
	v_dot4_i32_i8 v16, v11, v12, v10
	v_lshrrev_b32_e32 v10, 4, v18
	v_and_b32_e32 v17, 0xf0f0f0f, v10
	global_load_dwordx4 v[10:13], v[2:3], off offset:-16
	v_lshrrev_b32_e32 v18, 4, v20
	v_and_b32_e32 v18, 0xf0f0f0f, v18
	s_waitcnt vmcnt(0)
	v_dot4_i32_i8 v14, v17, v10, v14
	v_lshrrev_b32_e32 v17, 4, v23
	v_and_b32_e32 v17, 0xf0f0f0f, v17
	v_dot4_i32_i8 v10, v17, v10, v16
	v_and_b32_e32 v16, 0xf0f0f0f, v19
	v_dot4_i32_i8 v14, v16, v11, v14
	;; [unrolled: 2-line block ×3, first 2 shown]
	v_lshrrev_b32_e32 v11, 4, v19
	v_and_b32_e32 v11, 0xf0f0f0f, v11
	v_dot4_i32_i8 v11, v11, v12, v14
	v_lshrrev_b32_e32 v14, 4, v27
	v_and_b32_e32 v14, 0xf0f0f0f, v14
	v_dot4_i32_i8 v10, v14, v12, v10
	v_and_b32_e32 v12, 0xf0f0f0f, v20
	v_dot4_i32_i8 v11, v12, v13, v11
	;; [unrolled: 2-line block ×3, first 2 shown]
	v_cvt_f32_f16_e32 v12, v26
	v_lshrrev_b32_e32 v13, 11, v22
	v_and_or_b32 v13, v13, 14, 1
	v_cvt_f32_f16_e32 v14, v25
	v_cvt_f32_ubyte0_e32 v13, v13
	v_and_b32_e32 v16, 0x8000, v22
	v_mul_f32_e32 v12, v13, v12
	v_lshrrev_b32_e32 v13, 11, v24
	v_cvt_f32_u32_e32 v16, v16
	v_and_b32_e32 v17, 0x8000, v24
	v_and_or_b32 v13, v13, 14, 1
	v_cvt_f32_u32_e32 v17, v17
	v_cvt_f32_ubyte0_e32 v13, v13
	v_mul_f32_e32 v13, v13, v14
	v_mov_b32_e32 v14, 0xbf600000
	v_fmac_f32_e32 v14, 0xb7000000, v16
	v_mov_b32_e32 v16, 0xbf600000
	v_fmac_f32_e32 v16, 0xb7000000, v17
	global_load_dword v17, v[2:3], off
	v_lshrrev_b32_e32 v15, 4, v15
	v_and_b32_e32 v15, 0xf0f0f0f, v15
	v_add_co_u32_e32 v2, vcc, 0x1200, v2
	v_addc_co_u32_e32 v3, vcc, 0, v3, vcc
	v_cmp_le_u32_e32 vcc, s11, v6
	s_or_b64 s[0:1], vcc, s[0:1]
	s_waitcnt vmcnt(0)
	v_dot4_i32_i8 v11, v18, v17, v11
	v_cvt_f32_f16_sdwa v18, v9 dst_sel:DWORD dst_unused:UNUSED_PAD src0_sel:WORD_1
	v_dot4_i32_i8 v10, v15, v17, v10
	v_cvt_f32_i32_e32 v11, v11
	v_cvt_f32_i32_e32 v10, v10
	v_mul_f32_e32 v14, v14, v18
	v_mul_f32_e32 v15, v16, v18
	v_fma_mix_f32 v11, v11, v9, v14 op_sel_hi:[0,1,0]
	v_fma_mix_f32 v9, v10, v9, v15 op_sel_hi:[0,1,0]
	v_fmac_f32_e32 v4, v12, v11
	v_fmac_f32_e32 v5, v13, v9
	s_andn2_b64 exec, exec, s[0:1]
	s_cbranch_execnz .LBB206_9
; %bb.10:
	s_or_b64 exec, exec, s[0:1]
.LBB206_11:
	s_or_b64 exec, exec, s[6:7]
	v_cmp_eq_u32_e32 vcc, 0, v1
	s_waitcnt lgkmcnt(0)
	v_cmp_ne_u32_e64 s[0:1], 0, v1
	v_lshlrev_b32_e32 v2, 2, v0
	s_and_saveexec_b64 s[6:7], s[0:1]
; %bb.12:
	v_lshl_or_b32 v1, v1, 9, v2
	v_add_u32_e32 v1, 0xfffffe00, v1
	ds_write2st64_b32 v1, v4, v5 offset1:1
; %bb.13:
	s_or_b64 exec, exec, s[6:7]
	s_waitcnt lgkmcnt(0)
	s_barrier
	s_and_saveexec_b64 s[0:1], vcc
	s_cbranch_execz .LBB206_16
; %bb.14:
	v_mbcnt_lo_u32_b32 v1, -1, 0
	v_mbcnt_hi_u32_b32 v1, -1, v1
	v_and_b32_e32 v3, 64, v1
	v_add_u32_e32 v3, 64, v3
	v_xor_b32_e32 v6, 32, v1
	v_cmp_lt_i32_e32 vcc, v6, v3
	v_cndmask_b32_e32 v6, v1, v6, vcc
	v_lshlrev_b32_e32 v8, 2, v6
	v_xor_b32_e32 v6, 16, v1
	v_cmp_lt_i32_e32 vcc, v6, v3
	v_cndmask_b32_e32 v6, v1, v6, vcc
	v_lshlrev_b32_e32 v9, 2, v6
	ds_read2st64_b32 v[6:7], v2 offset1:1
	v_xor_b32_e32 v10, 8, v1
	v_cmp_lt_i32_e32 vcc, v10, v3
	v_cndmask_b32_e32 v10, v1, v10, vcc
	v_lshlrev_b32_e32 v10, 2, v10
	s_waitcnt lgkmcnt(0)
	v_add_f32_e32 v4, v4, v6
	v_add_f32_e32 v5, v5, v7
	ds_bpermute_b32 v6, v8, v4
	ds_bpermute_b32 v7, v8, v5
	v_xor_b32_e32 v11, 4, v1
	v_cmp_lt_i32_e32 vcc, v11, v3
	v_cndmask_b32_e32 v8, v1, v11, vcc
	s_waitcnt lgkmcnt(1)
	v_add_f32_e32 v4, v4, v6
	s_waitcnt lgkmcnt(0)
	v_add_f32_e32 v5, v5, v7
	ds_bpermute_b32 v6, v9, v4
	ds_bpermute_b32 v7, v9, v5
	v_lshlrev_b32_e32 v8, 2, v8
	v_xor_b32_e32 v9, 2, v1
	v_cmp_lt_i32_e32 vcc, v9, v3
	s_waitcnt lgkmcnt(1)
	v_add_f32_e32 v4, v4, v6
	s_waitcnt lgkmcnt(0)
	v_add_f32_e32 v5, v5, v7
	ds_bpermute_b32 v6, v10, v4
	ds_bpermute_b32 v7, v10, v5
	v_cndmask_b32_e32 v9, v1, v9, vcc
	s_load_dword s0, s[4:5], 0x58
	s_mov_b32 s3, 0
	s_waitcnt lgkmcnt(0)
	v_add_f32_e32 v4, v4, v6
	v_add_f32_e32 v5, v5, v7
	ds_bpermute_b32 v6, v8, v4
	ds_bpermute_b32 v7, v8, v5
	v_lshlrev_b32_e32 v8, 2, v9
	v_xor_b32_e32 v9, 1, v1
	v_cmp_lt_i32_e32 vcc, v9, v3
	s_waitcnt lgkmcnt(1)
	v_add_f32_e32 v4, v4, v6
	s_waitcnt lgkmcnt(0)
	v_add_f32_e32 v5, v5, v7
	ds_bpermute_b32 v6, v8, v4
	ds_bpermute_b32 v7, v8, v5
	v_cndmask_b32_e32 v1, v1, v9, vcc
	v_lshlrev_b32_e32 v8, 2, v1
	s_waitcnt lgkmcnt(1)
	v_add_f32_e32 v1, v4, v6
	s_waitcnt lgkmcnt(0)
	v_add_f32_e32 v4, v5, v7
	ds_bpermute_b32 v3, v8, v1
	ds_bpermute_b32 v5, v8, v4
	v_or_b32_e32 v6, s9, v0
	v_cmp_gt_u32_e32 vcc, s0, v6
	v_cmp_gt_u32_e64 s[0:1], 2, v0
	s_and_b64 s[0:1], s[0:1], vcc
	s_and_b64 exec, exec, s[0:1]
	s_cbranch_execz .LBB206_16
; %bb.15:
	s_load_dwordx2 s[0:1], s[4:5], 0x38
	s_mul_i32 s2, s2, s10
	s_add_i32 s2, s2, s9
	s_mul_i32 s4, s14, s8
	s_add_i32 s2, s2, s4
	s_lshl_b64 s[2:3], s[2:3], 2
	s_waitcnt lgkmcnt(0)
	s_add_u32 s0, s0, s2
	v_add_f32_e32 v4, v4, v5
	v_add_f32_e32 v1, v1, v3
	v_cmp_eq_u32_e32 vcc, 1, v0
	s_addc_u32 s1, s1, s3
	v_cndmask_b32_e32 v0, v1, v4, vcc
	global_store_dword v2, v0, s[0:1]
.LBB206_16:
	s_endpgm
	.section	.rodata,"a",@progbits
	.p2align	6, 0x0
	.amdhsa_kernel _ZL13mul_mat_vec_qIL9ggml_type19ELi1ELb0ELb1EEvPKvS2_PKi31ggml_cuda_mm_fusion_args_devicePfj15HIP_vector_typeIjLj3EEjjjS8_jjjS8_jjjj
		.amdhsa_group_segment_fixed_size 512
		.amdhsa_private_segment_fixed_size 0
		.amdhsa_kernarg_size 144
		.amdhsa_user_sgpr_count 6
		.amdhsa_user_sgpr_private_segment_buffer 1
		.amdhsa_user_sgpr_dispatch_ptr 0
		.amdhsa_user_sgpr_queue_ptr 0
		.amdhsa_user_sgpr_kernarg_segment_ptr 1
		.amdhsa_user_sgpr_dispatch_id 0
		.amdhsa_user_sgpr_flat_scratch_init 0
		.amdhsa_user_sgpr_private_segment_size 0
		.amdhsa_uses_dynamic_stack 0
		.amdhsa_system_sgpr_private_segment_wavefront_offset 0
		.amdhsa_system_sgpr_workgroup_id_x 1
		.amdhsa_system_sgpr_workgroup_id_y 1
		.amdhsa_system_sgpr_workgroup_id_z 1
		.amdhsa_system_sgpr_workgroup_info 0
		.amdhsa_system_vgpr_workitem_id 1
		.amdhsa_next_free_vgpr 28
		.amdhsa_next_free_sgpr 24
		.amdhsa_reserve_vcc 1
		.amdhsa_reserve_flat_scratch 0
		.amdhsa_float_round_mode_32 0
		.amdhsa_float_round_mode_16_64 0
		.amdhsa_float_denorm_mode_32 3
		.amdhsa_float_denorm_mode_16_64 3
		.amdhsa_dx10_clamp 1
		.amdhsa_ieee_mode 1
		.amdhsa_fp16_overflow 0
		.amdhsa_exception_fp_ieee_invalid_op 0
		.amdhsa_exception_fp_denorm_src 0
		.amdhsa_exception_fp_ieee_div_zero 0
		.amdhsa_exception_fp_ieee_overflow 0
		.amdhsa_exception_fp_ieee_underflow 0
		.amdhsa_exception_fp_ieee_inexact 0
		.amdhsa_exception_int_div_zero 0
	.end_amdhsa_kernel
	.section	.text._ZL13mul_mat_vec_qIL9ggml_type19ELi1ELb0ELb1EEvPKvS2_PKi31ggml_cuda_mm_fusion_args_devicePfj15HIP_vector_typeIjLj3EEjjjS8_jjjS8_jjjj,"axG",@progbits,_ZL13mul_mat_vec_qIL9ggml_type19ELi1ELb0ELb1EEvPKvS2_PKi31ggml_cuda_mm_fusion_args_devicePfj15HIP_vector_typeIjLj3EEjjjS8_jjjS8_jjjj,comdat
.Lfunc_end206:
	.size	_ZL13mul_mat_vec_qIL9ggml_type19ELi1ELb0ELb1EEvPKvS2_PKi31ggml_cuda_mm_fusion_args_devicePfj15HIP_vector_typeIjLj3EEjjjS8_jjjS8_jjjj, .Lfunc_end206-_ZL13mul_mat_vec_qIL9ggml_type19ELi1ELb0ELb1EEvPKvS2_PKi31ggml_cuda_mm_fusion_args_devicePfj15HIP_vector_typeIjLj3EEjjjS8_jjjS8_jjjj
                                        ; -- End function
	.set _ZL13mul_mat_vec_qIL9ggml_type19ELi1ELb0ELb1EEvPKvS2_PKi31ggml_cuda_mm_fusion_args_devicePfj15HIP_vector_typeIjLj3EEjjjS8_jjjS8_jjjj.num_vgpr, 28
	.set _ZL13mul_mat_vec_qIL9ggml_type19ELi1ELb0ELb1EEvPKvS2_PKi31ggml_cuda_mm_fusion_args_devicePfj15HIP_vector_typeIjLj3EEjjjS8_jjjS8_jjjj.num_agpr, 0
	.set _ZL13mul_mat_vec_qIL9ggml_type19ELi1ELb0ELb1EEvPKvS2_PKi31ggml_cuda_mm_fusion_args_devicePfj15HIP_vector_typeIjLj3EEjjjS8_jjjS8_jjjj.numbered_sgpr, 24
	.set _ZL13mul_mat_vec_qIL9ggml_type19ELi1ELb0ELb1EEvPKvS2_PKi31ggml_cuda_mm_fusion_args_devicePfj15HIP_vector_typeIjLj3EEjjjS8_jjjS8_jjjj.num_named_barrier, 0
	.set _ZL13mul_mat_vec_qIL9ggml_type19ELi1ELb0ELb1EEvPKvS2_PKi31ggml_cuda_mm_fusion_args_devicePfj15HIP_vector_typeIjLj3EEjjjS8_jjjS8_jjjj.private_seg_size, 0
	.set _ZL13mul_mat_vec_qIL9ggml_type19ELi1ELb0ELb1EEvPKvS2_PKi31ggml_cuda_mm_fusion_args_devicePfj15HIP_vector_typeIjLj3EEjjjS8_jjjS8_jjjj.uses_vcc, 1
	.set _ZL13mul_mat_vec_qIL9ggml_type19ELi1ELb0ELb1EEvPKvS2_PKi31ggml_cuda_mm_fusion_args_devicePfj15HIP_vector_typeIjLj3EEjjjS8_jjjS8_jjjj.uses_flat_scratch, 0
	.set _ZL13mul_mat_vec_qIL9ggml_type19ELi1ELb0ELb1EEvPKvS2_PKi31ggml_cuda_mm_fusion_args_devicePfj15HIP_vector_typeIjLj3EEjjjS8_jjjS8_jjjj.has_dyn_sized_stack, 0
	.set _ZL13mul_mat_vec_qIL9ggml_type19ELi1ELb0ELb1EEvPKvS2_PKi31ggml_cuda_mm_fusion_args_devicePfj15HIP_vector_typeIjLj3EEjjjS8_jjjS8_jjjj.has_recursion, 0
	.set _ZL13mul_mat_vec_qIL9ggml_type19ELi1ELb0ELb1EEvPKvS2_PKi31ggml_cuda_mm_fusion_args_devicePfj15HIP_vector_typeIjLj3EEjjjS8_jjjS8_jjjj.has_indirect_call, 0
	.section	.AMDGPU.csdata,"",@progbits
; Kernel info:
; codeLenInByte = 1808
; TotalNumSgprs: 28
; NumVgprs: 28
; ScratchSize: 0
; MemoryBound: 0
; FloatMode: 240
; IeeeMode: 1
; LDSByteSize: 512 bytes/workgroup (compile time only)
; SGPRBlocks: 3
; VGPRBlocks: 6
; NumSGPRsForWavesPerEU: 28
; NumVGPRsForWavesPerEU: 28
; Occupancy: 9
; WaveLimiterHint : 0
; COMPUTE_PGM_RSRC2:SCRATCH_EN: 0
; COMPUTE_PGM_RSRC2:USER_SGPR: 6
; COMPUTE_PGM_RSRC2:TRAP_HANDLER: 0
; COMPUTE_PGM_RSRC2:TGID_X_EN: 1
; COMPUTE_PGM_RSRC2:TGID_Y_EN: 1
; COMPUTE_PGM_RSRC2:TGID_Z_EN: 1
; COMPUTE_PGM_RSRC2:TIDIG_COMP_CNT: 1
	.section	.text._ZL13mul_mat_vec_qIL9ggml_type19ELi1ELb1ELb0EEvPKvS2_PKi31ggml_cuda_mm_fusion_args_devicePfj15HIP_vector_typeIjLj3EEjjjS8_jjjS8_jjjj,"axG",@progbits,_ZL13mul_mat_vec_qIL9ggml_type19ELi1ELb1ELb0EEvPKvS2_PKi31ggml_cuda_mm_fusion_args_devicePfj15HIP_vector_typeIjLj3EEjjjS8_jjjS8_jjjj,comdat
	.globl	_ZL13mul_mat_vec_qIL9ggml_type19ELi1ELb1ELb0EEvPKvS2_PKi31ggml_cuda_mm_fusion_args_devicePfj15HIP_vector_typeIjLj3EEjjjS8_jjjS8_jjjj ; -- Begin function _ZL13mul_mat_vec_qIL9ggml_type19ELi1ELb1ELb0EEvPKvS2_PKi31ggml_cuda_mm_fusion_args_devicePfj15HIP_vector_typeIjLj3EEjjjS8_jjjS8_jjjj
	.p2align	8
	.type	_ZL13mul_mat_vec_qIL9ggml_type19ELi1ELb1ELb0EEvPKvS2_PKi31ggml_cuda_mm_fusion_args_devicePfj15HIP_vector_typeIjLj3EEjjjS8_jjjS8_jjjj,@function
_ZL13mul_mat_vec_qIL9ggml_type19ELi1ELb1ELb0EEvPKvS2_PKi31ggml_cuda_mm_fusion_args_devicePfj15HIP_vector_typeIjLj3EEjjjS8_jjjS8_jjjj: ; @_ZL13mul_mat_vec_qIL9ggml_type19ELi1ELb1ELb0EEvPKvS2_PKi31ggml_cuda_mm_fusion_args_devicePfj15HIP_vector_typeIjLj3EEjjjS8_jjjS8_jjjj
; %bb.0:
	s_load_dwordx8 s[16:23], s[4:5], 0x0
	s_load_dwordx4 s[28:31], s[4:5], 0x20
	s_load_dwordx4 s[36:39], s[4:5], 0x40
	s_load_dwordx4 s[12:15], s[4:5], 0x68
	s_mov_b32 s34, s7
	s_waitcnt lgkmcnt(0)
	s_cmp_lg_u64 s[20:21], 0
	s_cselect_b64 s[0:1], -1, 0
	s_cmp_eq_u64 s[20:21], 0
	s_mov_b64 s[2:3], 0
	s_cbranch_scc1 .LBB207_5
; %bb.1:
	s_mov_b32 s35, 0
	s_lshl_b64 s[10:11], s[34:35], 2
	s_add_u32 s10, s20, s10
	s_addc_u32 s11, s21, s11
	s_load_dword s9, s[10:11], 0x0
	s_load_dword s33, s[4:5], 0x50
	;; [unrolled: 1-line block ×3, first 2 shown]
	s_andn2_b64 vcc, exec, s[2:3]
	s_cbranch_vccnz .LBB207_3
.LBB207_2:
	s_load_dwordx2 s[2:3], s[4:5], 0x5c
	s_waitcnt lgkmcnt(0)
	s_mul_hi_u32 s2, s2, s34
	s_add_i32 s2, s34, s2
	s_lshr_b32 s9, s2, s3
.LBB207_3:
	s_andn2_b64 vcc, exec, s[0:1]
	s_cbranch_vccnz .LBB207_6
; %bb.4:
	s_mul_hi_u32 s0, s37, s34
	s_add_i32 s0, s34, s0
	s_lshr_b32 s0, s0, s38
	s_mul_i32 s0, s0, s39
	s_sub_i32 s37, s34, s0
	s_waitcnt lgkmcnt(0)
	s_mov_b32 s2, s9
	s_branch .LBB207_7
.LBB207_5:
                                        ; implicit-def: $sgpr9
	s_load_dword s33, s[4:5], 0x50
	s_load_dword s35, s[4:5], 0x78
	s_branch .LBB207_2
.LBB207_6:
	s_mov_b32 s2, s34
	s_mov_b32 s37, s34
.LBB207_7:
	s_load_dwordx4 s[24:27], s[4:5], 0x80
	s_cmp_lg_u64 s[22:23], 0
	v_or_b32_e32 v2, v0, v1
	s_cselect_b64 s[0:1], -1, 0
	v_cmp_eq_u32_e32 vcc, 0, v2
	s_mov_b32 s21, 0
	s_and_b64 s[38:39], s[0:1], vcc
	v_mov_b32_e32 v13, 0
	s_mul_i32 s10, s2, s14
	v_lshlrev_b32_e32 v12, 2, v0
	v_mov_b32_e32 v14, 0
	s_and_saveexec_b64 s[2:3], s[38:39]
	s_cbranch_execz .LBB207_9
; %bb.8:
	s_waitcnt lgkmcnt(0)
	s_mul_i32 s20, s26, s8
	s_lshl_b64 s[38:39], s[20:21], 2
	s_add_u32 s7, s22, s38
	s_mov_b32 s11, s21
	s_addc_u32 s22, s23, s39
	s_lshl_b64 s[20:21], s[10:11], 2
	s_add_u32 s11, s7, s20
	s_addc_u32 s22, s22, s21
	s_ashr_i32 s7, s6, 31
	s_lshl_b64 s[20:21], s[6:7], 2
	s_add_u32 s20, s11, s20
	s_addc_u32 s21, s22, s21
	global_load_dword v14, v12, s[20:21]
.LBB207_9:
	s_or_b64 exec, exec, s[2:3]
	s_cmp_lg_u64 s[28:29], 0
	s_cselect_b64 s[20:21], -1, 0
	s_cmp_lg_u64 s[30:31], 0
	s_cselect_b64 s[2:3], -1, 0
	s_and_b64 s[22:23], s[2:3], s[20:21]
	s_and_b64 s[38:39], s[22:23], vcc
	s_and_saveexec_b64 s[22:23], s[38:39]
	s_cbranch_execz .LBB207_11
; %bb.10:
	s_waitcnt lgkmcnt(0)
	s_mul_i32 s38, s26, s8
	s_mov_b32 s39, 0
	s_lshl_b64 s[40:41], s[38:39], 2
	s_add_u32 s7, s30, s40
	s_mov_b32 s11, s39
	s_addc_u32 s27, s31, s41
	s_lshl_b64 s[10:11], s[10:11], 2
	s_add_u32 s30, s7, s10
	s_addc_u32 s27, s27, s11
	s_ashr_i32 s7, s6, 31
	s_lshl_b64 s[10:11], s[6:7], 2
	s_add_u32 s10, s30, s10
	s_addc_u32 s11, s27, s11
	global_load_dword v13, v12, s[10:11]
.LBB207_11:
	s_or_b64 exec, exec, s[22:23]
	v_lshl_add_u32 v2, v1, 6, v0
	s_lshr_b32 s7, s36, 8
	v_lshrrev_b32_e32 v18, 3, v2
	v_cmp_gt_u32_e32 vcc, s7, v18
	v_mov_b32_e32 v16, 0
	v_cndmask_b32_e64 v17, 0, 1, s[20:21]
	v_mov_b32_e32 v15, 0
	s_and_saveexec_b64 s[22:23], vcc
	s_cbranch_execz .LBB207_17
; %bb.12:
	s_mul_hi_u32 s10, s15, s8
	s_add_i32 s10, s8, s10
	s_waitcnt lgkmcnt(0)
	s_lshr_b32 s10, s10, s35
	s_mul_i32 s9, s9, s12
	s_mul_i32 s12, s10, s24
	;; [unrolled: 1-line block ×3, first 2 shown]
	s_mul_hi_u32 s11, s10, 36
	s_mul_i32 s10, s10, 36
	v_lshrrev_b32_e32 v4, 3, v2
	v_mov_b32_e32 v2, s10
	v_mov_b32_e32 v3, s11
	s_movk_i32 s10, 0x120
	v_mad_u64_u32 v[2:3], s[10:11], v4, s10, v[2:3]
	s_mul_i32 s15, s25, s8
	v_and_b32_e32 v4, 7, v0
	v_mad_u64_u32 v[2:3], s[10:11], s15, 36, v[2:3]
	v_mov_b32_e32 v6, s19
	s_mul_i32 s33, s33, s6
	v_mad_u64_u32 v[2:3], s[10:11], v4, 36, v[2:3]
	s_add_i32 s12, s12, s33
	v_lshlrev_b32_e32 v5, 1, v4
	v_add_co_u32_e32 v2, vcc, s18, v2
	v_addc_co_u32_e32 v3, vcc, v6, v3, vcc
	v_add_co_u32_e32 v10, vcc, 32, v2
	s_add_i32 s9, s9, s12
	v_mov_b32_e32 v16, 0
	v_addc_co_u32_e32 v11, vcc, 0, v3, vcc
	s_mov_b64 s[18:19], 0
	v_lshlrev_b32_e32 v19, 1, v5
	v_lshlrev_b32_e32 v20, 1, v4
	s_movk_i32 s15, 0x700
	v_cmp_ne_u32_e64 s[10:11], 1, v17
	v_mov_b32_e32 v15, 0
	s_branch .LBB207_14
.LBB207_13:                             ;   in Loop: Header=BB207_14 Depth=1
	s_waitcnt vmcnt(4)
	v_and_b32_e32 v29, 0xf0f0f0f, v28
	v_lshrrev_b32_e32 v28, 4, v28
	v_and_b32_e32 v28, 0xf0f0f0f, v28
	v_dot4_i32_i8 v7, v29, v7, 0
	v_dot4_i32_i8 v7, v28, v8, v7
	s_waitcnt vmcnt(3)
	v_and_b32_e32 v8, 0xf0f0f0f, v27
	v_lshrrev_b32_e32 v27, 4, v27
	v_and_b32_e32 v27, 0xf0f0f0f, v27
	v_dot4_i32_i8 v7, v8, v9, v7
	v_dot4_i32_i8 v2, v27, v2, v7
	;; [unrolled: 6-line block ×3, first 2 shown]
	s_waitcnt vmcnt(1)
	v_and_b32_e32 v3, 0xf0f0f0f, v25
	v_lshrrev_b32_e32 v4, 4, v25
	v_and_b32_e32 v4, 0xf0f0f0f, v4
	v_dot4_i32_i8 v2, v3, v5, v2
	v_cvt_f32_f16_e32 v3, v22
	v_and_b32_e32 v5, 0x8000, v21
	s_waitcnt vmcnt(0)
	v_dot4_i32_i8 v2, v4, v24, v2
	v_lshrrev_b32_e32 v4, 11, v21
	v_cvt_f32_u32_e32 v5, v5
	v_and_or_b32 v4, v4, 14, 1
	v_cvt_f32_ubyte0_e32 v4, v4
	v_cvt_f32_i32_e32 v2, v2
	v_mul_f32_e32 v3, v4, v3
	v_mov_b32_e32 v4, 0xbf600000
	v_fmac_f32_e32 v4, 0xb7000000, v5
	v_mul_f32_e32 v4, v4, v6
	v_add_u32_e32 v18, 16, v18
	v_fmac_f32_e32 v4, v2, v23
	v_add_co_u32_e32 v10, vcc, 0x1200, v10
	v_cmp_le_u32_e64 s[12:13], s7, v18
	v_fmac_f32_e32 v16, v3, v4
	s_or_b64 s[18:19], s[12:13], s[18:19]
	v_addc_co_u32_e32 v11, vcc, 0, v11, vcc
	s_andn2_b64 exec, exec, s[18:19]
	s_cbranch_execz .LBB207_16
.LBB207_14:                             ; =>This Inner Loop Header: Depth=1
	v_add_u32_e32 v29, s9, v18
	v_mad_i64_i32 v[23:24], s[12:13], v29, 50, s[16:17]
	s_getpc_b64 s[12:13]
	s_add_u32 s12, s12, _ZL13iq1s_grid_gpu@rel32@lo+4
	s_addc_u32 s13, s13, _ZL13iq1s_grid_gpu@rel32@hi+12
	v_add_co_u32_e32 v2, vcc, v23, v19
	v_addc_co_u32_e32 v3, vcc, 0, v24, vcc
	global_load_dword v25, v[2:3], off offset:2
	v_add_co_u32_e32 v2, vcc, v23, v20
	v_addc_co_u32_e32 v3, vcc, 0, v24, vcc
	global_load_ushort v21, v[2:3], off offset:34
	global_load_dwordx4 v[6:9], v[10:11], off offset:-32
	s_nop 0
	global_load_dwordx4 v[2:5], v[10:11], off offset:-16
	global_load_ushort v22, v[23:24], off
	s_and_b64 vcc, exec, s[10:11]
	s_waitcnt vmcnt(4)
	v_and_b32_e32 v24, 0xff, v25
	v_lshrrev_b32_e32 v23, 24, v25
	v_bfe_u32 v27, v25, 8, 8
	v_bfe_u32 v25, v25, 16, 8
	s_waitcnt vmcnt(3)
	v_lshlrev_b32_e32 v26, 8, v21
	v_lshlrev_b32_e32 v28, 5, v21
	;; [unrolled: 1-line block ×3, first 2 shown]
	v_lshrrev_b32_e32 v31, 1, v21
	v_and_or_b32 v24, v26, s15, v24
	v_and_or_b32 v26, v28, s15, v27
	;; [unrolled: 1-line block ×4, first 2 shown]
	v_lshlrev_b32_e32 v30, 2, v24
	v_lshlrev_b32_e32 v31, 2, v26
	;; [unrolled: 1-line block ×4, first 2 shown]
	global_load_dword v28, v30, s[12:13]
	global_load_dword v27, v31, s[12:13]
	;; [unrolled: 1-line block ×4, first 2 shown]
	global_load_dword v24, v[10:11], off
	s_waitcnt vmcnt(7)
	v_cvt_f32_f16_e32 v23, v6
	v_cvt_f32_f16_sdwa v6, v6 dst_sel:DWORD dst_unused:UNUSED_PAD src0_sel:WORD_1
	s_cbranch_vccnz .LBB207_13
; %bb.15:                               ;   in Loop: Header=BB207_14 Depth=1
	v_mad_i64_i32 v[29:30], s[24:25], v29, 50, s[28:29]
	v_add_co_u32_e32 v31, vcc, v29, v20
	v_addc_co_u32_e32 v32, vcc, 0, v30, vcc
	v_add_co_u32_e32 v33, vcc, v29, v19
	v_addc_co_u32_e32 v34, vcc, 0, v30, vcc
	global_load_dword v33, v[33:34], off offset:2
	s_nop 0
	global_load_ushort v31, v[31:32], off offset:34
	s_waitcnt vmcnt(1)
	v_lshrrev_b32_e32 v34, 24, v33
	global_load_ushort v29, v[29:30], off
	v_and_b32_e32 v32, 0xff, v33
	s_waitcnt vmcnt(1)
	v_lshlrev_b32_e32 v35, 8, v31
	v_and_or_b32 v32, v35, s15, v32
	v_lshlrev_b32_e32 v32, 2, v32
	global_load_dword v32, v32, s[12:13]
	v_lshlrev_b32_e32 v36, 5, v31
	v_lshrrev_b32_e32 v30, 11, v31
	v_and_or_b32 v30, v30, 14, 1
	v_cvt_f32_ubyte0_e32 v30, v30
	s_waitcnt vmcnt(1)
	v_cvt_f32_f16_e32 v29, v29
	v_mul_f32_e32 v29, v30, v29
	s_waitcnt vmcnt(0)
	v_and_b32_e32 v35, 0xf0f0f0f, v32
	v_lshrrev_b32_e32 v32, 4, v32
	v_and_b32_e32 v32, 0xf0f0f0f, v32
	v_dot4_i32_i8 v35, v35, v7, 0
	v_dot4_i32_i8 v32, v32, v8, v35
	v_bfe_u32 v35, v33, 8, 8
	v_and_or_b32 v35, v36, s15, v35
	v_lshlrev_b32_e32 v35, 2, v35
	global_load_dword v35, v35, s[12:13]
	v_bfe_u32 v33, v33, 16, 8
	v_and_b32_e32 v30, 0x8000, v31
	v_cvt_f32_u32_e32 v30, v30
	s_waitcnt vmcnt(0)
	v_and_b32_e32 v36, 0xf0f0f0f, v35
	v_lshrrev_b32_e32 v35, 4, v35
	v_and_b32_e32 v35, 0xf0f0f0f, v35
	v_dot4_i32_i8 v32, v36, v9, v32
	v_dot4_i32_i8 v32, v35, v2, v32
	v_lshlrev_b32_e32 v35, 2, v31
	v_and_or_b32 v33, v35, s15, v33
	v_lshlrev_b32_e32 v33, 2, v33
	global_load_dword v33, v33, s[12:13]
	s_waitcnt vmcnt(0)
	v_and_b32_e32 v35, 0xf0f0f0f, v33
	v_lshrrev_b32_e32 v33, 4, v33
	v_and_b32_e32 v33, 0xf0f0f0f, v33
	v_dot4_i32_i8 v32, v35, v3, v32
	v_dot4_i32_i8 v32, v33, v4, v32
	v_lshrrev_b32_e32 v33, 1, v31
	v_and_or_b32 v33, v33, s15, v34
	v_lshlrev_b32_e32 v33, 2, v33
	global_load_dword v33, v33, s[12:13]
	v_mov_b32_e32 v31, 0xbf600000
	v_fmac_f32_e32 v31, 0xb7000000, v30
	s_waitcnt vmcnt(0)
	v_and_b32_e32 v34, 0xf0f0f0f, v33
	v_lshrrev_b32_e32 v33, 4, v33
	v_and_b32_e32 v33, 0xf0f0f0f, v33
	v_dot4_i32_i8 v32, v34, v5, v32
	v_dot4_i32_i8 v32, v33, v24, v32
	v_cvt_f32_i32_e32 v30, v32
	v_mul_f32_e32 v30, v23, v30
	v_fmac_f32_e32 v30, v31, v6
	v_fmac_f32_e32 v15, v29, v30
	s_branch .LBB207_13
.LBB207_16:
	s_or_b64 exec, exec, s[18:19]
.LBB207_17:
	s_or_b64 exec, exec, s[22:23]
	s_load_dword s7, s[4:5], 0x30
	v_cmp_eq_u32_e64 s[10:11], 0, v1
	v_cmp_ne_u32_e32 vcc, 0, v1
	s_and_saveexec_b64 s[12:13], vcc
	s_cbranch_execz .LBB207_21
; %bb.18:
	s_and_b64 vcc, exec, s[20:21]
	s_cbranch_vccz .LBB207_20
; %bb.19:
	v_lshl_add_u32 v2, v1, 8, v12
	ds_write_b32 v2, v15
.LBB207_20:
	v_lshlrev_b32_e32 v1, 8, v1
	s_waitcnt lgkmcnt(0)
	s_movk_i32 s9, 0xff00
	v_add3_u32 v1, v1, v12, s9
	ds_write_b32 v1, v16
.LBB207_21:
	s_or_b64 exec, exec, s[12:13]
	s_waitcnt vmcnt(0) lgkmcnt(0)
	s_barrier
	s_and_saveexec_b64 s[12:13], s[10:11]
	s_cbranch_execz .LBB207_50
; %bb.22:
	ds_read_b32 v2, v12
	v_cmp_ne_u32_e64 s[10:11], 1, v17
	s_and_b64 vcc, exec, s[10:11]
	s_cbranch_vccnz .LBB207_24
; %bb.23:
	ds_read_b32 v1, v12 offset:256
	s_waitcnt lgkmcnt(0)
	v_add_f32_e32 v15, v15, v1
.LBB207_24:
	v_mbcnt_lo_u32_b32 v1, -1, 0
	v_mbcnt_hi_u32_b32 v3, -1, v1
	v_and_b32_e32 v1, 64, v3
	v_add_u32_e32 v4, 64, v1
	v_xor_b32_e32 v1, 32, v3
	v_cmp_lt_i32_e32 vcc, v1, v4
	v_cndmask_b32_e32 v1, v3, v1, vcc
	v_lshlrev_b32_e32 v1, 2, v1
	s_waitcnt lgkmcnt(0)
	v_add_f32_e32 v5, v16, v2
	ds_bpermute_b32 v6, v1, v5
	v_xor_b32_e32 v2, 16, v3
	v_cmp_lt_i32_e32 vcc, v2, v4
	v_cndmask_b32_e32 v2, v3, v2, vcc
	v_lshlrev_b32_e32 v2, 2, v2
	s_waitcnt lgkmcnt(0)
	v_add_f32_e32 v6, v5, v6
	ds_bpermute_b32 v7, v2, v6
	;; [unrolled: 7-line block ×6, first 2 shown]
	s_and_b64 vcc, exec, s[10:11]
	s_cbranch_vccnz .LBB207_26
; %bb.25:
	ds_bpermute_b32 v1, v1, v15
	s_waitcnt lgkmcnt(0)
	v_add_f32_e32 v1, v15, v1
	ds_bpermute_b32 v2, v2, v1
	s_waitcnt lgkmcnt(0)
	v_add_f32_e32 v1, v1, v2
	;; [unrolled: 3-line block ×6, first 2 shown]
.LBB207_26:
	v_cmp_eq_u32_e32 vcc, 0, v0
	s_and_b64 exec, exec, vcc
	s_cbranch_execz .LBB207_50
; %bb.27:
	s_waitcnt lgkmcnt(0)
	v_add_f32_e32 v0, v3, v4
	v_add_f32_e32 v1, v14, v0
	s_and_b64 vcc, exec, s[10:11]
	v_cndmask_b32_e64 v0, v0, v1, s[0:1]
	s_cbranch_vccnz .LBB207_49
; %bb.28:
	v_add_f32_e32 v1, v13, v15
	v_cndmask_b32_e64 v1, v15, v1, s[2:3]
	s_cmp_lt_i32 s7, 2
	s_mov_b64 s[0:1], 0
	s_cbranch_scc1 .LBB207_32
; %bb.29:
	s_cmp_gt_i32 s7, 2
	s_cbranch_scc0 .LBB207_33
; %bb.30:
	s_cmp_eq_u32 s7, 3
	s_cbranch_scc0 .LBB207_34
; %bb.31:
	v_max_f32_e32 v2, v1, v1
	v_min_f32_e32 v2, 0x40e00000, v2
	v_mul_f32_e32 v3, 0xbfd9db23, v2
	s_mov_b32 s2, 0x3fb8aa3b
	v_mul_f32_e32 v4, 0x3fb8aa3b, v3
	v_fma_f32 v5, v3, s2, -v4
	v_rndne_f32_e32 v6, v4
	v_fmac_f32_e32 v5, 0x32a5705f, v3
	v_sub_f32_e32 v4, v4, v6
	v_add_f32_e32 v4, v4, v5
	v_exp_f32_e32 v4, v4
	v_cvt_i32_f32_e32 v5, v6
	s_mov_b32 s2, 0xc2ce8ed0
	v_cmp_ngt_f32_e32 vcc, s2, v3
	s_mov_b32 s2, 0x42b17218
	v_ldexp_f32 v4, v4, v5
	v_cndmask_b32_e32 v4, 0, v4, vcc
	v_mov_b32_e32 v5, 0x7f800000
	v_cmp_nlt_f32_e32 vcc, s2, v3
	v_cndmask_b32_e32 v3, v5, v4, vcc
	v_add_f32_e32 v3, 1.0, v3
	v_div_scale_f32 v4, s[2:3], v3, v3, v2
	v_div_scale_f32 v5, vcc, v2, v3, v2
	s_mov_b64 s[2:3], 0
	v_rcp_f32_e32 v6, v4
	v_fma_f32 v7, -v4, v6, 1.0
	v_fmac_f32_e32 v6, v7, v6
	v_mul_f32_e32 v7, v5, v6
	v_fma_f32 v8, -v4, v7, v5
	v_fmac_f32_e32 v7, v8, v6
	v_fma_f32 v4, -v4, v7, v5
	v_div_fmas_f32 v4, v4, v6, v7
	v_max_f32_e32 v5, v0, v0
	v_min_f32_e32 v5, 0x40e00000, v5
	v_max_f32_e32 v5, 0xc0e00000, v5
	v_add_f32_e32 v5, 1.0, v5
	v_div_fixup_f32 v2, v4, v3, v2
	v_mul_f32_e32 v2, v5, v2
	s_branch .LBB207_35
.LBB207_32:
                                        ; implicit-def: $vgpr2
	s_mov_b64 s[2:3], 0
	s_cbranch_execnz .LBB207_39
	s_branch .LBB207_40
.LBB207_33:
	s_mov_b64 s[10:11], -1
	s_mov_b64 s[2:3], 0
                                        ; implicit-def: $vgpr2
	s_branch .LBB207_36
.LBB207_34:
	s_mov_b64 s[2:3], -1
                                        ; implicit-def: $vgpr2
.LBB207_35:
	s_mov_b64 s[10:11], 0
.LBB207_36:
	s_and_b64 vcc, exec, s[10:11]
	s_cbranch_vccz .LBB207_38
; %bb.37:
	v_mul_f32_e32 v2, 0xbfb8aa3b, v1
	s_mov_b32 s9, 0xbfb8aa3b
	v_rndne_f32_e32 v3, v2
	v_sub_f32_e32 v4, v2, v3
	v_fma_f32 v2, v1, s9, -v2
	v_fmac_f32_e32 v2, 0xb2a5705f, v1
	v_add_f32_e32 v2, v4, v2
	v_exp_f32_e32 v2, v2
	v_cvt_i32_f32_e32 v3, v3
	s_mov_b32 s9, 0x42ce8ed0
	v_cmp_nlt_f32_e32 vcc, s9, v1
	s_mov_b32 s9, 0xc2b17218
	v_ldexp_f32 v2, v2, v3
	v_cndmask_b32_e32 v2, 0, v2, vcc
	v_mov_b32_e32 v3, 0x7f800000
	v_cmp_ngt_f32_e32 vcc, s9, v1
	v_cndmask_b32_e32 v2, v3, v2, vcc
	v_add_f32_e32 v2, 1.0, v2
	v_div_scale_f32 v3, s[10:11], v2, v2, v1
	v_div_scale_f32 v4, vcc, v1, v2, v1
	v_rcp_f32_e32 v5, v3
	v_fma_f32 v6, -v3, v5, 1.0
	v_fmac_f32_e32 v5, v6, v5
	v_mul_f32_e32 v6, v4, v5
	v_fma_f32 v7, -v3, v6, v4
	v_fmac_f32_e32 v6, v7, v5
	v_fma_f32 v3, -v3, v6, v4
	v_div_fmas_f32 v3, v3, v5, v6
	v_div_fixup_f32 v2, v3, v2, v1
	v_mul_f32_e32 v2, v0, v2
.LBB207_38:
	s_branch .LBB207_40
.LBB207_39:
	s_cmp_lg_u32 s7, 1
	s_mov_b64 s[0:1], -1
	s_cselect_b64 s[2:3], -1, 0
.LBB207_40:
	s_andn2_b64 vcc, exec, s[2:3]
	s_cbranch_vccz .LBB207_42
; %bb.41:
	s_andn2_b64 vcc, exec, s[0:1]
	s_cbranch_vccz .LBB207_43
	s_branch .LBB207_48
.LBB207_42:
	v_mul_f32_e32 v2, v1, v0
	s_cbranch_execnz .LBB207_48
.LBB207_43:
	v_mul_f32_e32 v3, 0x3d372713, v1
	v_mul_f32_e32 v2, 0x3f4c422a, v1
	v_fma_f32 v3, v1, v3, 1.0
	v_mul_f32_e32 v2, v2, v3
	s_mov_b32 s0, 0x3f200000
	v_cmp_nlt_f32_e64 s[0:1], |v2|, s0
                                        ; implicit-def: $vgpr3
	s_and_saveexec_b64 s[2:3], s[0:1]
	s_xor_b64 s[0:1], exec, s[2:3]
	s_cbranch_execz .LBB207_45
; %bb.44:
	v_add_f32_e64 v3, |v2|, |v2|
	v_mul_f32_e32 v4, 0x3fb8aa3b, v3
	s_mov_b32 s2, 0x3fb8aa3b
	v_rndne_f32_e32 v5, v4
	v_sub_f32_e32 v6, v4, v5
	v_fma_f32 v4, v3, s2, -v4
	v_fmac_f32_e32 v4, 0x32a5705f, v3
	v_add_f32_e32 v4, v6, v4
	v_exp_f32_e32 v4, v4
	v_cvt_i32_f32_e32 v5, v5
	s_mov_b32 s2, 0xc2ce8ed0
	v_cmp_ngt_f32_e32 vcc, s2, v3
	s_mov_b32 s2, 0x42b17218
	v_ldexp_f32 v4, v4, v5
	v_cndmask_b32_e32 v4, 0, v4, vcc
	v_mov_b32_e32 v5, 0x7f800000
	v_cmp_nlt_f32_e32 vcc, s2, v3
	v_cndmask_b32_e32 v3, v5, v4, vcc
	v_add_f32_e32 v3, 1.0, v3
	v_rcp_f32_e32 v3, v3
	v_fma_f32 v3, v3, -2.0, 1.0
.LBB207_45:
	s_andn2_saveexec_b64 s[0:1], s[0:1]
	s_cbranch_execz .LBB207_47
; %bb.46:
	v_mul_f32_e32 v3, v2, v2
	v_mov_b32_e32 v4, 0x3ca908c9
	v_fmac_f32_e32 v4, 0xbbbac73d, v3
	v_mov_b32_e32 v5, 0xbd5c1c4e
	v_fmac_f32_e32 v5, v3, v4
	;; [unrolled: 2-line block ×4, first 2 shown]
	v_mul_f32_e64 v4, |v2|, v5
	v_fma_f32 v3, v3, v4, |v2|
.LBB207_47:
	s_or_b64 exec, exec, s[0:1]
	s_brev_b32 s0, -2
	v_bfi_b32 v2, s0, v3, v2
	v_mul_f32_e32 v1, 0.5, v1
	v_add_f32_e32 v2, 1.0, v2
	v_mul_f32_e32 v1, v1, v2
	v_mul_f32_e32 v2, v0, v1
.LBB207_48:
	v_mov_b32_e32 v0, v2
.LBB207_49:
	s_load_dwordx2 s[0:1], s[4:5], 0x38
	s_mul_i32 s3, s14, s34
	s_mul_i32 s2, s26, s8
	s_add_i32 s3, s3, s6
	s_add_i32 s2, s3, s2
	s_mov_b32 s3, 0
	s_lshl_b64 s[2:3], s[2:3], 2
	s_waitcnt lgkmcnt(0)
	s_add_u32 s0, s0, s2
	s_addc_u32 s1, s1, s3
	global_store_dword v12, v0, s[0:1]
.LBB207_50:
	s_endpgm
	.section	.rodata,"a",@progbits
	.p2align	6, 0x0
	.amdhsa_kernel _ZL13mul_mat_vec_qIL9ggml_type19ELi1ELb1ELb0EEvPKvS2_PKi31ggml_cuda_mm_fusion_args_devicePfj15HIP_vector_typeIjLj3EEjjjS8_jjjS8_jjjj
		.amdhsa_group_segment_fixed_size 512
		.amdhsa_private_segment_fixed_size 0
		.amdhsa_kernarg_size 144
		.amdhsa_user_sgpr_count 6
		.amdhsa_user_sgpr_private_segment_buffer 1
		.amdhsa_user_sgpr_dispatch_ptr 0
		.amdhsa_user_sgpr_queue_ptr 0
		.amdhsa_user_sgpr_kernarg_segment_ptr 1
		.amdhsa_user_sgpr_dispatch_id 0
		.amdhsa_user_sgpr_flat_scratch_init 0
		.amdhsa_user_sgpr_private_segment_size 0
		.amdhsa_uses_dynamic_stack 0
		.amdhsa_system_sgpr_private_segment_wavefront_offset 0
		.amdhsa_system_sgpr_workgroup_id_x 1
		.amdhsa_system_sgpr_workgroup_id_y 1
		.amdhsa_system_sgpr_workgroup_id_z 1
		.amdhsa_system_sgpr_workgroup_info 0
		.amdhsa_system_vgpr_workitem_id 1
		.amdhsa_next_free_vgpr 37
		.amdhsa_next_free_sgpr 42
		.amdhsa_reserve_vcc 1
		.amdhsa_reserve_flat_scratch 0
		.amdhsa_float_round_mode_32 0
		.amdhsa_float_round_mode_16_64 0
		.amdhsa_float_denorm_mode_32 3
		.amdhsa_float_denorm_mode_16_64 3
		.amdhsa_dx10_clamp 1
		.amdhsa_ieee_mode 1
		.amdhsa_fp16_overflow 0
		.amdhsa_exception_fp_ieee_invalid_op 0
		.amdhsa_exception_fp_denorm_src 0
		.amdhsa_exception_fp_ieee_div_zero 0
		.amdhsa_exception_fp_ieee_overflow 0
		.amdhsa_exception_fp_ieee_underflow 0
		.amdhsa_exception_fp_ieee_inexact 0
		.amdhsa_exception_int_div_zero 0
	.end_amdhsa_kernel
	.section	.text._ZL13mul_mat_vec_qIL9ggml_type19ELi1ELb1ELb0EEvPKvS2_PKi31ggml_cuda_mm_fusion_args_devicePfj15HIP_vector_typeIjLj3EEjjjS8_jjjS8_jjjj,"axG",@progbits,_ZL13mul_mat_vec_qIL9ggml_type19ELi1ELb1ELb0EEvPKvS2_PKi31ggml_cuda_mm_fusion_args_devicePfj15HIP_vector_typeIjLj3EEjjjS8_jjjS8_jjjj,comdat
.Lfunc_end207:
	.size	_ZL13mul_mat_vec_qIL9ggml_type19ELi1ELb1ELb0EEvPKvS2_PKi31ggml_cuda_mm_fusion_args_devicePfj15HIP_vector_typeIjLj3EEjjjS8_jjjS8_jjjj, .Lfunc_end207-_ZL13mul_mat_vec_qIL9ggml_type19ELi1ELb1ELb0EEvPKvS2_PKi31ggml_cuda_mm_fusion_args_devicePfj15HIP_vector_typeIjLj3EEjjjS8_jjjS8_jjjj
                                        ; -- End function
	.set _ZL13mul_mat_vec_qIL9ggml_type19ELi1ELb1ELb0EEvPKvS2_PKi31ggml_cuda_mm_fusion_args_devicePfj15HIP_vector_typeIjLj3EEjjjS8_jjjS8_jjjj.num_vgpr, 37
	.set _ZL13mul_mat_vec_qIL9ggml_type19ELi1ELb1ELb0EEvPKvS2_PKi31ggml_cuda_mm_fusion_args_devicePfj15HIP_vector_typeIjLj3EEjjjS8_jjjS8_jjjj.num_agpr, 0
	.set _ZL13mul_mat_vec_qIL9ggml_type19ELi1ELb1ELb0EEvPKvS2_PKi31ggml_cuda_mm_fusion_args_devicePfj15HIP_vector_typeIjLj3EEjjjS8_jjjS8_jjjj.numbered_sgpr, 42
	.set _ZL13mul_mat_vec_qIL9ggml_type19ELi1ELb1ELb0EEvPKvS2_PKi31ggml_cuda_mm_fusion_args_devicePfj15HIP_vector_typeIjLj3EEjjjS8_jjjS8_jjjj.num_named_barrier, 0
	.set _ZL13mul_mat_vec_qIL9ggml_type19ELi1ELb1ELb0EEvPKvS2_PKi31ggml_cuda_mm_fusion_args_devicePfj15HIP_vector_typeIjLj3EEjjjS8_jjjS8_jjjj.private_seg_size, 0
	.set _ZL13mul_mat_vec_qIL9ggml_type19ELi1ELb1ELb0EEvPKvS2_PKi31ggml_cuda_mm_fusion_args_devicePfj15HIP_vector_typeIjLj3EEjjjS8_jjjS8_jjjj.uses_vcc, 1
	.set _ZL13mul_mat_vec_qIL9ggml_type19ELi1ELb1ELb0EEvPKvS2_PKi31ggml_cuda_mm_fusion_args_devicePfj15HIP_vector_typeIjLj3EEjjjS8_jjjS8_jjjj.uses_flat_scratch, 0
	.set _ZL13mul_mat_vec_qIL9ggml_type19ELi1ELb1ELb0EEvPKvS2_PKi31ggml_cuda_mm_fusion_args_devicePfj15HIP_vector_typeIjLj3EEjjjS8_jjjS8_jjjj.has_dyn_sized_stack, 0
	.set _ZL13mul_mat_vec_qIL9ggml_type19ELi1ELb1ELb0EEvPKvS2_PKi31ggml_cuda_mm_fusion_args_devicePfj15HIP_vector_typeIjLj3EEjjjS8_jjjS8_jjjj.has_recursion, 0
	.set _ZL13mul_mat_vec_qIL9ggml_type19ELi1ELb1ELb0EEvPKvS2_PKi31ggml_cuda_mm_fusion_args_devicePfj15HIP_vector_typeIjLj3EEjjjS8_jjjS8_jjjj.has_indirect_call, 0
	.section	.AMDGPU.csdata,"",@progbits
; Kernel info:
; codeLenInByte = 2960
; TotalNumSgprs: 46
; NumVgprs: 37
; ScratchSize: 0
; MemoryBound: 0
; FloatMode: 240
; IeeeMode: 1
; LDSByteSize: 512 bytes/workgroup (compile time only)
; SGPRBlocks: 5
; VGPRBlocks: 9
; NumSGPRsForWavesPerEU: 46
; NumVGPRsForWavesPerEU: 37
; Occupancy: 6
; WaveLimiterHint : 0
; COMPUTE_PGM_RSRC2:SCRATCH_EN: 0
; COMPUTE_PGM_RSRC2:USER_SGPR: 6
; COMPUTE_PGM_RSRC2:TRAP_HANDLER: 0
; COMPUTE_PGM_RSRC2:TGID_X_EN: 1
; COMPUTE_PGM_RSRC2:TGID_Y_EN: 1
; COMPUTE_PGM_RSRC2:TGID_Z_EN: 1
; COMPUTE_PGM_RSRC2:TIDIG_COMP_CNT: 1
	.section	.text._ZL13mul_mat_vec_qIL9ggml_type19ELi1ELb0ELb0EEvPKvS2_PKi31ggml_cuda_mm_fusion_args_devicePfj15HIP_vector_typeIjLj3EEjjjS8_jjjS8_jjjj,"axG",@progbits,_ZL13mul_mat_vec_qIL9ggml_type19ELi1ELb0ELb0EEvPKvS2_PKi31ggml_cuda_mm_fusion_args_devicePfj15HIP_vector_typeIjLj3EEjjjS8_jjjS8_jjjj,comdat
	.globl	_ZL13mul_mat_vec_qIL9ggml_type19ELi1ELb0ELb0EEvPKvS2_PKi31ggml_cuda_mm_fusion_args_devicePfj15HIP_vector_typeIjLj3EEjjjS8_jjjS8_jjjj ; -- Begin function _ZL13mul_mat_vec_qIL9ggml_type19ELi1ELb0ELb0EEvPKvS2_PKi31ggml_cuda_mm_fusion_args_devicePfj15HIP_vector_typeIjLj3EEjjjS8_jjjS8_jjjj
	.p2align	8
	.type	_ZL13mul_mat_vec_qIL9ggml_type19ELi1ELb0ELb0EEvPKvS2_PKi31ggml_cuda_mm_fusion_args_devicePfj15HIP_vector_typeIjLj3EEjjjS8_jjjS8_jjjj,@function
_ZL13mul_mat_vec_qIL9ggml_type19ELi1ELb0ELb0EEvPKvS2_PKi31ggml_cuda_mm_fusion_args_devicePfj15HIP_vector_typeIjLj3EEjjjS8_jjjS8_jjjj: ; @_ZL13mul_mat_vec_qIL9ggml_type19ELi1ELb0ELb0EEvPKvS2_PKi31ggml_cuda_mm_fusion_args_devicePfj15HIP_vector_typeIjLj3EEjjjS8_jjjS8_jjjj
; %bb.0:
	s_load_dwordx2 s[0:1], s[4:5], 0x10
	s_load_dwordx4 s[16:19], s[4:5], 0x40
	s_mov_b32 s10, s7
	s_mov_b64 s[14:15], 0
	s_waitcnt lgkmcnt(0)
	s_cmp_lg_u64 s[0:1], 0
	s_cselect_b64 s[12:13], -1, 0
	s_cmp_eq_u64 s[0:1], 0
	s_cbranch_scc1 .LBB208_5
; %bb.1:
	s_mov_b32 s11, 0
	s_lshl_b64 s[2:3], s[10:11], 2
	s_add_u32 s0, s0, s2
	s_addc_u32 s1, s1, s3
	s_load_dword s9, s[0:1], 0x0
	s_nop 0
	s_load_dwordx4 s[0:3], s[4:5], 0x68
	s_load_dword s11, s[4:5], 0x50
	s_andn2_b64 vcc, exec, s[14:15]
	s_cbranch_vccnz .LBB208_3
.LBB208_2:
	s_load_dwordx2 s[14:15], s[4:5], 0x5c
	s_waitcnt lgkmcnt(0)
	s_mul_hi_u32 s7, s14, s10
	s_add_i32 s7, s10, s7
	s_lshr_b32 s9, s7, s15
.LBB208_3:
	s_load_dword s22, s[4:5], 0x78
	s_andn2_b64 vcc, exec, s[12:13]
	s_cbranch_vccnz .LBB208_6
; %bb.4:
	s_mul_hi_u32 s7, s17, s10
	s_add_i32 s7, s10, s7
	s_lshr_b32 s7, s7, s18
	s_mul_i32 s7, s7, s19
	s_sub_i32 s23, s10, s7
	s_branch .LBB208_7
.LBB208_5:
                                        ; implicit-def: $sgpr9
	s_load_dwordx4 s[0:3], s[4:5], 0x68
	s_load_dword s11, s[4:5], 0x50
	s_branch .LBB208_2
.LBB208_6:
	s_mov_b32 s23, s10
.LBB208_7:
	s_load_dwordx4 s[12:15], s[4:5], 0x80
	v_lshl_add_u32 v2, v1, 6, v0
	s_lshr_b32 s7, s16, 8
	v_lshrrev_b32_e32 v5, 3, v2
	v_cmp_gt_u32_e32 vcc, s7, v5
	v_mov_b32_e32 v4, 0
	s_and_saveexec_b64 s[20:21], vcc
	s_cbranch_execz .LBB208_11
; %bb.8:
	s_waitcnt lgkmcnt(0)
	s_mul_i32 s9, s9, s0
	s_mul_hi_u32 s0, s3, s8
	s_add_i32 s0, s8, s0
	s_lshr_b32 s0, s0, s22
	s_mul_i32 s3, s0, s12
	s_mul_i32 s0, s23, s1
	s_mul_hi_u32 s1, s0, 36
	s_mul_i32 s0, s0, 36
	v_lshrrev_b32_e32 v4, 3, v2
	v_mov_b32_e32 v2, s0
	v_mov_b32_e32 v3, s1
	s_movk_i32 s0, 0x120
	v_mad_u64_u32 v[2:3], s[0:1], v4, s0, v[2:3]
	s_mul_i32 s12, s13, s8
	s_load_dwordx4 s[16:19], s[4:5], 0x0
	v_mad_u64_u32 v[2:3], s[0:1], s12, 36, v[2:3]
	v_and_b32_e32 v7, 7, v0
	s_mul_i32 s11, s11, s6
	v_mad_u64_u32 v[2:3], s[0:1], v7, 36, v[2:3]
	s_waitcnt lgkmcnt(0)
	v_mov_b32_e32 v8, s19
	s_add_i32 s3, s3, s11
	v_add_co_u32_e32 v2, vcc, s18, v2
	v_addc_co_u32_e32 v3, vcc, v8, v3, vcc
	v_lshlrev_b32_e32 v6, 1, v7
	v_add_co_u32_e32 v2, vcc, 32, v2
	s_add_i32 s3, s9, s3
	v_mov_b32_e32 v4, 0
	v_addc_co_u32_e32 v3, vcc, 0, v3, vcc
	s_mov_b64 s[0:1], 0
	v_lshlrev_b32_e32 v6, 1, v6
	v_lshlrev_b32_e32 v7, 1, v7
	s_movk_i32 s9, 0x700
.LBB208_9:                              ; =>This Inner Loop Header: Depth=1
	v_add_u32_e32 v12, s3, v5
	v_mad_i64_i32 v[12:13], s[18:19], v12, 50, s[16:17]
	global_load_dwordx4 v[8:11], v[2:3], off offset:-32
	s_getpc_b64 s[12:13]
	s_add_u32 s12, s12, _ZL13iq1s_grid_gpu@rel32@lo+4
	s_addc_u32 s13, s13, _ZL13iq1s_grid_gpu@rel32@hi+12
	v_add_co_u32_e32 v14, vcc, v12, v6
	v_addc_co_u32_e32 v15, vcc, 0, v13, vcc
	v_add_co_u32_e32 v16, vcc, v12, v7
	v_addc_co_u32_e32 v17, vcc, 0, v13, vcc
	global_load_dword v18, v[14:15], off offset:2
	global_load_ushort v19, v[16:17], off offset:34
	global_load_ushort v20, v[12:13], off
	v_add_u32_e32 v5, 16, v5
	s_waitcnt vmcnt(2)
	v_and_b32_e32 v13, 0xff, v18
	s_waitcnt vmcnt(1)
	v_lshlrev_b32_e32 v14, 8, v19
	v_lshrrev_b32_e32 v12, 24, v18
	v_bfe_u32 v15, v18, 8, 8
	v_lshlrev_b32_e32 v16, 5, v19
	v_bfe_u32 v17, v18, 16, 8
	v_lshlrev_b32_e32 v18, 2, v19
	v_lshrrev_b32_e32 v21, 1, v19
	v_and_or_b32 v13, v14, s9, v13
	v_and_or_b32 v14, v16, s9, v15
	;; [unrolled: 1-line block ×4, first 2 shown]
	v_lshlrev_b32_e32 v13, 2, v13
	v_lshlrev_b32_e32 v14, 2, v14
	;; [unrolled: 1-line block ×4, first 2 shown]
	global_load_dword v16, v13, s[12:13]
	global_load_dword v17, v14, s[12:13]
	;; [unrolled: 1-line block ×4, first 2 shown]
	s_waitcnt vmcnt(3)
	v_lshrrev_b32_e32 v12, 4, v16
	v_and_b32_e32 v22, 0xf0f0f0f, v16
	v_and_b32_e32 v16, 0xf0f0f0f, v12
	global_load_dwordx4 v[12:15], v[2:3], off offset:-16
	v_dot4_i32_i8 v9, v22, v9, 0
	v_dot4_i32_i8 v9, v16, v10, v9
	s_waitcnt vmcnt(3)
	v_and_b32_e32 v10, 0xf0f0f0f, v17
	v_dot4_i32_i8 v9, v10, v11, v9
	v_lshrrev_b32_e32 v10, 4, v17
	v_and_b32_e32 v10, 0xf0f0f0f, v10
	s_waitcnt vmcnt(2)
	v_lshrrev_b32_e32 v11, 4, v18
	v_and_b32_e32 v11, 0xf0f0f0f, v11
	s_waitcnt vmcnt(1)
	;; [unrolled: 3-line block ×3, first 2 shown]
	v_dot4_i32_i8 v9, v10, v12, v9
	v_and_b32_e32 v10, 0xf0f0f0f, v18
	v_dot4_i32_i8 v9, v10, v13, v9
	global_load_dword v10, v[2:3], off
	v_dot4_i32_i8 v9, v11, v14, v9
	v_and_b32_e32 v11, 0xf0f0f0f, v21
	v_dot4_i32_i8 v9, v11, v15, v9
	v_and_b32_e32 v15, 0x8000, v19
	v_cvt_f32_u32_e32 v15, v15
	v_cvt_f32_f16_sdwa v12, v8 dst_sel:DWORD dst_unused:UNUSED_PAD src0_sel:WORD_1
	v_cvt_f32_f16_e32 v13, v20
	v_mov_b32_e32 v11, 0xbf600000
	v_lshrrev_b32_e32 v14, 11, v19
	v_add_co_u32_e32 v2, vcc, 0x1200, v2
	v_and_or_b32 v14, v14, 14, 1
	v_fmac_f32_e32 v11, 0xb7000000, v15
	v_addc_co_u32_e32 v3, vcc, 0, v3, vcc
	v_cvt_f32_ubyte0_e32 v14, v14
	v_mul_f32_e32 v11, v11, v12
	v_cmp_le_u32_e32 vcc, s7, v5
	s_or_b64 s[0:1], vcc, s[0:1]
	s_waitcnt vmcnt(0)
	v_dot4_i32_i8 v9, v16, v10, v9
	v_cvt_f32_i32_e32 v9, v9
	v_mul_f32_e32 v10, v14, v13
	v_fma_mix_f32 v8, v9, v8, v11 op_sel_hi:[0,1,0]
	v_fmac_f32_e32 v4, v10, v8
	s_andn2_b64 exec, exec, s[0:1]
	s_cbranch_execnz .LBB208_9
; %bb.10:
	s_or_b64 exec, exec, s[0:1]
.LBB208_11:
	s_or_b64 exec, exec, s[20:21]
	v_cmp_eq_u32_e32 vcc, 0, v1
	s_waitcnt lgkmcnt(0)
	v_cmp_ne_u32_e64 s[0:1], 0, v1
	v_lshlrev_b32_e32 v2, 2, v0
	s_and_saveexec_b64 s[12:13], s[0:1]
; %bb.12:
	v_lshlrev_b32_e32 v1, 8, v1
	s_movk_i32 s0, 0xff00
	v_add3_u32 v1, v1, v2, s0
	ds_write_b32 v1, v4
; %bb.13:
	s_or_b64 exec, exec, s[12:13]
	s_waitcnt lgkmcnt(0)
	s_barrier
	s_and_saveexec_b64 s[0:1], vcc
	s_cbranch_execz .LBB208_16
; %bb.14:
	ds_read_b32 v1, v2
	v_mbcnt_lo_u32_b32 v2, -1, 0
	v_mbcnt_hi_u32_b32 v2, -1, v2
	v_and_b32_e32 v3, 64, v2
	v_add_u32_e32 v3, 64, v3
	v_xor_b32_e32 v5, 32, v2
	v_cmp_lt_i32_e32 vcc, v5, v3
	v_cndmask_b32_e32 v5, v2, v5, vcc
	v_lshlrev_b32_e32 v5, 2, v5
	s_waitcnt lgkmcnt(0)
	v_add_f32_e32 v1, v4, v1
	ds_bpermute_b32 v4, v5, v1
	v_xor_b32_e32 v5, 16, v2
	v_cmp_lt_i32_e32 vcc, v5, v3
	v_cndmask_b32_e32 v5, v2, v5, vcc
	v_lshlrev_b32_e32 v5, 2, v5
	s_waitcnt lgkmcnt(0)
	v_add_f32_e32 v1, v1, v4
	ds_bpermute_b32 v4, v5, v1
	;; [unrolled: 7-line block ×6, first 2 shown]
	s_mov_b32 s1, 0
	v_cmp_eq_u32_e32 vcc, 0, v0
	s_and_b64 exec, exec, vcc
	s_cbranch_execz .LBB208_16
; %bb.15:
	s_load_dwordx2 s[4:5], s[4:5], 0x38
	s_mul_i32 s0, s2, s10
	s_add_i32 s0, s0, s6
	s_mul_i32 s2, s14, s8
	s_add_i32 s0, s0, s2
	s_lshl_b64 s[0:1], s[0:1], 2
	s_waitcnt lgkmcnt(0)
	s_add_u32 s0, s4, s0
	v_add_f32_e32 v0, v1, v2
	s_addc_u32 s1, s5, s1
	v_mov_b32_e32 v1, 0
	global_store_dword v1, v0, s[0:1]
.LBB208_16:
	s_endpgm
	.section	.rodata,"a",@progbits
	.p2align	6, 0x0
	.amdhsa_kernel _ZL13mul_mat_vec_qIL9ggml_type19ELi1ELb0ELb0EEvPKvS2_PKi31ggml_cuda_mm_fusion_args_devicePfj15HIP_vector_typeIjLj3EEjjjS8_jjjS8_jjjj
		.amdhsa_group_segment_fixed_size 256
		.amdhsa_private_segment_fixed_size 0
		.amdhsa_kernarg_size 144
		.amdhsa_user_sgpr_count 6
		.amdhsa_user_sgpr_private_segment_buffer 1
		.amdhsa_user_sgpr_dispatch_ptr 0
		.amdhsa_user_sgpr_queue_ptr 0
		.amdhsa_user_sgpr_kernarg_segment_ptr 1
		.amdhsa_user_sgpr_dispatch_id 0
		.amdhsa_user_sgpr_flat_scratch_init 0
		.amdhsa_user_sgpr_private_segment_size 0
		.amdhsa_uses_dynamic_stack 0
		.amdhsa_system_sgpr_private_segment_wavefront_offset 0
		.amdhsa_system_sgpr_workgroup_id_x 1
		.amdhsa_system_sgpr_workgroup_id_y 1
		.amdhsa_system_sgpr_workgroup_id_z 1
		.amdhsa_system_sgpr_workgroup_info 0
		.amdhsa_system_vgpr_workitem_id 1
		.amdhsa_next_free_vgpr 23
		.amdhsa_next_free_sgpr 24
		.amdhsa_reserve_vcc 1
		.amdhsa_reserve_flat_scratch 0
		.amdhsa_float_round_mode_32 0
		.amdhsa_float_round_mode_16_64 0
		.amdhsa_float_denorm_mode_32 3
		.amdhsa_float_denorm_mode_16_64 3
		.amdhsa_dx10_clamp 1
		.amdhsa_ieee_mode 1
		.amdhsa_fp16_overflow 0
		.amdhsa_exception_fp_ieee_invalid_op 0
		.amdhsa_exception_fp_denorm_src 0
		.amdhsa_exception_fp_ieee_div_zero 0
		.amdhsa_exception_fp_ieee_overflow 0
		.amdhsa_exception_fp_ieee_underflow 0
		.amdhsa_exception_fp_ieee_inexact 0
		.amdhsa_exception_int_div_zero 0
	.end_amdhsa_kernel
	.section	.text._ZL13mul_mat_vec_qIL9ggml_type19ELi1ELb0ELb0EEvPKvS2_PKi31ggml_cuda_mm_fusion_args_devicePfj15HIP_vector_typeIjLj3EEjjjS8_jjjS8_jjjj,"axG",@progbits,_ZL13mul_mat_vec_qIL9ggml_type19ELi1ELb0ELb0EEvPKvS2_PKi31ggml_cuda_mm_fusion_args_devicePfj15HIP_vector_typeIjLj3EEjjjS8_jjjS8_jjjj,comdat
.Lfunc_end208:
	.size	_ZL13mul_mat_vec_qIL9ggml_type19ELi1ELb0ELb0EEvPKvS2_PKi31ggml_cuda_mm_fusion_args_devicePfj15HIP_vector_typeIjLj3EEjjjS8_jjjS8_jjjj, .Lfunc_end208-_ZL13mul_mat_vec_qIL9ggml_type19ELi1ELb0ELb0EEvPKvS2_PKi31ggml_cuda_mm_fusion_args_devicePfj15HIP_vector_typeIjLj3EEjjjS8_jjjS8_jjjj
                                        ; -- End function
	.set _ZL13mul_mat_vec_qIL9ggml_type19ELi1ELb0ELb0EEvPKvS2_PKi31ggml_cuda_mm_fusion_args_devicePfj15HIP_vector_typeIjLj3EEjjjS8_jjjS8_jjjj.num_vgpr, 23
	.set _ZL13mul_mat_vec_qIL9ggml_type19ELi1ELb0ELb0EEvPKvS2_PKi31ggml_cuda_mm_fusion_args_devicePfj15HIP_vector_typeIjLj3EEjjjS8_jjjS8_jjjj.num_agpr, 0
	.set _ZL13mul_mat_vec_qIL9ggml_type19ELi1ELb0ELb0EEvPKvS2_PKi31ggml_cuda_mm_fusion_args_devicePfj15HIP_vector_typeIjLj3EEjjjS8_jjjS8_jjjj.numbered_sgpr, 24
	.set _ZL13mul_mat_vec_qIL9ggml_type19ELi1ELb0ELb0EEvPKvS2_PKi31ggml_cuda_mm_fusion_args_devicePfj15HIP_vector_typeIjLj3EEjjjS8_jjjS8_jjjj.num_named_barrier, 0
	.set _ZL13mul_mat_vec_qIL9ggml_type19ELi1ELb0ELb0EEvPKvS2_PKi31ggml_cuda_mm_fusion_args_devicePfj15HIP_vector_typeIjLj3EEjjjS8_jjjS8_jjjj.private_seg_size, 0
	.set _ZL13mul_mat_vec_qIL9ggml_type19ELi1ELb0ELb0EEvPKvS2_PKi31ggml_cuda_mm_fusion_args_devicePfj15HIP_vector_typeIjLj3EEjjjS8_jjjS8_jjjj.uses_vcc, 1
	.set _ZL13mul_mat_vec_qIL9ggml_type19ELi1ELb0ELb0EEvPKvS2_PKi31ggml_cuda_mm_fusion_args_devicePfj15HIP_vector_typeIjLj3EEjjjS8_jjjS8_jjjj.uses_flat_scratch, 0
	.set _ZL13mul_mat_vec_qIL9ggml_type19ELi1ELb0ELb0EEvPKvS2_PKi31ggml_cuda_mm_fusion_args_devicePfj15HIP_vector_typeIjLj3EEjjjS8_jjjS8_jjjj.has_dyn_sized_stack, 0
	.set _ZL13mul_mat_vec_qIL9ggml_type19ELi1ELb0ELb0EEvPKvS2_PKi31ggml_cuda_mm_fusion_args_devicePfj15HIP_vector_typeIjLj3EEjjjS8_jjjS8_jjjj.has_recursion, 0
	.set _ZL13mul_mat_vec_qIL9ggml_type19ELi1ELb0ELb0EEvPKvS2_PKi31ggml_cuda_mm_fusion_args_devicePfj15HIP_vector_typeIjLj3EEjjjS8_jjjS8_jjjj.has_indirect_call, 0
	.section	.AMDGPU.csdata,"",@progbits
; Kernel info:
; codeLenInByte = 1260
; TotalNumSgprs: 28
; NumVgprs: 23
; ScratchSize: 0
; MemoryBound: 0
; FloatMode: 240
; IeeeMode: 1
; LDSByteSize: 256 bytes/workgroup (compile time only)
; SGPRBlocks: 3
; VGPRBlocks: 5
; NumSGPRsForWavesPerEU: 28
; NumVGPRsForWavesPerEU: 23
; Occupancy: 10
; WaveLimiterHint : 0
; COMPUTE_PGM_RSRC2:SCRATCH_EN: 0
; COMPUTE_PGM_RSRC2:USER_SGPR: 6
; COMPUTE_PGM_RSRC2:TRAP_HANDLER: 0
; COMPUTE_PGM_RSRC2:TGID_X_EN: 1
; COMPUTE_PGM_RSRC2:TGID_Y_EN: 1
; COMPUTE_PGM_RSRC2:TGID_Z_EN: 1
; COMPUTE_PGM_RSRC2:TIDIG_COMP_CNT: 1
	.section	.text._ZL13mul_mat_vec_qIL9ggml_type19ELi2ELb0ELb0EEvPKvS2_PKi31ggml_cuda_mm_fusion_args_devicePfj15HIP_vector_typeIjLj3EEjjjS8_jjjS8_jjjj,"axG",@progbits,_ZL13mul_mat_vec_qIL9ggml_type19ELi2ELb0ELb0EEvPKvS2_PKi31ggml_cuda_mm_fusion_args_devicePfj15HIP_vector_typeIjLj3EEjjjS8_jjjS8_jjjj,comdat
	.globl	_ZL13mul_mat_vec_qIL9ggml_type19ELi2ELb0ELb0EEvPKvS2_PKi31ggml_cuda_mm_fusion_args_devicePfj15HIP_vector_typeIjLj3EEjjjS8_jjjS8_jjjj ; -- Begin function _ZL13mul_mat_vec_qIL9ggml_type19ELi2ELb0ELb0EEvPKvS2_PKi31ggml_cuda_mm_fusion_args_devicePfj15HIP_vector_typeIjLj3EEjjjS8_jjjS8_jjjj
	.p2align	8
	.type	_ZL13mul_mat_vec_qIL9ggml_type19ELi2ELb0ELb0EEvPKvS2_PKi31ggml_cuda_mm_fusion_args_devicePfj15HIP_vector_typeIjLj3EEjjjS8_jjjS8_jjjj,@function
_ZL13mul_mat_vec_qIL9ggml_type19ELi2ELb0ELb0EEvPKvS2_PKi31ggml_cuda_mm_fusion_args_devicePfj15HIP_vector_typeIjLj3EEjjjS8_jjjS8_jjjj: ; @_ZL13mul_mat_vec_qIL9ggml_type19ELi2ELb0ELb0EEvPKvS2_PKi31ggml_cuda_mm_fusion_args_devicePfj15HIP_vector_typeIjLj3EEjjjS8_jjjS8_jjjj
; %bb.0:
	s_load_dword s9, s[4:5], 0x40
	s_load_dwordx4 s[0:3], s[4:5], 0x50
	s_load_dword s25, s[4:5], 0x60
	s_load_dwordx4 s[12:15], s[4:5], 0x68
	;; [unrolled: 2-line block ×3, first 2 shown]
	v_lshl_add_u32 v2, v1, 6, v0
	s_waitcnt lgkmcnt(0)
	s_lshr_b32 s9, s9, 8
	v_lshrrev_b32_e32 v10, 3, v2
	s_lshl_b32 s6, s6, 1
	v_cmp_gt_u32_e32 vcc, s9, v10
	v_mov_b32_e32 v8, 0
	v_mov_b32_e32 v9, 0
	;; [unrolled: 1-line block ×4, first 2 shown]
	s_and_saveexec_b64 s[10:11], vcc
	s_cbranch_execz .LBB209_4
; %bb.1:
	s_mul_hi_u32 s3, s3, s7
	s_add_i32 s3, s7, s3
	s_load_dwordx4 s[20:23], s[4:5], 0x0
	s_lshr_b32 s3, s3, s25
	s_mul_i32 s3, s3, s12
	s_mul_hi_u32 s12, s15, s8
	s_add_i32 s12, s8, s12
	s_lshr_b32 s12, s12, s24
	s_mul_i32 s19, s17, s8
	s_mul_i32 s15, s12, s16
	;; [unrolled: 1-line block ×3, first 2 shown]
	s_mul_hi_u32 s12, s19, 36
	s_waitcnt lgkmcnt(0)
	s_add_u32 s16, s22, s16
	s_addc_u32 s17, s23, s12
	s_mul_i32 s12, s13, s7
	s_mul_hi_u32 s13, s12, 36
	s_mul_i32 s12, s12, 36
	s_add_u32 s16, s16, s12
	s_addc_u32 s17, s17, s13
	v_and_b32_e32 v7, 7, v0
	v_mad_u64_u32 v[2:3], s[16:17], v7, 36, s[16:17]
	v_mov_b32_e32 v4, s12
	s_movk_i32 s16, 0x120
	v_mov_b32_e32 v5, s13
	v_mad_u64_u32 v[4:5], s[12:13], v10, s16, v[4:5]
	v_mov_b32_e32 v9, s23
	s_add_i32 s16, s6, 1
	v_mad_u64_u32 v[4:5], s[12:13], s19, 36, v[4:5]
	s_add_i32 s15, s15, s3
	v_lshlrev_b32_e32 v8, 1, v7
	v_mad_u64_u32 v[4:5], s[12:13], v7, 36, v[4:5]
	s_mul_i32 s3, s6, s0
	s_mul_i32 s0, s0, s16
	v_add_co_u32_e32 v4, vcc, s22, v4
	v_addc_co_u32_e32 v5, vcc, v9, v5, vcc
	v_add_co_u32_e32 v4, vcc, 32, v4
	v_mov_b32_e32 v6, 0
	s_add_i32 s3, s15, s3
	s_add_i32 s15, s15, s0
	v_lshl_add_u32 v11, v10, 3, s1
	v_addc_co_u32_e32 v5, vcc, 0, v5, vcc
	s_mov_b64 s[12:13], 0
	v_lshlrev_b32_e32 v12, 1, v8
	v_lshlrev_b32_e32 v13, 1, v7
	s_movk_i32 s16, 0x700
	v_mov_b32_e32 v7, 0
	v_mov_b32_e32 v8, 0
	;; [unrolled: 1-line block ×3, first 2 shown]
.LBB209_2:                              ; =>This Inner Loop Header: Depth=1
	v_add_u32_e32 v22, s3, v10
	v_mad_u64_u32 v[30:31], s[22:23], v11, 36, v[2:3]
	v_mad_i64_i32 v[32:33], s[22:23], v22, 50, s[20:21]
	v_add_u32_e32 v23, s15, v10
	global_load_dwordx4 v[14:17], v[4:5], off offset:-32
	global_load_dwordx4 v[18:21], v[4:5], off offset:-16
	v_mad_i64_i32 v[34:35], s[22:23], v23, 50, s[20:21]
	global_load_dwordx4 v[22:25], v[30:31], off
	global_load_dwordx4 v[26:29], v[30:31], off offset:16
	global_load_dword v44, v[30:31], off offset:32
	v_add_co_u32_e32 v30, vcc, v32, v12
	v_addc_co_u32_e32 v31, vcc, 0, v33, vcc
	v_add_co_u32_e32 v36, vcc, v32, v13
	v_addc_co_u32_e32 v37, vcc, 0, v33, vcc
	;; [unrolled: 2-line block ×4, first 2 shown]
	global_load_dword v45, v[30:31], off offset:2
	global_load_ushort v46, v[36:37], off offset:34
	global_load_dword v47, v[38:39], off offset:2
                                        ; kill: killed $vgpr38 killed $vgpr39
                                        ; kill: killed $vgpr36 killed $vgpr37
                                        ; kill: killed $vgpr30 killed $vgpr31
	s_nop 0
	global_load_ushort v30, v[40:41], off offset:34
	global_load_ushort v31, v[34:35], off
	global_load_ushort v36, v[32:33], off
	s_getpc_b64 s[0:1]
	s_add_u32 s0, s0, _ZL13iq1s_grid_gpu@rel32@lo+4
	s_addc_u32 s1, s1, _ZL13iq1s_grid_gpu@rel32@hi+12
	v_mov_b32_e32 v42, 0xbf600000
	v_mov_b32_e32 v43, 0xbf600000
	v_add_u32_e32 v10, 16, v10
	v_add_u32_e32 v11, 0x80, v11
	s_waitcnt vmcnt(5)
	v_and_b32_e32 v32, 0xff, v45
	s_waitcnt vmcnt(4)
	v_lshlrev_b32_e32 v33, 8, v46
	v_bfe_u32 v34, v45, 8, 8
	v_lshlrev_b32_e32 v35, 5, v46
	v_bfe_u32 v37, v45, 16, 8
	v_lshlrev_b32_e32 v38, 2, v46
	v_lshrrev_b32_e32 v39, 24, v45
	v_lshrrev_b32_e32 v40, 1, v46
	v_and_or_b32 v32, v33, s16, v32
	s_waitcnt vmcnt(3)
	v_and_b32_e32 v33, 0xff, v47
	v_and_or_b32 v34, v35, s16, v34
	s_waitcnt vmcnt(2)
	v_lshlrev_b32_e32 v35, 8, v30
	v_and_or_b32 v37, v38, s16, v37
	v_bfe_u32 v38, v47, 8, 8
	v_and_or_b32 v39, v40, s16, v39
	v_lshlrev_b32_e32 v40, 5, v30
	v_and_or_b32 v33, v35, s16, v33
	v_bfe_u32 v35, v47, 16, 8
	v_and_or_b32 v38, v40, s16, v38
	v_lshlrev_b32_e32 v40, 2, v30
	v_lshrrev_b32_e32 v41, 24, v47
	v_and_or_b32 v35, v40, s16, v35
	v_lshrrev_b32_e32 v40, 1, v30
	v_lshlrev_b32_e32 v32, 2, v32
	v_lshlrev_b32_e32 v34, 2, v34
	v_and_or_b32 v40, v40, s16, v41
	v_lshrrev_b32_e32 v41, 11, v46
	v_and_b32_e32 v45, 0x8000, v46
	v_lshlrev_b32_e32 v37, 2, v37
	v_lshlrev_b32_e32 v39, 2, v39
	global_load_dword v46, v32, s[0:1]
	global_load_dword v47, v34, s[0:1]
                                        ; kill: killed $vgpr34
                                        ; kill: killed $vgpr32
	s_nop 0
	global_load_dword v32, v37, s[0:1]
	global_load_dword v34, v39, s[0:1]
	s_waitcnt vmcnt(4)
	v_cvt_f32_f16_e32 v36, v36
	v_and_or_b32 v41, v41, 14, 1
	v_cvt_f32_f16_e32 v31, v31
	v_cvt_f32_ubyte0_e32 v41, v41
	v_cvt_f32_u32_e32 v45, v45
	v_mul_f32_e32 v36, v41, v36
	v_lshrrev_b32_e32 v41, 11, v30
	v_and_or_b32 v41, v41, 14, 1
	v_and_b32_e32 v30, 0x8000, v30
	v_cvt_f32_ubyte0_e32 v41, v41
	v_cvt_f32_u32_e32 v30, v30
	v_mul_f32_e32 v31, v41, v31
	v_cvt_f32_f16_sdwa v41, v14 dst_sel:DWORD dst_unused:UNUSED_PAD src0_sel:WORD_1
	v_fmac_f32_e32 v42, 0xb7000000, v45
	v_cvt_f32_f16_sdwa v45, v22 dst_sel:DWORD dst_unused:UNUSED_PAD src0_sel:WORD_1
	v_fmac_f32_e32 v43, 0xb7000000, v30
	v_mul_f32_e32 v30, v42, v41
	v_mul_f32_e32 v37, v43, v41
	v_mul_f32_e32 v39, v42, v45
	v_mul_f32_e32 v41, v43, v45
	v_lshlrev_b32_e32 v33, 2, v33
	v_lshlrev_b32_e32 v38, 2, v38
	;; [unrolled: 1-line block ×4, first 2 shown]
	s_waitcnt vmcnt(3)
	v_and_b32_e32 v42, 0xf0f0f0f, v46
	v_lshrrev_b32_e32 v43, 4, v46
	v_and_b32_e32 v43, 0xf0f0f0f, v43
	v_dot4_i32_i8 v45, v42, v15, 0
	v_dot4_i32_i8 v42, v42, v23, 0
	;; [unrolled: 1-line block ×4, first 2 shown]
	global_load_dword v43, v33, s[0:1]
	global_load_dword v46, v38, s[0:1]
                                        ; kill: killed $vgpr33
                                        ; kill: killed $vgpr38
	s_nop 0
	global_load_dword v33, v35, s[0:1]
	global_load_dword v38, v40, s[0:1]
	v_cmp_le_u32_e64 s[0:1], s9, v10
	s_or_b64 s[12:13], s[0:1], s[12:13]
	s_waitcnt vmcnt(3)
	v_and_b32_e32 v35, 0xf0f0f0f, v43
	v_lshrrev_b32_e32 v40, 4, v43
	v_and_b32_e32 v40, 0xf0f0f0f, v40
	v_dot4_i32_i8 v15, v35, v15, 0
	v_dot4_i32_i8 v23, v35, v23, 0
	v_dot4_i32_i8 v15, v40, v16, v15
	v_dot4_i32_i8 v16, v40, v24, v23
	v_and_b32_e32 v23, 0xf0f0f0f, v47
	s_waitcnt vmcnt(2)
	v_and_b32_e32 v35, 0xf0f0f0f, v46
	v_dot4_i32_i8 v24, v23, v17, v45
	v_dot4_i32_i8 v15, v35, v17, v15
	v_lshrrev_b32_e32 v17, 4, v47
	v_dot4_i32_i8 v23, v23, v25, v42
	v_and_b32_e32 v17, 0xf0f0f0f, v17
	v_dot4_i32_i8 v24, v17, v18, v24
	v_dot4_i32_i8 v17, v17, v26, v23
	v_lshrrev_b32_e32 v23, 4, v46
	v_and_b32_e32 v23, 0xf0f0f0f, v23
	v_dot4_i32_i8 v16, v35, v25, v16
	v_dot4_i32_i8 v15, v23, v18, v15
	v_and_b32_e32 v18, 0xf0f0f0f, v32
	v_dot4_i32_i8 v16, v23, v26, v16
	v_dot4_i32_i8 v23, v18, v19, v24
	;; [unrolled: 1-line block ×3, first 2 shown]
	s_waitcnt vmcnt(1)
	v_and_b32_e32 v18, 0xf0f0f0f, v33
	v_dot4_i32_i8 v15, v18, v19, v15
	v_dot4_i32_i8 v16, v18, v27, v16
	global_load_dword v18, v[4:5], off
	v_lshrrev_b32_e32 v19, 4, v32
	v_lshrrev_b32_e32 v24, 4, v33
	v_and_b32_e32 v19, 0xf0f0f0f, v19
	v_and_b32_e32 v24, 0xf0f0f0f, v24
	v_dot4_i32_i8 v23, v19, v20, v23
	v_dot4_i32_i8 v17, v19, v28, v17
	v_and_b32_e32 v19, 0xf0f0f0f, v34
	v_dot4_i32_i8 v15, v24, v20, v15
	v_dot4_i32_i8 v16, v24, v28, v16
	s_waitcnt vmcnt(1)
	v_and_b32_e32 v20, 0xf0f0f0f, v38
	v_lshrrev_b32_e32 v24, 4, v34
	v_lshrrev_b32_e32 v25, 4, v38
	v_and_b32_e32 v24, 0xf0f0f0f, v24
	v_and_b32_e32 v25, 0xf0f0f0f, v25
	v_dot4_i32_i8 v23, v19, v21, v23
	v_dot4_i32_i8 v15, v20, v21, v15
	v_dot4_i32_i8 v17, v19, v29, v17
	v_dot4_i32_i8 v16, v20, v29, v16
	v_dot4_i32_i8 v17, v24, v44, v17
	v_dot4_i32_i8 v16, v25, v44, v16
	v_cvt_f32_i32_e32 v17, v17
	v_cvt_f32_i32_e32 v16, v16
	v_add_co_u32_e32 v4, vcc, 0x1200, v4
	v_addc_co_u32_e32 v5, vcc, 0, v5, vcc
	v_fma_mix_f32 v16, v16, v22, v41 op_sel_hi:[0,1,0]
	v_fmac_f32_e32 v6, v31, v16
	s_waitcnt vmcnt(0)
	v_dot4_i32_i8 v19, v24, v18, v23
	v_dot4_i32_i8 v15, v25, v18, v15
	v_cvt_f32_i32_e32 v18, v19
	v_cvt_f32_i32_e32 v15, v15
	v_fma_mix_f32 v18, v18, v14, v30 op_sel_hi:[0,1,0]
	v_fma_mix_f32 v14, v15, v14, v37 op_sel_hi:[0,1,0]
	;; [unrolled: 1-line block ×3, first 2 shown]
	v_fmac_f32_e32 v9, v36, v18
	v_fmac_f32_e32 v8, v31, v14
	v_fmac_f32_e32 v7, v36, v15
	s_andn2_b64 exec, exec, s[12:13]
	s_cbranch_execnz .LBB209_2
; %bb.3:
	s_or_b64 exec, exec, s[12:13]
.LBB209_4:
	s_or_b64 exec, exec, s[10:11]
	v_cmp_eq_u32_e32 vcc, 0, v1
	v_cmp_ne_u32_e64 s[0:1], 0, v1
	v_lshlrev_b32_e32 v2, 2, v0
	s_and_saveexec_b64 s[10:11], s[0:1]
	s_cbranch_execz .LBB209_6
; %bb.5:
	v_lshl_or_b32 v1, v1, 10, v2
	v_add_u32_e32 v1, 0xfffffc00, v1
	ds_write2st64_b32 v1, v9, v8 offset1:1
	ds_write2st64_b32 v1, v7, v6 offset0:2 offset1:3
.LBB209_6:
	s_or_b64 exec, exec, s[10:11]
	s_waitcnt lgkmcnt(0)
	s_barrier
	s_and_saveexec_b64 s[0:1], vcc
	s_cbranch_execz .LBB209_11
; %bb.7:
	v_mbcnt_lo_u32_b32 v1, -1, 0
	v_mbcnt_hi_u32_b32 v12, -1, v1
	ds_read2st64_b32 v[10:11], v2 offset1:1
	v_and_b32_e32 v1, 64, v12
	v_add_u32_e32 v13, 64, v1
	v_xor_b32_e32 v1, 32, v12
	v_cmp_lt_i32_e32 vcc, v1, v13
	v_cndmask_b32_e32 v1, v12, v1, vcc
	v_lshlrev_b32_e32 v1, 2, v1
	s_waitcnt lgkmcnt(0)
	v_add_f32_e32 v9, v10, v9
	v_add_f32_e32 v8, v11, v8
	ds_bpermute_b32 v10, v1, v9
	ds_bpermute_b32 v11, v1, v8
	v_xor_b32_e32 v3, 16, v12
	v_cmp_lt_i32_e32 vcc, v3, v13
	v_cndmask_b32_e32 v3, v12, v3, vcc
	v_lshlrev_b32_e32 v3, 2, v3
	s_waitcnt lgkmcnt(1)
	v_add_f32_e32 v9, v9, v10
	s_waitcnt lgkmcnt(0)
	v_add_f32_e32 v8, v8, v11
	ds_bpermute_b32 v10, v3, v9
	ds_bpermute_b32 v11, v3, v8
	v_xor_b32_e32 v4, 8, v12
	v_cmp_lt_i32_e32 vcc, v4, v13
	v_cndmask_b32_e32 v4, v12, v4, vcc
	v_lshlrev_b32_e32 v4, 2, v4
	s_waitcnt lgkmcnt(1)
	v_add_f32_e32 v9, v9, v10
	s_waitcnt lgkmcnt(0)
	;; [unrolled: 10-line block ×3, first 2 shown]
	v_add_f32_e32 v11, v11, v15
	ds_bpermute_b32 v10, v5, v9
	ds_bpermute_b32 v15, v5, v11
	v_xor_b32_e32 v14, 2, v12
	v_cmp_lt_i32_e32 vcc, v14, v13
	v_cndmask_b32_e32 v14, v12, v14, vcc
	v_lshlrev_b32_e32 v8, 2, v14
	v_xor_b32_e32 v14, 1, v12
	v_cmp_lt_i32_e32 vcc, v14, v13
	s_waitcnt lgkmcnt(1)
	v_add_f32_e32 v9, v9, v10
	s_waitcnt lgkmcnt(0)
	v_add_f32_e32 v13, v11, v15
	v_cndmask_b32_e32 v12, v12, v14, vcc
	ds_bpermute_b32 v10, v8, v9
	ds_bpermute_b32 v14, v8, v13
	s_load_dwordx2 s[0:1], s[4:5], 0x38
	s_mul_i32 s4, s14, s7
	v_lshlrev_b32_e32 v11, 2, v12
	s_waitcnt lgkmcnt(0)
	v_add_f32_e32 v9, v9, v10
	v_add_f32_e32 v12, v13, v14
	s_mul_i32 s3, s18, s8
	s_add_i32 s4, s4, s6
	ds_bpermute_b32 v10, v11, v9
	ds_bpermute_b32 v13, v11, v12
	s_add_i32 s4, s4, s3
	s_mov_b32 s5, 0
	s_lshl_b64 s[4:5], s[4:5], 2
	s_add_u32 s4, s0, s4
	v_add_u32_e32 v14, s6, v0
	s_addc_u32 s5, s1, s5
	v_cmp_gt_u32_e32 vcc, 2, v0
	v_cmp_gt_u32_e64 s[0:1], s2, v14
	s_and_b64 s[0:1], vcc, s[0:1]
	s_waitcnt lgkmcnt(1)
	v_add_f32_e32 v9, v9, v10
	s_waitcnt lgkmcnt(0)
	v_add_f32_e32 v10, v12, v13
	s_and_saveexec_b64 s[6:7], s[0:1]
	s_cbranch_execz .LBB209_9
; %bb.8:
	v_cmp_eq_u32_e32 vcc, 1, v0
	v_cndmask_b32_e32 v12, v9, v10, vcc
	v_cmp_eq_u32_e32 vcc, 2, v0
	v_cndmask_b32_e32 v12, v12, v7, vcc
	;; [unrolled: 2-line block ×3, first 2 shown]
	global_store_dword v2, v12, s[4:5]
.LBB209_9:
	s_or_b64 exec, exec, s[6:7]
	ds_read2st64_b32 v[12:13], v2 offset0:2 offset1:3
	s_waitcnt lgkmcnt(0)
	v_add_f32_e32 v2, v12, v7
	v_add_f32_e32 v6, v13, v6
	ds_bpermute_b32 v7, v1, v2
	ds_bpermute_b32 v1, v1, v6
	s_waitcnt lgkmcnt(1)
	v_add_f32_e32 v2, v2, v7
	s_waitcnt lgkmcnt(0)
	v_add_f32_e32 v1, v6, v1
	ds_bpermute_b32 v6, v3, v2
	ds_bpermute_b32 v3, v3, v1
	s_waitcnt lgkmcnt(1)
	v_add_f32_e32 v2, v2, v6
	s_waitcnt lgkmcnt(0)
	;; [unrolled: 6-line block ×5, first 2 shown]
	v_add_f32_e32 v2, v3, v4
	ds_bpermute_b32 v3, v11, v1
	ds_bpermute_b32 v4, v11, v2
	s_and_b64 exec, exec, s[0:1]
	s_cbranch_execz .LBB209_11
; %bb.10:
	s_waitcnt lgkmcnt(1)
	v_add_f32_e32 v1, v1, v3
	v_add_u32_e32 v3, 2, v0
	v_cmp_eq_u32_e32 vcc, 1, v3
	s_waitcnt lgkmcnt(0)
	v_add_f32_e32 v2, v2, v4
	v_cndmask_b32_e32 v4, v9, v10, vcc
	v_cmp_eq_u32_e32 vcc, 2, v3
	v_cndmask_b32_e32 v1, v4, v1, vcc
	v_cmp_eq_u32_e32 vcc, 3, v3
	v_cndmask_b32_e32 v2, v1, v2, vcc
	v_add_u32_e32 v0, s2, v0
	v_mov_b32_e32 v1, 0
	v_lshlrev_b64 v[0:1], 2, v[0:1]
	v_mov_b32_e32 v3, s5
	v_add_co_u32_e32 v0, vcc, s4, v0
	v_addc_co_u32_e32 v1, vcc, v3, v1, vcc
	global_store_dword v[0:1], v2, off
.LBB209_11:
	s_endpgm
	.section	.rodata,"a",@progbits
	.p2align	6, 0x0
	.amdhsa_kernel _ZL13mul_mat_vec_qIL9ggml_type19ELi2ELb0ELb0EEvPKvS2_PKi31ggml_cuda_mm_fusion_args_devicePfj15HIP_vector_typeIjLj3EEjjjS8_jjjS8_jjjj
		.amdhsa_group_segment_fixed_size 1024
		.amdhsa_private_segment_fixed_size 0
		.amdhsa_kernarg_size 144
		.amdhsa_user_sgpr_count 6
		.amdhsa_user_sgpr_private_segment_buffer 1
		.amdhsa_user_sgpr_dispatch_ptr 0
		.amdhsa_user_sgpr_queue_ptr 0
		.amdhsa_user_sgpr_kernarg_segment_ptr 1
		.amdhsa_user_sgpr_dispatch_id 0
		.amdhsa_user_sgpr_flat_scratch_init 0
		.amdhsa_user_sgpr_private_segment_size 0
		.amdhsa_uses_dynamic_stack 0
		.amdhsa_system_sgpr_private_segment_wavefront_offset 0
		.amdhsa_system_sgpr_workgroup_id_x 1
		.amdhsa_system_sgpr_workgroup_id_y 1
		.amdhsa_system_sgpr_workgroup_id_z 1
		.amdhsa_system_sgpr_workgroup_info 0
		.amdhsa_system_vgpr_workitem_id 1
		.amdhsa_next_free_vgpr 48
		.amdhsa_next_free_sgpr 26
		.amdhsa_reserve_vcc 1
		.amdhsa_reserve_flat_scratch 0
		.amdhsa_float_round_mode_32 0
		.amdhsa_float_round_mode_16_64 0
		.amdhsa_float_denorm_mode_32 3
		.amdhsa_float_denorm_mode_16_64 3
		.amdhsa_dx10_clamp 1
		.amdhsa_ieee_mode 1
		.amdhsa_fp16_overflow 0
		.amdhsa_exception_fp_ieee_invalid_op 0
		.amdhsa_exception_fp_denorm_src 0
		.amdhsa_exception_fp_ieee_div_zero 0
		.amdhsa_exception_fp_ieee_overflow 0
		.amdhsa_exception_fp_ieee_underflow 0
		.amdhsa_exception_fp_ieee_inexact 0
		.amdhsa_exception_int_div_zero 0
	.end_amdhsa_kernel
	.section	.text._ZL13mul_mat_vec_qIL9ggml_type19ELi2ELb0ELb0EEvPKvS2_PKi31ggml_cuda_mm_fusion_args_devicePfj15HIP_vector_typeIjLj3EEjjjS8_jjjS8_jjjj,"axG",@progbits,_ZL13mul_mat_vec_qIL9ggml_type19ELi2ELb0ELb0EEvPKvS2_PKi31ggml_cuda_mm_fusion_args_devicePfj15HIP_vector_typeIjLj3EEjjjS8_jjjS8_jjjj,comdat
.Lfunc_end209:
	.size	_ZL13mul_mat_vec_qIL9ggml_type19ELi2ELb0ELb0EEvPKvS2_PKi31ggml_cuda_mm_fusion_args_devicePfj15HIP_vector_typeIjLj3EEjjjS8_jjjS8_jjjj, .Lfunc_end209-_ZL13mul_mat_vec_qIL9ggml_type19ELi2ELb0ELb0EEvPKvS2_PKi31ggml_cuda_mm_fusion_args_devicePfj15HIP_vector_typeIjLj3EEjjjS8_jjjS8_jjjj
                                        ; -- End function
	.set _ZL13mul_mat_vec_qIL9ggml_type19ELi2ELb0ELb0EEvPKvS2_PKi31ggml_cuda_mm_fusion_args_devicePfj15HIP_vector_typeIjLj3EEjjjS8_jjjS8_jjjj.num_vgpr, 48
	.set _ZL13mul_mat_vec_qIL9ggml_type19ELi2ELb0ELb0EEvPKvS2_PKi31ggml_cuda_mm_fusion_args_devicePfj15HIP_vector_typeIjLj3EEjjjS8_jjjS8_jjjj.num_agpr, 0
	.set _ZL13mul_mat_vec_qIL9ggml_type19ELi2ELb0ELb0EEvPKvS2_PKi31ggml_cuda_mm_fusion_args_devicePfj15HIP_vector_typeIjLj3EEjjjS8_jjjS8_jjjj.numbered_sgpr, 26
	.set _ZL13mul_mat_vec_qIL9ggml_type19ELi2ELb0ELb0EEvPKvS2_PKi31ggml_cuda_mm_fusion_args_devicePfj15HIP_vector_typeIjLj3EEjjjS8_jjjS8_jjjj.num_named_barrier, 0
	.set _ZL13mul_mat_vec_qIL9ggml_type19ELi2ELb0ELb0EEvPKvS2_PKi31ggml_cuda_mm_fusion_args_devicePfj15HIP_vector_typeIjLj3EEjjjS8_jjjS8_jjjj.private_seg_size, 0
	.set _ZL13mul_mat_vec_qIL9ggml_type19ELi2ELb0ELb0EEvPKvS2_PKi31ggml_cuda_mm_fusion_args_devicePfj15HIP_vector_typeIjLj3EEjjjS8_jjjS8_jjjj.uses_vcc, 1
	.set _ZL13mul_mat_vec_qIL9ggml_type19ELi2ELb0ELb0EEvPKvS2_PKi31ggml_cuda_mm_fusion_args_devicePfj15HIP_vector_typeIjLj3EEjjjS8_jjjS8_jjjj.uses_flat_scratch, 0
	.set _ZL13mul_mat_vec_qIL9ggml_type19ELi2ELb0ELb0EEvPKvS2_PKi31ggml_cuda_mm_fusion_args_devicePfj15HIP_vector_typeIjLj3EEjjjS8_jjjS8_jjjj.has_dyn_sized_stack, 0
	.set _ZL13mul_mat_vec_qIL9ggml_type19ELi2ELb0ELb0EEvPKvS2_PKi31ggml_cuda_mm_fusion_args_devicePfj15HIP_vector_typeIjLj3EEjjjS8_jjjS8_jjjj.has_recursion, 0
	.set _ZL13mul_mat_vec_qIL9ggml_type19ELi2ELb0ELb0EEvPKvS2_PKi31ggml_cuda_mm_fusion_args_devicePfj15HIP_vector_typeIjLj3EEjjjS8_jjjS8_jjjj.has_indirect_call, 0
	.section	.AMDGPU.csdata,"",@progbits
; Kernel info:
; codeLenInByte = 2268
; TotalNumSgprs: 30
; NumVgprs: 48
; ScratchSize: 0
; MemoryBound: 0
; FloatMode: 240
; IeeeMode: 1
; LDSByteSize: 1024 bytes/workgroup (compile time only)
; SGPRBlocks: 3
; VGPRBlocks: 11
; NumSGPRsForWavesPerEU: 30
; NumVGPRsForWavesPerEU: 48
; Occupancy: 5
; WaveLimiterHint : 0
; COMPUTE_PGM_RSRC2:SCRATCH_EN: 0
; COMPUTE_PGM_RSRC2:USER_SGPR: 6
; COMPUTE_PGM_RSRC2:TRAP_HANDLER: 0
; COMPUTE_PGM_RSRC2:TGID_X_EN: 1
; COMPUTE_PGM_RSRC2:TGID_Y_EN: 1
; COMPUTE_PGM_RSRC2:TGID_Z_EN: 1
; COMPUTE_PGM_RSRC2:TIDIG_COMP_CNT: 1
	.section	.text._ZL13mul_mat_vec_qIL9ggml_type19ELi3ELb0ELb0EEvPKvS2_PKi31ggml_cuda_mm_fusion_args_devicePfj15HIP_vector_typeIjLj3EEjjjS8_jjjS8_jjjj,"axG",@progbits,_ZL13mul_mat_vec_qIL9ggml_type19ELi3ELb0ELb0EEvPKvS2_PKi31ggml_cuda_mm_fusion_args_devicePfj15HIP_vector_typeIjLj3EEjjjS8_jjjS8_jjjj,comdat
	.globl	_ZL13mul_mat_vec_qIL9ggml_type19ELi3ELb0ELb0EEvPKvS2_PKi31ggml_cuda_mm_fusion_args_devicePfj15HIP_vector_typeIjLj3EEjjjS8_jjjS8_jjjj ; -- Begin function _ZL13mul_mat_vec_qIL9ggml_type19ELi3ELb0ELb0EEvPKvS2_PKi31ggml_cuda_mm_fusion_args_devicePfj15HIP_vector_typeIjLj3EEjjjS8_jjjS8_jjjj
	.p2align	8
	.type	_ZL13mul_mat_vec_qIL9ggml_type19ELi3ELb0ELb0EEvPKvS2_PKi31ggml_cuda_mm_fusion_args_devicePfj15HIP_vector_typeIjLj3EEjjjS8_jjjS8_jjjj,@function
_ZL13mul_mat_vec_qIL9ggml_type19ELi3ELb0ELb0EEvPKvS2_PKi31ggml_cuda_mm_fusion_args_devicePfj15HIP_vector_typeIjLj3EEjjjS8_jjjS8_jjjj: ; @_ZL13mul_mat_vec_qIL9ggml_type19ELi3ELb0ELb0EEvPKvS2_PKi31ggml_cuda_mm_fusion_args_devicePfj15HIP_vector_typeIjLj3EEjjjS8_jjjS8_jjjj
; %bb.0:
	s_load_dword s9, s[4:5], 0x40
	s_load_dwordx4 s[0:3], s[4:5], 0x50
	s_load_dword s25, s[4:5], 0x60
	s_load_dwordx4 s[12:15], s[4:5], 0x68
	;; [unrolled: 2-line block ×3, first 2 shown]
	v_lshl_add_u32 v2, v1, 6, v0
	s_waitcnt lgkmcnt(0)
	s_lshr_b32 s9, s9, 8
	v_lshrrev_b32_e32 v12, 3, v2
	v_mov_b32_e32 v8, 0
	s_lshl_b32 s6, s6, 1
	v_cmp_gt_u32_e32 vcc, s9, v12
	v_mov_b32_e32 v9, v8
	v_mov_b32_e32 v10, v8
	;; [unrolled: 1-line block ×5, first 2 shown]
	s_and_saveexec_b64 s[10:11], vcc
	s_cbranch_execz .LBB210_4
; %bb.1:
	s_mul_hi_u32 s3, s3, s7
	s_add_i32 s3, s7, s3
	s_load_dwordx4 s[20:23], s[4:5], 0x0
	s_lshr_b32 s3, s3, s25
	s_mul_i32 s3, s3, s12
	s_mul_hi_u32 s12, s15, s8
	s_add_i32 s12, s8, s12
	s_lshr_b32 s12, s12, s24
	s_mul_i32 s19, s17, s8
	s_mul_i32 s15, s12, s16
	s_mul_i32 s16, s19, 36
	s_mul_hi_u32 s12, s19, 36
	s_waitcnt lgkmcnt(0)
	s_add_u32 s16, s22, s16
	s_addc_u32 s17, s23, s12
	s_mul_i32 s12, s13, s7
	s_mul_hi_u32 s13, s12, 36
	s_mul_i32 s12, s12, 36
	s_add_u32 s16, s16, s12
	s_addc_u32 s17, s17, s13
	v_and_b32_e32 v7, 7, v0
	v_mad_u64_u32 v[2:3], s[16:17], v7, 36, s[16:17]
	v_mov_b32_e32 v4, s12
	s_movk_i32 s17, 0x120
	v_mov_b32_e32 v5, s13
	v_mad_u64_u32 v[4:5], s[12:13], v12, s17, v[4:5]
	v_lshlrev_b32_e32 v9, 3, v12
	v_add_u32_e32 v13, s1, v9
	v_mad_u64_u32 v[4:5], s[12:13], s19, 36, v[4:5]
	v_lshl_add_u32 v14, s1, 1, v9
	v_mov_b32_e32 v9, s23
	v_mad_u64_u32 v[4:5], s[12:13], v7, 36, v[4:5]
	s_add_i32 s16, s6, 1
	s_add_i32 s15, s15, s3
	v_add_co_u32_e32 v4, vcc, s22, v4
	v_addc_co_u32_e32 v5, vcc, v9, v5, vcc
	v_lshlrev_b32_e32 v8, 1, v7
	v_mov_b32_e32 v6, 0
	s_mul_i32 s3, s6, s0
	s_mul_i32 s0, s0, s16
	v_add_co_u32_e32 v4, vcc, 32, v4
	s_add_i32 s3, s15, s3
	s_add_i32 s15, s15, s0
	v_addc_co_u32_e32 v5, vcc, 0, v5, vcc
	s_mov_b64 s[12:13], 0
	v_lshlrev_b32_e32 v15, 1, v8
	v_lshlrev_b32_e32 v16, 1, v7
	s_movk_i32 s16, 0x700
	v_mov_b32_e32 v7, v6
	v_mov_b32_e32 v8, v6
	;; [unrolled: 1-line block ×5, first 2 shown]
.LBB210_2:                              ; =>This Inner Loop Header: Depth=1
	v_add_u32_e32 v25, s3, v12
	v_mad_u64_u32 v[37:38], s[22:23], v13, 36, v[2:3]
	v_mad_i64_i32 v[41:42], s[22:23], v25, 50, s[20:21]
	v_mad_u64_u32 v[39:40], s[22:23], v14, 36, v[2:3]
	v_add_u32_e32 v26, s15, v12
	global_load_dwordx4 v[17:20], v[4:5], off offset:-32
	global_load_dwordx4 v[21:24], v[4:5], off offset:-16
	v_mad_i64_i32 v[43:44], s[22:23], v26, 50, s[20:21]
	global_load_dwordx4 v[25:28], v[37:38], off
	global_load_dwordx4 v[29:32], v[37:38], off offset:16
	global_load_dwordx4 v[33:36], v[39:40], off
	global_load_dword v53, v[37:38], off offset:32
	global_load_dword v54, v[39:40], off offset:32
	v_add_co_u32_e32 v37, vcc, v41, v15
	v_addc_co_u32_e32 v38, vcc, 0, v42, vcc
	v_add_co_u32_e32 v45, vcc, v41, v16
	v_addc_co_u32_e32 v46, vcc, 0, v42, vcc
	;; [unrolled: 2-line block ×4, first 2 shown]
	global_load_dword v55, v[37:38], off offset:2
	global_load_ushort v56, v[45:46], off offset:34
	global_load_dword v57, v[47:48], off offset:2
	global_load_ushort v58, v[49:50], off offset:34
	global_load_ushort v59, v[43:44], off
	global_load_ushort v60, v[41:42], off
	s_getpc_b64 s[0:1]
	s_add_u32 s0, s0, _ZL13iq1s_grid_gpu@rel32@lo+4
	s_addc_u32 s1, s1, _ZL13iq1s_grid_gpu@rel32@hi+12
	v_mov_b32_e32 v51, 0xbf600000
	v_mov_b32_e32 v52, 0xbf600000
	v_add_u32_e32 v12, 16, v12
	v_add_u32_e32 v13, 0x80, v13
	;; [unrolled: 1-line block ×3, first 2 shown]
	s_waitcnt vmcnt(12)
	v_cvt_f32_f16_sdwa v37, v17 dst_sel:DWORD dst_unused:UNUSED_PAD src0_sel:WORD_1
	s_waitcnt vmcnt(10)
	v_cvt_f32_f16_sdwa v38, v25 dst_sel:DWORD dst_unused:UNUSED_PAD src0_sel:WORD_1
	;; [unrolled: 2-line block ×3, first 2 shown]
	s_waitcnt vmcnt(5)
	v_and_b32_e32 v42, 0xff, v55
	s_waitcnt vmcnt(4)
	v_lshlrev_b32_e32 v43, 8, v56
	v_bfe_u32 v44, v55, 8, 8
	v_lshlrev_b32_e32 v45, 5, v56
	v_bfe_u32 v46, v55, 16, 8
	v_lshlrev_b32_e32 v47, 2, v56
	v_lshrrev_b32_e32 v48, 24, v55
	v_lshrrev_b32_e32 v49, 1, v56
	s_waitcnt vmcnt(3)
	v_and_b32_e32 v50, 0xff, v57
	s_waitcnt vmcnt(2)
	v_lshlrev_b32_e32 v55, 8, v58
	v_bfe_u32 v61, v57, 8, 8
	v_and_or_b32 v42, v43, s16, v42
	v_lshlrev_b32_e32 v43, 5, v58
	v_and_or_b32 v44, v45, s16, v44
	v_bfe_u32 v45, v57, 16, 8
	v_and_or_b32 v46, v47, s16, v46
	v_lshlrev_b32_e32 v47, 2, v58
	v_lshrrev_b32_e32 v57, 24, v57
	v_and_or_b32 v48, v49, s16, v48
	v_lshrrev_b32_e32 v49, 1, v58
	v_and_or_b32 v50, v55, s16, v50
	v_and_or_b32 v43, v43, s16, v61
	v_and_b32_e32 v55, 0x8000, v56
	v_and_b32_e32 v61, 0x8000, v58
	v_lshrrev_b32_e32 v58, 11, v58
	v_and_or_b32 v45, v47, s16, v45
	v_and_or_b32 v47, v49, s16, v57
	v_lshlrev_b32_e32 v42, 2, v42
	v_lshlrev_b32_e32 v44, 2, v44
	;; [unrolled: 1-line block ×4, first 2 shown]
	v_cvt_f32_u32_e32 v49, v55
	v_cvt_f32_u32_e32 v55, v61
	v_and_or_b32 v57, v58, 14, 1
	v_lshlrev_b32_e32 v46, 2, v46
	v_lshlrev_b32_e32 v48, 2, v48
	;; [unrolled: 1-line block ×4, first 2 shown]
	global_load_dword v58, v42, s[0:1]
	global_load_dword v61, v50, s[0:1]
	;; [unrolled: 1-line block ×4, first 2 shown]
                                        ; kill: killed $vgpr50
                                        ; kill: killed $vgpr42
                                        ; kill: killed $vgpr43
                                        ; kill: killed $vgpr44
	s_nop 0
	global_load_dword v42, v46, s[0:1]
	global_load_dword v43, v48, s[0:1]
	;; [unrolled: 1-line block ×4, first 2 shown]
	s_waitcnt vmcnt(8)
	v_cvt_f32_f16_e32 v60, v60
	v_lshrrev_b32_e32 v56, 11, v56
	v_cvt_f32_f16_e32 v59, v59
	v_and_or_b32 v56, v56, 14, 1
	v_cvt_f32_ubyte0_e32 v56, v56
	v_fmac_f32_e32 v51, 0xb7000000, v49
	v_fmac_f32_e32 v52, 0xb7000000, v55
	v_cvt_f32_ubyte0_e32 v57, v57
	v_mul_f32_e32 v45, v56, v60
	v_mul_f32_e32 v47, v51, v37
	;; [unrolled: 1-line block ×8, first 2 shown]
	v_cmp_le_u32_e64 s[0:1], s9, v12
	s_or_b64 s[12:13], s[0:1], s[12:13]
	s_waitcnt vmcnt(7)
	v_and_b32_e32 v37, 0xf0f0f0f, v58
	v_lshrrev_b32_e32 v52, 4, v58
	s_waitcnt vmcnt(6)
	v_and_b32_e32 v55, 0xf0f0f0f, v61
	v_lshrrev_b32_e32 v56, 4, v61
	v_and_b32_e32 v52, 0xf0f0f0f, v52
	v_and_b32_e32 v56, 0xf0f0f0f, v56
	v_dot4_i32_i8 v57, v37, v18, 0
	v_dot4_i32_i8 v18, v55, v18, 0
	;; [unrolled: 1-line block ×12, first 2 shown]
	s_waitcnt vmcnt(5)
	v_and_b32_e32 v27, 0xf0f0f0f, v62
	v_lshrrev_b32_e32 v34, 4, v62
	v_dot4_i32_i8 v35, v27, v20, v57
	v_dot4_i32_i8 v52, v27, v28, v58
	;; [unrolled: 1-line block ×3, first 2 shown]
	s_waitcnt vmcnt(4)
	v_and_b32_e32 v37, 0xf0f0f0f, v63
	v_and_b32_e32 v55, 0xf0f0f0f, v34
	v_dot4_i32_i8 v18, v37, v20, v18
	v_dot4_i32_i8 v19, v37, v28, v19
	;; [unrolled: 1-line block ×4, first 2 shown]
	global_load_dwordx4 v[34:37], v[39:40], off offset:16
	v_lshrrev_b32_e32 v39, 4, v63
	v_and_b32_e32 v39, 0xf0f0f0f, v39
	v_dot4_i32_i8 v28, v55, v29, v52
	v_dot4_i32_i8 v18, v39, v21, v18
	s_waitcnt vmcnt(4)
	v_and_b32_e32 v21, 0xf0f0f0f, v42
	v_dot4_i32_i8 v26, v21, v22, v26
	v_dot4_i32_i8 v28, v21, v30, v28
	;; [unrolled: 1-line block ×3, first 2 shown]
	s_waitcnt vmcnt(2)
	v_lshrrev_b32_e32 v29, 4, v44
	v_and_b32_e32 v29, 0xf0f0f0f, v29
	s_waitcnt vmcnt(0)
	v_dot4_i32_i8 v27, v55, v34, v27
	v_dot4_i32_i8 v21, v21, v35, v27
	v_and_b32_e32 v27, 0xf0f0f0f, v44
	v_dot4_i32_i8 v18, v27, v22, v18
	global_load_dword v22, v[4:5], off
	v_dot4_i32_i8 v20, v39, v34, v20
	v_dot4_i32_i8 v19, v27, v30, v19
	;; [unrolled: 1-line block ×3, first 2 shown]
	v_lshrrev_b32_e32 v27, 4, v42
	v_and_b32_e32 v27, 0xf0f0f0f, v27
	v_dot4_i32_i8 v26, v27, v23, v26
	v_dot4_i32_i8 v28, v27, v31, v28
	;; [unrolled: 1-line block ×3, first 2 shown]
	v_and_b32_e32 v27, 0xf0f0f0f, v43
	v_dot4_i32_i8 v18, v29, v23, v18
	v_dot4_i32_i8 v19, v29, v31, v19
	;; [unrolled: 1-line block ×3, first 2 shown]
	v_and_b32_e32 v23, 0xf0f0f0f, v50
	v_lshrrev_b32_e32 v29, 4, v43
	v_lshrrev_b32_e32 v30, 4, v50
	v_and_b32_e32 v29, 0xf0f0f0f, v29
	v_and_b32_e32 v30, 0xf0f0f0f, v30
	v_dot4_i32_i8 v26, v27, v24, v26
	v_dot4_i32_i8 v18, v23, v24, v18
	;; [unrolled: 1-line block ×9, first 2 shown]
	v_cvt_f32_i32_e32 v19, v19
	v_cvt_f32_i32_e32 v21, v21
	;; [unrolled: 1-line block ×3, first 2 shown]
	v_add_co_u32_e32 v4, vcc, 0x1200, v4
	v_fma_mix_f32 v19, v19, v25, v38 op_sel_hi:[0,1,0]
	v_fma_mix_f32 v21, v21, v33, v51 op_sel_hi:[0,1,0]
	;; [unrolled: 1-line block ×3, first 2 shown]
	v_addc_co_u32_e32 v5, vcc, 0, v5, vcc
	v_fmac_f32_e32 v8, v46, v19
	v_fmac_f32_e32 v7, v45, v21
	;; [unrolled: 1-line block ×3, first 2 shown]
	s_waitcnt vmcnt(0)
	v_dot4_i32_i8 v23, v29, v22, v26
	v_dot4_i32_i8 v18, v30, v22, v18
	;; [unrolled: 1-line block ×3, first 2 shown]
	v_cvt_f32_i32_e32 v23, v23
	v_cvt_f32_i32_e32 v18, v18
	;; [unrolled: 1-line block ×3, first 2 shown]
	v_fma_mix_f32 v23, v23, v17, v47 op_sel_hi:[0,1,0]
	v_fma_mix_f32 v17, v18, v17, v48 op_sel_hi:[0,1,0]
	;; [unrolled: 1-line block ×3, first 2 shown]
	v_fmac_f32_e32 v11, v45, v23
	v_fmac_f32_e32 v10, v46, v17
	;; [unrolled: 1-line block ×3, first 2 shown]
	s_andn2_b64 exec, exec, s[12:13]
	s_cbranch_execnz .LBB210_2
; %bb.3:
	s_or_b64 exec, exec, s[12:13]
.LBB210_4:
	s_or_b64 exec, exec, s[10:11]
	v_cmp_eq_u32_e32 vcc, 0, v1
	v_cmp_ne_u32_e64 s[0:1], 0, v1
	s_and_saveexec_b64 s[10:11], s[0:1]
	s_cbranch_execz .LBB210_6
; %bb.5:
	v_mul_u32_u24_e32 v1, 0x600, v1
	v_lshl_or_b32 v1, v0, 2, v1
	v_add_u32_e32 v1, 0xfffffa00, v1
	ds_write2st64_b32 v1, v11, v10 offset1:1
	ds_write2st64_b32 v1, v9, v8 offset0:2 offset1:3
	ds_write2st64_b32 v1, v7, v6 offset0:4 offset1:5
.LBB210_6:
	s_or_b64 exec, exec, s[10:11]
	s_waitcnt lgkmcnt(0)
	s_barrier
	s_and_saveexec_b64 s[0:1], vcc
	s_cbranch_execz .LBB210_13
; %bb.7:
	v_lshlrev_b32_e32 v3, 2, v0
	v_mbcnt_lo_u32_b32 v1, -1, 0
	v_mbcnt_hi_u32_b32 v14, -1, v1
	ds_read2st64_b32 v[12:13], v3 offset1:1
	v_and_b32_e32 v1, 64, v14
	v_add_u32_e32 v15, 64, v1
	v_xor_b32_e32 v1, 32, v14
	v_cmp_lt_i32_e32 vcc, v1, v15
	v_cndmask_b32_e32 v1, v14, v1, vcc
	v_lshlrev_b32_e32 v1, 2, v1
	s_waitcnt lgkmcnt(0)
	v_add_f32_e32 v11, v12, v11
	v_add_f32_e32 v10, v13, v10
	ds_bpermute_b32 v12, v1, v11
	ds_bpermute_b32 v13, v1, v10
	v_xor_b32_e32 v2, 16, v14
	v_cmp_lt_i32_e32 vcc, v2, v15
	v_cndmask_b32_e32 v2, v14, v2, vcc
	v_lshlrev_b32_e32 v2, 2, v2
	s_waitcnt lgkmcnt(1)
	v_add_f32_e32 v11, v11, v12
	s_waitcnt lgkmcnt(0)
	v_add_f32_e32 v10, v10, v13
	ds_bpermute_b32 v12, v2, v11
	ds_bpermute_b32 v13, v2, v10
	v_xor_b32_e32 v4, 8, v14
	v_cmp_lt_i32_e32 vcc, v4, v15
	v_cndmask_b32_e32 v4, v14, v4, vcc
	v_lshlrev_b32_e32 v4, 2, v4
	s_waitcnt lgkmcnt(1)
	v_add_f32_e32 v11, v11, v12
	s_waitcnt lgkmcnt(0)
	;; [unrolled: 10-line block ×3, first 2 shown]
	v_add_f32_e32 v13, v13, v17
	ds_bpermute_b32 v12, v5, v11
	ds_bpermute_b32 v17, v5, v13
	v_xor_b32_e32 v16, 2, v14
	v_cmp_lt_i32_e32 vcc, v16, v15
	v_cndmask_b32_e32 v16, v14, v16, vcc
	v_lshlrev_b32_e32 v10, 2, v16
	v_xor_b32_e32 v16, 1, v14
	v_cmp_lt_i32_e32 vcc, v16, v15
	s_waitcnt lgkmcnt(1)
	v_add_f32_e32 v11, v11, v12
	s_waitcnt lgkmcnt(0)
	v_add_f32_e32 v15, v13, v17
	v_cndmask_b32_e32 v14, v14, v16, vcc
	ds_bpermute_b32 v12, v10, v11
	ds_bpermute_b32 v16, v10, v15
	s_load_dwordx2 s[0:1], s[4:5], 0x38
	s_mul_i32 s4, s14, s7
	v_lshlrev_b32_e32 v13, 2, v14
	s_waitcnt lgkmcnt(0)
	v_add_f32_e32 v11, v11, v12
	v_add_f32_e32 v14, v15, v16
	s_mul_i32 s3, s18, s8
	s_add_i32 s4, s4, s6
	ds_bpermute_b32 v12, v13, v11
	ds_bpermute_b32 v15, v13, v14
	s_add_i32 s4, s4, s3
	s_mov_b32 s5, 0
	s_lshl_b64 s[4:5], s[4:5], 2
	s_add_u32 s4, s0, s4
	v_add_u32_e32 v16, s6, v0
	s_addc_u32 s5, s1, s5
	v_cmp_gt_u32_e32 vcc, 2, v0
	v_cmp_gt_u32_e64 s[0:1], s2, v16
	s_and_b64 s[0:1], vcc, s[0:1]
	s_waitcnt lgkmcnt(1)
	v_add_f32_e32 v11, v11, v12
	s_waitcnt lgkmcnt(0)
	v_add_f32_e32 v12, v14, v15
	s_and_saveexec_b64 s[6:7], s[0:1]
	s_cbranch_execz .LBB210_9
; %bb.8:
	v_cmp_eq_u32_e32 vcc, 1, v0
	v_cndmask_b32_e32 v14, v11, v12, vcc
	v_cmp_eq_u32_e32 vcc, 2, v0
	v_cndmask_b32_e32 v14, v14, v9, vcc
	;; [unrolled: 2-line block ×5, first 2 shown]
	global_store_dword v3, v14, s[4:5]
.LBB210_9:
	s_or_b64 exec, exec, s[6:7]
	ds_read2st64_b32 v[14:15], v3 offset0:2 offset1:3
	s_waitcnt lgkmcnt(0)
	v_add_f32_e32 v9, v14, v9
	v_add_f32_e32 v8, v15, v8
	ds_bpermute_b32 v14, v1, v9
	ds_bpermute_b32 v15, v1, v8
	s_waitcnt lgkmcnt(1)
	v_add_f32_e32 v9, v9, v14
	s_waitcnt lgkmcnt(0)
	v_add_f32_e32 v8, v8, v15
	ds_bpermute_b32 v14, v2, v9
	ds_bpermute_b32 v15, v2, v8
	s_waitcnt lgkmcnt(1)
	v_add_f32_e32 v9, v9, v14
	s_waitcnt lgkmcnt(0)
	;; [unrolled: 6-line block ×6, first 2 shown]
	v_add_f32_e32 v8, v8, v15
	s_and_saveexec_b64 s[6:7], s[0:1]
	s_cbranch_execz .LBB210_11
; %bb.10:
	v_add_u32_e32 v14, 2, v0
	v_cmp_eq_u32_e32 vcc, 1, v14
	v_cndmask_b32_e32 v15, v11, v12, vcc
	v_cmp_eq_u32_e32 vcc, 2, v14
	v_cndmask_b32_e32 v15, v15, v9, vcc
	;; [unrolled: 2-line block ×5, first 2 shown]
	v_add_u32_e32 v14, s2, v0
	v_mov_b32_e32 v15, 0
	v_lshlrev_b64 v[14:15], 2, v[14:15]
	v_mov_b32_e32 v17, s5
	v_add_co_u32_e32 v14, vcc, s4, v14
	v_addc_co_u32_e32 v15, vcc, v17, v15, vcc
	global_store_dword v[14:15], v16, off
.LBB210_11:
	s_or_b64 exec, exec, s[6:7]
	ds_read2st64_b32 v[14:15], v3 offset0:4 offset1:5
	s_waitcnt lgkmcnt(0)
	v_add_f32_e32 v3, v14, v7
	v_add_f32_e32 v6, v15, v6
	ds_bpermute_b32 v7, v1, v3
	ds_bpermute_b32 v1, v1, v6
	s_waitcnt lgkmcnt(1)
	v_add_f32_e32 v3, v3, v7
	s_waitcnt lgkmcnt(0)
	v_add_f32_e32 v1, v6, v1
	ds_bpermute_b32 v6, v2, v3
	ds_bpermute_b32 v2, v2, v1
	s_waitcnt lgkmcnt(1)
	v_add_f32_e32 v3, v3, v6
	s_waitcnt lgkmcnt(0)
	;; [unrolled: 6-line block ×5, first 2 shown]
	v_add_f32_e32 v2, v3, v4
	ds_bpermute_b32 v3, v13, v1
	ds_bpermute_b32 v4, v13, v2
	s_and_b64 exec, exec, s[0:1]
	s_cbranch_execz .LBB210_13
; %bb.12:
	s_waitcnt lgkmcnt(1)
	v_add_f32_e32 v1, v1, v3
	v_add_u32_e32 v3, 4, v0
	v_cmp_eq_u32_e32 vcc, 1, v3
	s_waitcnt lgkmcnt(0)
	v_add_f32_e32 v2, v2, v4
	v_cndmask_b32_e32 v4, v11, v12, vcc
	v_cmp_eq_u32_e32 vcc, 2, v3
	v_cndmask_b32_e32 v4, v4, v9, vcc
	v_cmp_eq_u32_e32 vcc, 3, v3
	;; [unrolled: 2-line block ×4, first 2 shown]
	v_cndmask_b32_e32 v2, v1, v2, vcc
	v_lshl_or_b32 v0, s2, 1, v0
	v_mov_b32_e32 v1, 0
	v_lshlrev_b64 v[0:1], 2, v[0:1]
	v_mov_b32_e32 v3, s5
	v_add_co_u32_e32 v0, vcc, s4, v0
	v_addc_co_u32_e32 v1, vcc, v3, v1, vcc
	global_store_dword v[0:1], v2, off
.LBB210_13:
	s_endpgm
	.section	.rodata,"a",@progbits
	.p2align	6, 0x0
	.amdhsa_kernel _ZL13mul_mat_vec_qIL9ggml_type19ELi3ELb0ELb0EEvPKvS2_PKi31ggml_cuda_mm_fusion_args_devicePfj15HIP_vector_typeIjLj3EEjjjS8_jjjS8_jjjj
		.amdhsa_group_segment_fixed_size 1536
		.amdhsa_private_segment_fixed_size 0
		.amdhsa_kernarg_size 144
		.amdhsa_user_sgpr_count 6
		.amdhsa_user_sgpr_private_segment_buffer 1
		.amdhsa_user_sgpr_dispatch_ptr 0
		.amdhsa_user_sgpr_queue_ptr 0
		.amdhsa_user_sgpr_kernarg_segment_ptr 1
		.amdhsa_user_sgpr_dispatch_id 0
		.amdhsa_user_sgpr_flat_scratch_init 0
		.amdhsa_user_sgpr_private_segment_size 0
		.amdhsa_uses_dynamic_stack 0
		.amdhsa_system_sgpr_private_segment_wavefront_offset 0
		.amdhsa_system_sgpr_workgroup_id_x 1
		.amdhsa_system_sgpr_workgroup_id_y 1
		.amdhsa_system_sgpr_workgroup_id_z 1
		.amdhsa_system_sgpr_workgroup_info 0
		.amdhsa_system_vgpr_workitem_id 1
		.amdhsa_next_free_vgpr 64
		.amdhsa_next_free_sgpr 26
		.amdhsa_reserve_vcc 1
		.amdhsa_reserve_flat_scratch 0
		.amdhsa_float_round_mode_32 0
		.amdhsa_float_round_mode_16_64 0
		.amdhsa_float_denorm_mode_32 3
		.amdhsa_float_denorm_mode_16_64 3
		.amdhsa_dx10_clamp 1
		.amdhsa_ieee_mode 1
		.amdhsa_fp16_overflow 0
		.amdhsa_exception_fp_ieee_invalid_op 0
		.amdhsa_exception_fp_denorm_src 0
		.amdhsa_exception_fp_ieee_div_zero 0
		.amdhsa_exception_fp_ieee_overflow 0
		.amdhsa_exception_fp_ieee_underflow 0
		.amdhsa_exception_fp_ieee_inexact 0
		.amdhsa_exception_int_div_zero 0
	.end_amdhsa_kernel
	.section	.text._ZL13mul_mat_vec_qIL9ggml_type19ELi3ELb0ELb0EEvPKvS2_PKi31ggml_cuda_mm_fusion_args_devicePfj15HIP_vector_typeIjLj3EEjjjS8_jjjS8_jjjj,"axG",@progbits,_ZL13mul_mat_vec_qIL9ggml_type19ELi3ELb0ELb0EEvPKvS2_PKi31ggml_cuda_mm_fusion_args_devicePfj15HIP_vector_typeIjLj3EEjjjS8_jjjS8_jjjj,comdat
.Lfunc_end210:
	.size	_ZL13mul_mat_vec_qIL9ggml_type19ELi3ELb0ELb0EEvPKvS2_PKi31ggml_cuda_mm_fusion_args_devicePfj15HIP_vector_typeIjLj3EEjjjS8_jjjS8_jjjj, .Lfunc_end210-_ZL13mul_mat_vec_qIL9ggml_type19ELi3ELb0ELb0EEvPKvS2_PKi31ggml_cuda_mm_fusion_args_devicePfj15HIP_vector_typeIjLj3EEjjjS8_jjjS8_jjjj
                                        ; -- End function
	.set _ZL13mul_mat_vec_qIL9ggml_type19ELi3ELb0ELb0EEvPKvS2_PKi31ggml_cuda_mm_fusion_args_devicePfj15HIP_vector_typeIjLj3EEjjjS8_jjjS8_jjjj.num_vgpr, 64
	.set _ZL13mul_mat_vec_qIL9ggml_type19ELi3ELb0ELb0EEvPKvS2_PKi31ggml_cuda_mm_fusion_args_devicePfj15HIP_vector_typeIjLj3EEjjjS8_jjjS8_jjjj.num_agpr, 0
	.set _ZL13mul_mat_vec_qIL9ggml_type19ELi3ELb0ELb0EEvPKvS2_PKi31ggml_cuda_mm_fusion_args_devicePfj15HIP_vector_typeIjLj3EEjjjS8_jjjS8_jjjj.numbered_sgpr, 26
	.set _ZL13mul_mat_vec_qIL9ggml_type19ELi3ELb0ELb0EEvPKvS2_PKi31ggml_cuda_mm_fusion_args_devicePfj15HIP_vector_typeIjLj3EEjjjS8_jjjS8_jjjj.num_named_barrier, 0
	.set _ZL13mul_mat_vec_qIL9ggml_type19ELi3ELb0ELb0EEvPKvS2_PKi31ggml_cuda_mm_fusion_args_devicePfj15HIP_vector_typeIjLj3EEjjjS8_jjjS8_jjjj.private_seg_size, 0
	.set _ZL13mul_mat_vec_qIL9ggml_type19ELi3ELb0ELb0EEvPKvS2_PKi31ggml_cuda_mm_fusion_args_devicePfj15HIP_vector_typeIjLj3EEjjjS8_jjjS8_jjjj.uses_vcc, 1
	.set _ZL13mul_mat_vec_qIL9ggml_type19ELi3ELb0ELb0EEvPKvS2_PKi31ggml_cuda_mm_fusion_args_devicePfj15HIP_vector_typeIjLj3EEjjjS8_jjjS8_jjjj.uses_flat_scratch, 0
	.set _ZL13mul_mat_vec_qIL9ggml_type19ELi3ELb0ELb0EEvPKvS2_PKi31ggml_cuda_mm_fusion_args_devicePfj15HIP_vector_typeIjLj3EEjjjS8_jjjS8_jjjj.has_dyn_sized_stack, 0
	.set _ZL13mul_mat_vec_qIL9ggml_type19ELi3ELb0ELb0EEvPKvS2_PKi31ggml_cuda_mm_fusion_args_devicePfj15HIP_vector_typeIjLj3EEjjjS8_jjjS8_jjjj.has_recursion, 0
	.set _ZL13mul_mat_vec_qIL9ggml_type19ELi3ELb0ELb0EEvPKvS2_PKi31ggml_cuda_mm_fusion_args_devicePfj15HIP_vector_typeIjLj3EEjjjS8_jjjS8_jjjj.has_indirect_call, 0
	.section	.AMDGPU.csdata,"",@progbits
; Kernel info:
; codeLenInByte = 2876
; TotalNumSgprs: 30
; NumVgprs: 64
; ScratchSize: 0
; MemoryBound: 0
; FloatMode: 240
; IeeeMode: 1
; LDSByteSize: 1536 bytes/workgroup (compile time only)
; SGPRBlocks: 3
; VGPRBlocks: 15
; NumSGPRsForWavesPerEU: 30
; NumVGPRsForWavesPerEU: 64
; Occupancy: 4
; WaveLimiterHint : 0
; COMPUTE_PGM_RSRC2:SCRATCH_EN: 0
; COMPUTE_PGM_RSRC2:USER_SGPR: 6
; COMPUTE_PGM_RSRC2:TRAP_HANDLER: 0
; COMPUTE_PGM_RSRC2:TGID_X_EN: 1
; COMPUTE_PGM_RSRC2:TGID_Y_EN: 1
; COMPUTE_PGM_RSRC2:TGID_Z_EN: 1
; COMPUTE_PGM_RSRC2:TIDIG_COMP_CNT: 1
	.section	.text._ZL13mul_mat_vec_qIL9ggml_type19ELi4ELb0ELb0EEvPKvS2_PKi31ggml_cuda_mm_fusion_args_devicePfj15HIP_vector_typeIjLj3EEjjjS8_jjjS8_jjjj,"axG",@progbits,_ZL13mul_mat_vec_qIL9ggml_type19ELi4ELb0ELb0EEvPKvS2_PKi31ggml_cuda_mm_fusion_args_devicePfj15HIP_vector_typeIjLj3EEjjjS8_jjjS8_jjjj,comdat
	.globl	_ZL13mul_mat_vec_qIL9ggml_type19ELi4ELb0ELb0EEvPKvS2_PKi31ggml_cuda_mm_fusion_args_devicePfj15HIP_vector_typeIjLj3EEjjjS8_jjjS8_jjjj ; -- Begin function _ZL13mul_mat_vec_qIL9ggml_type19ELi4ELb0ELb0EEvPKvS2_PKi31ggml_cuda_mm_fusion_args_devicePfj15HIP_vector_typeIjLj3EEjjjS8_jjjS8_jjjj
	.p2align	8
	.type	_ZL13mul_mat_vec_qIL9ggml_type19ELi4ELb0ELb0EEvPKvS2_PKi31ggml_cuda_mm_fusion_args_devicePfj15HIP_vector_typeIjLj3EEjjjS8_jjjS8_jjjj,@function
_ZL13mul_mat_vec_qIL9ggml_type19ELi4ELb0ELb0EEvPKvS2_PKi31ggml_cuda_mm_fusion_args_devicePfj15HIP_vector_typeIjLj3EEjjjS8_jjjS8_jjjj: ; @_ZL13mul_mat_vec_qIL9ggml_type19ELi4ELb0ELb0EEvPKvS2_PKi31ggml_cuda_mm_fusion_args_devicePfj15HIP_vector_typeIjLj3EEjjjS8_jjjS8_jjjj
; %bb.0:
	s_load_dword s9, s[4:5], 0x40
	s_load_dwordx4 s[0:3], s[4:5], 0x50
	s_load_dword s25, s[4:5], 0x60
	s_load_dwordx4 s[12:15], s[4:5], 0x68
	;; [unrolled: 2-line block ×3, first 2 shown]
	v_lshl_add_u32 v2, v1, 6, v0
	s_waitcnt lgkmcnt(0)
	s_lshr_b32 s9, s9, 8
	v_lshrrev_b32_e32 v15, 3, v2
	v_mov_b32_e32 v9, 0
	s_lshl_b32 s6, s6, 1
	v_cmp_gt_u32_e32 vcc, s9, v15
	v_mov_b32_e32 v10, v9
	v_mov_b32_e32 v11, v9
	;; [unrolled: 1-line block ×7, first 2 shown]
	s_and_saveexec_b64 s[10:11], vcc
	s_cbranch_execz .LBB211_4
; %bb.1:
	s_mul_hi_u32 s3, s3, s7
	s_add_i32 s3, s7, s3
	s_load_dwordx4 s[20:23], s[4:5], 0x0
	s_lshr_b32 s3, s3, s25
	s_mul_i32 s3, s3, s12
	s_mul_hi_u32 s12, s15, s8
	s_add_i32 s12, s8, s12
	s_lshr_b32 s12, s12, s24
	s_mul_i32 s19, s17, s8
	s_mul_i32 s15, s12, s16
	;; [unrolled: 1-line block ×3, first 2 shown]
	s_mul_hi_u32 s12, s19, 36
	s_waitcnt lgkmcnt(0)
	s_add_u32 s16, s22, s16
	s_addc_u32 s17, s23, s12
	s_mul_i32 s12, s13, s7
	s_mul_hi_u32 s13, s12, 36
	s_mul_i32 s12, s12, 36
	s_add_u32 s16, s16, s12
	s_addc_u32 s17, s17, s13
	v_and_b32_e32 v10, 7, v0
	v_mad_u64_u32 v[2:3], s[16:17], v10, 36, s[16:17]
	s_add_i32 s16, s6, 1
	s_add_i32 s15, s15, s3
	s_mul_i32 s3, s6, s0
	s_mul_i32 s0, s0, s16
	v_mov_b32_e32 v4, s12
	s_add_i32 s3, s15, s3
	s_add_i32 s15, s15, s0
	s_movk_i32 s0, 0x120
	v_mov_b32_e32 v5, s13
	v_mad_u64_u32 v[4:5], s[12:13], v15, s0, v[4:5]
	v_mov_b32_e32 v7, 0
	v_lshlrev_b32_e32 v6, 3, v15
	v_mad_u64_u32 v[8:9], s[12:13], s19, 36, v[4:5]
	v_mad_u64_u32 v[4:5], s[12:13], s1, 3, v[6:7]
	;; [unrolled: 1-line block ×3, first 2 shown]
	v_add_u32_e32 v16, s1, v6
	v_lshl_add_u32 v17, s1, 1, v6
	v_mov_b32_e32 v5, s23
	v_add_co_u32_e32 v6, vcc, s22, v8
	v_addc_co_u32_e32 v8, vcc, v5, v9, vcc
	v_lshlrev_b32_e32 v11, 1, v10
	v_add_co_u32_e32 v5, vcc, 16, v6
	v_addc_co_u32_e32 v6, vcc, 0, v8, vcc
	s_mov_b64 s[12:13], 0
	v_lshlrev_b32_e32 v18, 1, v11
	v_lshlrev_b32_e32 v19, 1, v10
	s_movk_i32 s16, 0x700
	v_mov_b32_e32 v8, v7
	v_mov_b32_e32 v9, v7
	;; [unrolled: 1-line block ×7, first 2 shown]
.LBB211_2:                              ; =>This Inner Loop Header: Depth=1
	v_add_u32_e32 v28, s3, v15
	v_mad_i64_i32 v[36:37], s[22:23], v28, 50, s[20:21]
	v_add_u32_e32 v29, s15, v15
	v_mad_i64_i32 v[38:39], s[22:23], v29, 50, s[20:21]
	v_add_co_u32_e32 v40, vcc, v36, v18
	v_addc_co_u32_e32 v41, vcc, 0, v37, vcc
	v_add_co_u32_e32 v42, vcc, v36, v19
	v_mad_u64_u32 v[32:33], s[22:23], v16, 36, v[2:3]
	v_addc_co_u32_e32 v43, vcc, 0, v37, vcc
	v_add_co_u32_e32 v44, vcc, v38, v18
	v_addc_co_u32_e32 v45, vcc, 0, v39, vcc
	v_add_co_u32_e32 v46, vcc, v38, v19
	global_load_dwordx4 v[20:23], v[5:6], off offset:-16
	global_load_dwordx4 v[24:27], v[5:6], off
	global_load_dwordx4 v[28:31], v[32:33], off
	v_addc_co_u32_e32 v47, vcc, 0, v39, vcc
	global_load_dword v48, v[40:41], off offset:2
	global_load_ushort v49, v[42:43], off offset:34
	global_load_dword v50, v[44:45], off offset:2
	global_load_ushort v51, v[46:47], off offset:34
	global_load_ushort v52, v[38:39], off
	global_load_ushort v53, v[36:37], off
	s_getpc_b64 s[0:1]
	s_add_u32 s0, s0, _ZL13iq1s_grid_gpu@rel32@lo+4
	s_addc_u32 s1, s1, _ZL13iq1s_grid_gpu@rel32@hi+12
	v_mad_u64_u32 v[34:35], s[22:23], v17, 36, v[2:3]
	v_add_u32_e32 v15, 16, v15
	v_add_u32_e32 v16, 0x80, v16
	;; [unrolled: 1-line block ×3, first 2 shown]
	s_waitcnt vmcnt(5)
	v_and_b32_e32 v36, 0xff, v48
	s_waitcnt vmcnt(4)
	v_lshlrev_b32_e32 v37, 8, v49
	v_bfe_u32 v38, v48, 8, 8
	v_lshlrev_b32_e32 v39, 5, v49
	v_bfe_u32 v40, v48, 16, 8
	v_lshlrev_b32_e32 v41, 2, v49
	v_lshrrev_b32_e32 v42, 24, v48
	v_lshrrev_b32_e32 v43, 1, v49
	s_waitcnt vmcnt(3)
	v_and_b32_e32 v44, 0xff, v50
	s_waitcnt vmcnt(2)
	v_lshlrev_b32_e32 v45, 8, v51
	v_bfe_u32 v46, v50, 8, 8
	v_lshlrev_b32_e32 v47, 5, v51
	v_bfe_u32 v48, v50, 16, 8
	v_lshlrev_b32_e32 v54, 2, v51
	v_lshrrev_b32_e32 v50, 24, v50
	v_lshrrev_b32_e32 v55, 1, v51
	v_and_or_b32 v36, v37, s16, v36
	v_and_or_b32 v37, v39, s16, v38
	;; [unrolled: 1-line block ×8, first 2 shown]
	v_lshlrev_b32_e32 v36, 2, v36
	v_lshlrev_b32_e32 v37, 2, v37
	;; [unrolled: 1-line block ×8, first 2 shown]
	global_load_dword v44, v36, s[0:1]
	global_load_dword v45, v37, s[0:1]
	;; [unrolled: 1-line block ×8, first 2 shown]
	s_waitcnt vmcnt(7)
	v_and_b32_e32 v36, 0xf0f0f0f, v44
	v_lshrrev_b32_e32 v37, 4, v44
	v_and_b32_e32 v37, 0xf0f0f0f, v37
	s_waitcnt vmcnt(4)
	v_and_b32_e32 v42, 0xf0f0f0f, v47
	v_lshrrev_b32_e32 v43, 4, v47
	v_and_b32_e32 v43, 0xf0f0f0f, v43
	v_dot4_i32_i8 v56, v36, v21, 0
	v_dot4_i32_i8 v21, v42, v21, 0
	v_and_b32_e32 v38, 0xf0f0f0f, v45
	v_lshrrev_b32_e32 v39, 4, v45
	s_waitcnt vmcnt(3)
	v_and_b32_e32 v44, 0xf0f0f0f, v48
	v_lshrrev_b32_e32 v45, 4, v48
	v_dot4_i32_i8 v56, v37, v22, v56
	v_dot4_i32_i8 v21, v43, v22, v21
	v_and_b32_e32 v39, 0xf0f0f0f, v39
	v_and_b32_e32 v45, 0xf0f0f0f, v45
	v_dot4_i32_i8 v22, v38, v23, v56
	v_dot4_i32_i8 v21, v44, v23, v21
	v_and_b32_e32 v40, 0xf0f0f0f, v46
	v_lshrrev_b32_e32 v41, 4, v46
	s_waitcnt vmcnt(2)
	v_and_b32_e32 v46, 0xf0f0f0f, v50
	v_lshrrev_b32_e32 v47, 4, v50
	v_dot4_i32_i8 v22, v39, v24, v22
	v_dot4_i32_i8 v21, v45, v24, v21
	v_and_b32_e32 v41, 0xf0f0f0f, v41
	v_and_b32_e32 v47, 0xf0f0f0f, v47
	v_dot4_i32_i8 v22, v40, v25, v22
	v_dot4_i32_i8 v21, v46, v25, v21
	s_waitcnt vmcnt(1)
	v_and_b32_e32 v48, 0xf0f0f0f, v54
	s_waitcnt vmcnt(0)
	v_and_b32_e32 v50, 0xf0f0f0f, v55
	v_dot4_i32_i8 v22, v41, v26, v22
	v_dot4_i32_i8 v21, v47, v26, v21
	;; [unrolled: 1-line block ×4, first 2 shown]
	global_load_dwordx4 v[21:24], v[32:33], off offset:16
	v_dot4_i32_i8 v25, v36, v29, 0
	v_dot4_i32_i8 v26, v42, v29, 0
	;; [unrolled: 1-line block ×6, first 2 shown]
	s_waitcnt vmcnt(0)
	v_dot4_i32_i8 v25, v39, v21, v25
	v_dot4_i32_i8 v21, v45, v21, v26
	;; [unrolled: 1-line block ×8, first 2 shown]
	global_load_dwordx4 v[21:24], v[34:35], off
	global_load_dword v60, v[32:33], off offset:32
	s_waitcnt vmcnt(1)
	v_dot4_i32_i8 v25, v36, v22, 0
	v_dot4_i32_i8 v22, v42, v22, 0
	;; [unrolled: 1-line block ×6, first 2 shown]
	global_load_dword v33, v[34:35], off offset:32
	global_load_dwordx4 v[22:25], v[34:35], off offset:16
	s_waitcnt vmcnt(0)
	v_dot4_i32_i8 v26, v39, v22, v26
	v_dot4_i32_i8 v22, v45, v22, v27
	;; [unrolled: 1-line block ×5, first 2 shown]
	v_mad_u64_u32 v[26:27], s[0:1], v4, 36, v[2:3]
	v_dot4_i32_i8 v22, v47, v24, v22
	v_dot4_i32_i8 v34, v48, v25, v23
	;; [unrolled: 1-line block ×3, first 2 shown]
	global_load_dword v61, v[26:27], off offset:32
	global_load_dwordx4 v[22:25], v[26:27], off
	global_load_dwordx4 v[29:32], v[26:27], off offset:16
	v_mov_b32_e32 v27, 0xbf600000
	v_cmp_le_u32_e64 s[0:1], s9, v15
	v_add_u32_e32 v4, 0x80, v4
	s_or_b64 s[12:13], s[0:1], s[12:13]
	s_waitcnt vmcnt(1)
	v_dot4_i32_i8 v26, v36, v23, 0
	v_dot4_i32_i8 v23, v42, v23, 0
	;; [unrolled: 1-line block ×6, first 2 shown]
	global_load_dword v25, v[5:6], off offset:16
	v_cvt_f32_f16_e32 v37, v53
	v_lshrrev_b32_e32 v38, 11, v49
	v_and_or_b32 v38, v38, 14, 1
	s_waitcnt vmcnt(1)
	v_dot4_i32_i8 v24, v39, v29, v24
	v_dot4_i32_i8 v23, v45, v29, v23
	v_cvt_f32_ubyte0_e32 v38, v38
	v_dot4_i32_i8 v24, v40, v30, v24
	v_dot4_i32_i8 v23, v46, v30, v23
	v_and_b32_e32 v36, 0x8000, v49
	v_mul_f32_e32 v37, v38, v37
	v_and_b32_e32 v38, 0x8000, v51
	v_dot4_i32_i8 v24, v41, v31, v24
	v_dot4_i32_i8 v23, v47, v31, v23
	v_cvt_f32_u32_e32 v36, v36
	v_cvt_f32_u32_e32 v38, v38
	v_dot4_i32_i8 v24, v48, v32, v24
	v_dot4_i32_i8 v23, v50, v32, v23
	v_cvt_f32_f16_sdwa v29, v20 dst_sel:DWORD dst_unused:UNUSED_PAD src0_sel:WORD_1
	v_cvt_f32_f16_sdwa v30, v28 dst_sel:DWORD dst_unused:UNUSED_PAD src0_sel:WORD_1
	;; [unrolled: 1-line block ×4, first 2 shown]
	v_cvt_f32_f16_e32 v39, v52
	v_lshrrev_b32_e32 v40, 11, v51
	v_mov_b32_e32 v26, 0xbf600000
	v_and_or_b32 v40, v40, 14, 1
	v_cvt_f32_ubyte0_e32 v40, v40
	v_fmac_f32_e32 v26, 0xb7000000, v36
	v_fmac_f32_e32 v27, 0xb7000000, v38
	v_mul_f32_e32 v39, v40, v39
	v_mul_f32_e32 v36, v26, v29
	;; [unrolled: 1-line block ×9, first 2 shown]
	v_lshrrev_b32_e32 v32, 4, v54
	v_lshrrev_b32_e32 v41, 4, v55
	v_and_b32_e32 v32, 0xf0f0f0f, v32
	v_and_b32_e32 v41, 0xf0f0f0f, v41
	v_dot4_i32_i8 v43, v32, v60, v58
	v_dot4_i32_i8 v44, v41, v60, v59
	;; [unrolled: 1-line block ×6, first 2 shown]
	v_cvt_f32_i32_e32 v35, v43
	v_cvt_f32_i32_e32 v34, v34
	;; [unrolled: 1-line block ×5, first 2 shown]
	v_add_co_u32_e32 v5, vcc, 0x1200, v5
	v_fma_mix_f32 v24, v24, v22, v26 op_sel_hi:[0,1,0]
	v_fma_mix_f32 v22, v23, v22, v27 op_sel_hi:[0,1,0]
	v_addc_co_u32_e32 v6, vcc, 0, v6, vcc
	v_fmac_f32_e32 v8, v37, v24
	v_fmac_f32_e32 v7, v39, v22
	s_waitcnt vmcnt(0)
	v_dot4_i32_i8 v42, v32, v25, v56
	v_dot4_i32_i8 v25, v41, v25, v57
	v_cvt_f32_i32_e32 v32, v42
	v_cvt_f32_i32_e32 v25, v25
	;; [unrolled: 1-line block ×3, first 2 shown]
	v_fma_mix_f32 v32, v32, v20, v36 op_sel_hi:[0,1,0]
	v_fma_mix_f32 v20, v25, v20, v29 op_sel_hi:[0,1,0]
	;; [unrolled: 1-line block ×6, first 2 shown]
	v_fmac_f32_e32 v14, v37, v32
	v_fmac_f32_e32 v13, v39, v20
	;; [unrolled: 1-line block ×6, first 2 shown]
	s_andn2_b64 exec, exec, s[12:13]
	s_cbranch_execnz .LBB211_2
; %bb.3:
	s_or_b64 exec, exec, s[12:13]
.LBB211_4:
	s_or_b64 exec, exec, s[10:11]
	v_cmp_eq_u32_e32 vcc, 0, v1
	v_cmp_ne_u32_e64 s[0:1], 0, v1
	v_lshlrev_b32_e32 v2, 2, v0
	s_and_saveexec_b64 s[10:11], s[0:1]
	s_cbranch_execz .LBB211_6
; %bb.5:
	v_lshl_or_b32 v1, v1, 11, v2
	v_add_u32_e32 v1, 0xfffff800, v1
	ds_write2st64_b32 v1, v14, v13 offset1:1
	ds_write2st64_b32 v1, v12, v11 offset0:2 offset1:3
	ds_write2st64_b32 v1, v10, v9 offset0:4 offset1:5
	;; [unrolled: 1-line block ×3, first 2 shown]
.LBB211_6:
	s_or_b64 exec, exec, s[10:11]
	s_waitcnt lgkmcnt(0)
	s_barrier
	s_and_saveexec_b64 s[0:1], vcc
	s_cbranch_execz .LBB211_15
; %bb.7:
	v_mbcnt_lo_u32_b32 v1, -1, 0
	v_mbcnt_hi_u32_b32 v15, -1, v1
	ds_read2st64_b32 v[5:6], v2 offset1:1
	v_and_b32_e32 v1, 64, v15
	v_add_u32_e32 v16, 64, v1
	v_xor_b32_e32 v1, 32, v15
	v_cmp_lt_i32_e32 vcc, v1, v16
	v_cndmask_b32_e32 v1, v15, v1, vcc
	v_lshlrev_b32_e32 v1, 2, v1
	s_waitcnt lgkmcnt(0)
	v_add_f32_e32 v14, v5, v14
	v_add_f32_e32 v6, v6, v13
	ds_bpermute_b32 v18, v1, v14
	ds_bpermute_b32 v13, v1, v6
	v_xor_b32_e32 v3, 16, v15
	v_cmp_lt_i32_e32 vcc, v3, v16
	v_cndmask_b32_e32 v3, v15, v3, vcc
	v_lshlrev_b32_e32 v3, 2, v3
	s_waitcnt lgkmcnt(1)
	v_add_f32_e32 v14, v14, v18
	s_waitcnt lgkmcnt(0)
	v_add_f32_e32 v6, v6, v13
	ds_bpermute_b32 v18, v3, v14
	ds_bpermute_b32 v13, v3, v6
	v_xor_b32_e32 v4, 8, v15
	v_cmp_lt_i32_e32 vcc, v4, v16
	v_cndmask_b32_e32 v4, v15, v4, vcc
	v_lshlrev_b32_e32 v4, 2, v4
	s_waitcnt lgkmcnt(1)
	v_add_f32_e32 v14, v14, v18
	s_waitcnt lgkmcnt(0)
	v_add_f32_e32 v13, v6, v13
	ds_bpermute_b32 v18, v4, v14
	ds_bpermute_b32 v19, v4, v13
	v_xor_b32_e32 v17, 4, v15
	v_cmp_lt_i32_e32 vcc, v17, v16
	v_cndmask_b32_e32 v17, v15, v17, vcc
	v_lshlrev_b32_e32 v5, 2, v17
	s_waitcnt lgkmcnt(1)
	v_add_f32_e32 v14, v14, v18
	s_waitcnt lgkmcnt(0)
	v_add_f32_e32 v13, v13, v19
	ds_bpermute_b32 v18, v5, v14
	ds_bpermute_b32 v19, v5, v13
	v_xor_b32_e32 v17, 2, v15
	v_cmp_lt_i32_e32 vcc, v17, v16
	v_cndmask_b32_e32 v17, v15, v17, vcc
	v_lshlrev_b32_e32 v6, 2, v17
	v_xor_b32_e32 v17, 1, v15
	v_cmp_lt_i32_e32 vcc, v17, v16
	s_waitcnt lgkmcnt(1)
	v_add_f32_e32 v14, v14, v18
	s_waitcnt lgkmcnt(0)
	v_add_f32_e32 v13, v13, v19
	v_cndmask_b32_e32 v15, v15, v17, vcc
	ds_bpermute_b32 v16, v6, v14
	ds_bpermute_b32 v17, v6, v13
	s_load_dwordx2 s[0:1], s[4:5], 0x38
	s_mul_i32 s4, s14, s7
	v_lshlrev_b32_e32 v15, 2, v15
	s_waitcnt lgkmcnt(0)
	v_add_f32_e32 v14, v14, v16
	v_add_f32_e32 v17, v13, v17
	s_mul_i32 s3, s18, s8
	s_add_i32 s4, s4, s6
	ds_bpermute_b32 v16, v15, v14
	ds_bpermute_b32 v18, v15, v17
	s_add_i32 s4, s4, s3
	s_mov_b32 s5, 0
	s_lshl_b64 s[4:5], s[4:5], 2
	s_add_u32 s4, s0, s4
	v_add_u32_e32 v13, s6, v0
	s_addc_u32 s5, s1, s5
	v_cmp_gt_u32_e32 vcc, 2, v0
	v_cmp_gt_u32_e64 s[0:1], s2, v13
	s_and_b64 s[0:1], vcc, s[0:1]
	s_waitcnt lgkmcnt(1)
	v_add_f32_e32 v13, v14, v16
	s_waitcnt lgkmcnt(0)
	v_add_f32_e32 v14, v17, v18
	s_and_saveexec_b64 s[6:7], s[0:1]
	s_cbranch_execz .LBB211_9
; %bb.8:
	v_cmp_eq_u32_e32 vcc, 1, v0
	v_cndmask_b32_e32 v16, v13, v14, vcc
	v_cmp_eq_u32_e32 vcc, 2, v0
	v_cndmask_b32_e32 v16, v16, v12, vcc
	v_cmp_eq_u32_e32 vcc, 3, v0
	v_cndmask_b32_e32 v16, v16, v11, vcc
	v_cmp_eq_u32_e32 vcc, 4, v0
	v_cndmask_b32_e32 v16, v16, v10, vcc
	v_cmp_eq_u32_e32 vcc, 5, v0
	v_cndmask_b32_e32 v16, v16, v9, vcc
	v_cmp_eq_u32_e32 vcc, 6, v0
	v_cndmask_b32_e32 v16, v16, v8, vcc
	v_cmp_eq_u32_e32 vcc, 7, v0
	v_cndmask_b32_e32 v16, v16, v7, vcc
	global_store_dword v2, v16, s[4:5]
.LBB211_9:
	s_or_b64 exec, exec, s[6:7]
	ds_read2st64_b32 v[16:17], v2 offset0:2 offset1:3
	s_waitcnt lgkmcnt(0)
	v_add_f32_e32 v12, v16, v12
	v_add_f32_e32 v11, v17, v11
	ds_bpermute_b32 v16, v1, v12
	ds_bpermute_b32 v17, v1, v11
	s_waitcnt lgkmcnt(1)
	v_add_f32_e32 v12, v12, v16
	s_waitcnt lgkmcnt(0)
	v_add_f32_e32 v11, v11, v17
	ds_bpermute_b32 v16, v3, v12
	ds_bpermute_b32 v17, v3, v11
	s_waitcnt lgkmcnt(1)
	v_add_f32_e32 v12, v12, v16
	s_waitcnt lgkmcnt(0)
	;; [unrolled: 6-line block ×6, first 2 shown]
	v_add_f32_e32 v11, v11, v17
	s_and_saveexec_b64 s[6:7], s[0:1]
	s_cbranch_execz .LBB211_11
; %bb.10:
	v_add_u32_e32 v16, 2, v0
	v_cmp_eq_u32_e32 vcc, 1, v16
	v_cndmask_b32_e32 v17, v13, v14, vcc
	v_cmp_eq_u32_e32 vcc, 2, v16
	v_cndmask_b32_e32 v17, v17, v12, vcc
	;; [unrolled: 2-line block ×7, first 2 shown]
	v_add_u32_e32 v16, s2, v0
	v_mov_b32_e32 v17, 0
	v_lshlrev_b64 v[16:17], 2, v[16:17]
	v_mov_b32_e32 v19, s5
	v_add_co_u32_e32 v16, vcc, s4, v16
	v_addc_co_u32_e32 v17, vcc, v19, v17, vcc
	global_store_dword v[16:17], v18, off
.LBB211_11:
	s_or_b64 exec, exec, s[6:7]
	ds_read2st64_b32 v[16:17], v2 offset0:4 offset1:5
	s_waitcnt lgkmcnt(0)
	v_add_f32_e32 v10, v16, v10
	v_add_f32_e32 v9, v17, v9
	ds_bpermute_b32 v16, v1, v10
	ds_bpermute_b32 v17, v1, v9
	s_waitcnt lgkmcnt(1)
	v_add_f32_e32 v10, v10, v16
	s_waitcnt lgkmcnt(0)
	v_add_f32_e32 v9, v9, v17
	ds_bpermute_b32 v16, v3, v10
	ds_bpermute_b32 v17, v3, v9
	s_waitcnt lgkmcnt(1)
	v_add_f32_e32 v10, v10, v16
	s_waitcnt lgkmcnt(0)
	;; [unrolled: 6-line block ×6, first 2 shown]
	v_add_f32_e32 v9, v9, v17
	s_and_saveexec_b64 s[6:7], s[0:1]
	s_cbranch_execz .LBB211_13
; %bb.12:
	v_add_u32_e32 v16, 4, v0
	v_cmp_eq_u32_e32 vcc, 1, v16
	v_cndmask_b32_e32 v17, v13, v14, vcc
	v_cmp_eq_u32_e32 vcc, 2, v16
	v_cndmask_b32_e32 v17, v17, v12, vcc
	;; [unrolled: 2-line block ×7, first 2 shown]
	v_lshl_or_b32 v16, s2, 1, v0
	v_mov_b32_e32 v17, 0
	v_lshlrev_b64 v[16:17], 2, v[16:17]
	v_mov_b32_e32 v19, s5
	v_add_co_u32_e32 v16, vcc, s4, v16
	v_addc_co_u32_e32 v17, vcc, v19, v17, vcc
	global_store_dword v[16:17], v18, off
.LBB211_13:
	s_or_b64 exec, exec, s[6:7]
	ds_read2st64_b32 v[16:17], v2 offset0:6 offset1:7
	s_waitcnt lgkmcnt(0)
	v_add_f32_e32 v2, v16, v8
	v_add_f32_e32 v7, v17, v7
	ds_bpermute_b32 v8, v1, v2
	ds_bpermute_b32 v1, v1, v7
	s_waitcnt lgkmcnt(1)
	v_add_f32_e32 v2, v2, v8
	s_waitcnt lgkmcnt(0)
	v_add_f32_e32 v1, v7, v1
	ds_bpermute_b32 v7, v3, v2
	ds_bpermute_b32 v3, v3, v1
	s_waitcnt lgkmcnt(1)
	v_add_f32_e32 v2, v2, v7
	s_waitcnt lgkmcnt(0)
	;; [unrolled: 6-line block ×5, first 2 shown]
	v_add_f32_e32 v2, v3, v4
	ds_bpermute_b32 v3, v15, v1
	ds_bpermute_b32 v4, v15, v2
	s_and_b64 exec, exec, s[0:1]
	s_cbranch_execz .LBB211_15
; %bb.14:
	s_waitcnt lgkmcnt(1)
	v_add_f32_e32 v1, v1, v3
	v_add_u32_e32 v3, 6, v0
	v_cmp_eq_u32_e32 vcc, 1, v3
	s_waitcnt lgkmcnt(0)
	v_add_f32_e32 v2, v2, v4
	v_cndmask_b32_e32 v4, v13, v14, vcc
	v_cmp_eq_u32_e32 vcc, 2, v3
	v_cndmask_b32_e32 v4, v4, v12, vcc
	v_cmp_eq_u32_e32 vcc, 3, v3
	v_cndmask_b32_e32 v4, v4, v11, vcc
	v_cmp_eq_u32_e32 vcc, 4, v3
	v_cndmask_b32_e32 v4, v4, v10, vcc
	v_cmp_eq_u32_e32 vcc, 5, v3
	v_cndmask_b32_e32 v4, v4, v9, vcc
	v_cmp_eq_u32_e32 vcc, 6, v3
	v_cndmask_b32_e32 v4, v4, v1, vcc
	v_mad_u64_u32 v[0:1], s[0:1], s2, 3, v[0:1]
	v_mov_b32_e32 v1, 0
	v_cmp_eq_u32_e32 vcc, 7, v3
	v_lshlrev_b64 v[0:1], 2, v[0:1]
	v_cndmask_b32_e32 v2, v4, v2, vcc
	v_mov_b32_e32 v3, s5
	v_add_co_u32_e32 v0, vcc, s4, v0
	v_addc_co_u32_e32 v1, vcc, v3, v1, vcc
	global_store_dword v[0:1], v2, off
.LBB211_15:
	s_endpgm
	.section	.rodata,"a",@progbits
	.p2align	6, 0x0
	.amdhsa_kernel _ZL13mul_mat_vec_qIL9ggml_type19ELi4ELb0ELb0EEvPKvS2_PKi31ggml_cuda_mm_fusion_args_devicePfj15HIP_vector_typeIjLj3EEjjjS8_jjjS8_jjjj
		.amdhsa_group_segment_fixed_size 2048
		.amdhsa_private_segment_fixed_size 0
		.amdhsa_kernarg_size 144
		.amdhsa_user_sgpr_count 6
		.amdhsa_user_sgpr_private_segment_buffer 1
		.amdhsa_user_sgpr_dispatch_ptr 0
		.amdhsa_user_sgpr_queue_ptr 0
		.amdhsa_user_sgpr_kernarg_segment_ptr 1
		.amdhsa_user_sgpr_dispatch_id 0
		.amdhsa_user_sgpr_flat_scratch_init 0
		.amdhsa_user_sgpr_private_segment_size 0
		.amdhsa_uses_dynamic_stack 0
		.amdhsa_system_sgpr_private_segment_wavefront_offset 0
		.amdhsa_system_sgpr_workgroup_id_x 1
		.amdhsa_system_sgpr_workgroup_id_y 1
		.amdhsa_system_sgpr_workgroup_id_z 1
		.amdhsa_system_sgpr_workgroup_info 0
		.amdhsa_system_vgpr_workitem_id 1
		.amdhsa_next_free_vgpr 62
		.amdhsa_next_free_sgpr 61
		.amdhsa_reserve_vcc 1
		.amdhsa_reserve_flat_scratch 0
		.amdhsa_float_round_mode_32 0
		.amdhsa_float_round_mode_16_64 0
		.amdhsa_float_denorm_mode_32 3
		.amdhsa_float_denorm_mode_16_64 3
		.amdhsa_dx10_clamp 1
		.amdhsa_ieee_mode 1
		.amdhsa_fp16_overflow 0
		.amdhsa_exception_fp_ieee_invalid_op 0
		.amdhsa_exception_fp_denorm_src 0
		.amdhsa_exception_fp_ieee_div_zero 0
		.amdhsa_exception_fp_ieee_overflow 0
		.amdhsa_exception_fp_ieee_underflow 0
		.amdhsa_exception_fp_ieee_inexact 0
		.amdhsa_exception_int_div_zero 0
	.end_amdhsa_kernel
	.section	.text._ZL13mul_mat_vec_qIL9ggml_type19ELi4ELb0ELb0EEvPKvS2_PKi31ggml_cuda_mm_fusion_args_devicePfj15HIP_vector_typeIjLj3EEjjjS8_jjjS8_jjjj,"axG",@progbits,_ZL13mul_mat_vec_qIL9ggml_type19ELi4ELb0ELb0EEvPKvS2_PKi31ggml_cuda_mm_fusion_args_devicePfj15HIP_vector_typeIjLj3EEjjjS8_jjjS8_jjjj,comdat
.Lfunc_end211:
	.size	_ZL13mul_mat_vec_qIL9ggml_type19ELi4ELb0ELb0EEvPKvS2_PKi31ggml_cuda_mm_fusion_args_devicePfj15HIP_vector_typeIjLj3EEjjjS8_jjjS8_jjjj, .Lfunc_end211-_ZL13mul_mat_vec_qIL9ggml_type19ELi4ELb0ELb0EEvPKvS2_PKi31ggml_cuda_mm_fusion_args_devicePfj15HIP_vector_typeIjLj3EEjjjS8_jjjS8_jjjj
                                        ; -- End function
	.set _ZL13mul_mat_vec_qIL9ggml_type19ELi4ELb0ELb0EEvPKvS2_PKi31ggml_cuda_mm_fusion_args_devicePfj15HIP_vector_typeIjLj3EEjjjS8_jjjS8_jjjj.num_vgpr, 62
	.set _ZL13mul_mat_vec_qIL9ggml_type19ELi4ELb0ELb0EEvPKvS2_PKi31ggml_cuda_mm_fusion_args_devicePfj15HIP_vector_typeIjLj3EEjjjS8_jjjS8_jjjj.num_agpr, 0
	.set _ZL13mul_mat_vec_qIL9ggml_type19ELi4ELb0ELb0EEvPKvS2_PKi31ggml_cuda_mm_fusion_args_devicePfj15HIP_vector_typeIjLj3EEjjjS8_jjjS8_jjjj.numbered_sgpr, 26
	.set _ZL13mul_mat_vec_qIL9ggml_type19ELi4ELb0ELb0EEvPKvS2_PKi31ggml_cuda_mm_fusion_args_devicePfj15HIP_vector_typeIjLj3EEjjjS8_jjjS8_jjjj.num_named_barrier, 0
	.set _ZL13mul_mat_vec_qIL9ggml_type19ELi4ELb0ELb0EEvPKvS2_PKi31ggml_cuda_mm_fusion_args_devicePfj15HIP_vector_typeIjLj3EEjjjS8_jjjS8_jjjj.private_seg_size, 0
	.set _ZL13mul_mat_vec_qIL9ggml_type19ELi4ELb0ELb0EEvPKvS2_PKi31ggml_cuda_mm_fusion_args_devicePfj15HIP_vector_typeIjLj3EEjjjS8_jjjS8_jjjj.uses_vcc, 1
	.set _ZL13mul_mat_vec_qIL9ggml_type19ELi4ELb0ELb0EEvPKvS2_PKi31ggml_cuda_mm_fusion_args_devicePfj15HIP_vector_typeIjLj3EEjjjS8_jjjS8_jjjj.uses_flat_scratch, 0
	.set _ZL13mul_mat_vec_qIL9ggml_type19ELi4ELb0ELb0EEvPKvS2_PKi31ggml_cuda_mm_fusion_args_devicePfj15HIP_vector_typeIjLj3EEjjjS8_jjjS8_jjjj.has_dyn_sized_stack, 0
	.set _ZL13mul_mat_vec_qIL9ggml_type19ELi4ELb0ELb0EEvPKvS2_PKi31ggml_cuda_mm_fusion_args_devicePfj15HIP_vector_typeIjLj3EEjjjS8_jjjS8_jjjj.has_recursion, 0
	.set _ZL13mul_mat_vec_qIL9ggml_type19ELi4ELb0ELb0EEvPKvS2_PKi31ggml_cuda_mm_fusion_args_devicePfj15HIP_vector_typeIjLj3EEjjjS8_jjjS8_jjjj.has_indirect_call, 0
	.section	.AMDGPU.csdata,"",@progbits
; Kernel info:
; codeLenInByte = 3484
; TotalNumSgprs: 30
; NumVgprs: 62
; ScratchSize: 0
; MemoryBound: 0
; FloatMode: 240
; IeeeMode: 1
; LDSByteSize: 2048 bytes/workgroup (compile time only)
; SGPRBlocks: 8
; VGPRBlocks: 15
; NumSGPRsForWavesPerEU: 65
; NumVGPRsForWavesPerEU: 62
; Occupancy: 4
; WaveLimiterHint : 0
; COMPUTE_PGM_RSRC2:SCRATCH_EN: 0
; COMPUTE_PGM_RSRC2:USER_SGPR: 6
; COMPUTE_PGM_RSRC2:TRAP_HANDLER: 0
; COMPUTE_PGM_RSRC2:TGID_X_EN: 1
; COMPUTE_PGM_RSRC2:TGID_Y_EN: 1
; COMPUTE_PGM_RSRC2:TGID_Z_EN: 1
; COMPUTE_PGM_RSRC2:TIDIG_COMP_CNT: 1
	.section	.text._ZL13mul_mat_vec_qIL9ggml_type19ELi5ELb0ELb0EEvPKvS2_PKi31ggml_cuda_mm_fusion_args_devicePfj15HIP_vector_typeIjLj3EEjjjS8_jjjS8_jjjj,"axG",@progbits,_ZL13mul_mat_vec_qIL9ggml_type19ELi5ELb0ELb0EEvPKvS2_PKi31ggml_cuda_mm_fusion_args_devicePfj15HIP_vector_typeIjLj3EEjjjS8_jjjS8_jjjj,comdat
	.globl	_ZL13mul_mat_vec_qIL9ggml_type19ELi5ELb0ELb0EEvPKvS2_PKi31ggml_cuda_mm_fusion_args_devicePfj15HIP_vector_typeIjLj3EEjjjS8_jjjS8_jjjj ; -- Begin function _ZL13mul_mat_vec_qIL9ggml_type19ELi5ELb0ELb0EEvPKvS2_PKi31ggml_cuda_mm_fusion_args_devicePfj15HIP_vector_typeIjLj3EEjjjS8_jjjS8_jjjj
	.p2align	8
	.type	_ZL13mul_mat_vec_qIL9ggml_type19ELi5ELb0ELb0EEvPKvS2_PKi31ggml_cuda_mm_fusion_args_devicePfj15HIP_vector_typeIjLj3EEjjjS8_jjjS8_jjjj,@function
_ZL13mul_mat_vec_qIL9ggml_type19ELi5ELb0ELb0EEvPKvS2_PKi31ggml_cuda_mm_fusion_args_devicePfj15HIP_vector_typeIjLj3EEjjjS8_jjjS8_jjjj: ; @_ZL13mul_mat_vec_qIL9ggml_type19ELi5ELb0ELb0EEvPKvS2_PKi31ggml_cuda_mm_fusion_args_devicePfj15HIP_vector_typeIjLj3EEjjjS8_jjjS8_jjjj
; %bb.0:
	s_load_dword s9, s[4:5], 0x40
	s_load_dwordx4 s[0:3], s[4:5], 0x50
	s_load_dword s25, s[4:5], 0x60
	s_load_dwordx4 s[12:15], s[4:5], 0x68
	;; [unrolled: 2-line block ×3, first 2 shown]
	v_lshl_or_b32 v2, v1, 6, v0
	s_waitcnt lgkmcnt(0)
	s_lshr_b32 s9, s9, 8
	v_lshrrev_b32_e32 v16, 3, v2
	v_mov_b32_e32 v6, 0
	s_lshl_b32 s6, s6, 1
	v_cmp_gt_u32_e32 vcc, s9, v16
	v_mov_b32_e32 v7, v6
	v_mov_b32_e32 v8, v6
	v_mov_b32_e32 v9, v6
	v_mov_b32_e32 v10, v6
	v_mov_b32_e32 v11, v6
	v_mov_b32_e32 v12, v6
	v_mov_b32_e32 v13, v6
	v_mov_b32_e32 v14, v6
	v_mov_b32_e32 v15, v6
	s_and_saveexec_b64 s[10:11], vcc
	s_cbranch_execz .LBB212_4
; %bb.1:
	s_mul_hi_u32 s3, s3, s7
	s_add_i32 s3, s7, s3
	s_load_dwordx4 s[20:23], s[4:5], 0x0
	s_lshr_b32 s3, s3, s25
	s_mul_i32 s3, s3, s12
	s_mul_hi_u32 s12, s15, s8
	s_add_i32 s12, s8, s12
	s_lshr_b32 s12, s12, s24
	s_mul_i32 s19, s17, s8
	s_mul_i32 s15, s12, s16
	;; [unrolled: 1-line block ×3, first 2 shown]
	s_mul_hi_u32 s12, s19, 36
	s_waitcnt lgkmcnt(0)
	s_add_u32 s16, s22, s16
	s_addc_u32 s17, s23, s12
	s_mul_i32 s12, s13, s7
	s_mul_hi_u32 s13, s12, 36
	s_mul_i32 s12, s12, 36
	s_add_u32 s16, s16, s12
	s_addc_u32 s17, s17, s13
	v_and_b32_e32 v7, 7, v0
	v_mad_u64_u32 v[2:3], s[16:17], v7, 36, s[16:17]
	s_add_i32 s16, s6, 1
	v_mov_b32_e32 v4, s12
	s_add_i32 s15, s15, s3
	s_mul_i32 s3, s6, s0
	s_mul_i32 s0, s0, s16
	s_movk_i32 s16, 0x120
	v_mov_b32_e32 v5, s13
	v_mad_u64_u32 v[4:5], s[12:13], v16, s16, v[4:5]
	v_mov_b32_e32 v9, s23
	v_lshlrev_b32_e32 v8, 1, v7
	v_mad_u64_u32 v[4:5], s[12:13], s19, 36, v[4:5]
	v_mov_b32_e32 v6, 0
	s_add_i32 s3, s15, s3
	v_mad_u64_u32 v[4:5], s[12:13], v7, 36, v[4:5]
	s_add_i32 s0, s15, s0
	v_lshlrev_b32_e32 v17, 3, v16
	v_add_co_u32_e32 v4, vcc, s22, v4
	v_addc_co_u32_e32 v5, vcc, v9, v5, vcc
	v_add_co_u32_e32 v4, vcc, 16, v4
	s_lshl_b32 s15, s1, 2
	s_mul_i32 s19, s1, 3
	s_lshl_b32 s24, s1, 1
	v_addc_co_u32_e32 v5, vcc, 0, v5, vcc
	s_mov_b64 s[12:13], 0
	v_lshlrev_b32_e32 v18, 1, v8
	v_lshlrev_b32_e32 v19, 1, v7
	s_movk_i32 s22, 0x700
	v_mov_b32_e32 v7, v6
	v_mov_b32_e32 v8, v6
	;; [unrolled: 1-line block ×9, first 2 shown]
.LBB212_2:                              ; =>This Inner Loop Header: Depth=1
	v_add_u32_e32 v20, s3, v16
	v_mad_i64_i32 v[29:30], s[16:17], v20, 50, s[20:21]
	global_load_dword v27, v[4:5], off offset:16
	global_load_dwordx4 v[39:42], v[4:5], off
	global_load_dwordx4 v[43:46], v[4:5], off offset:-16
	s_getpc_b64 s[16:17]
	s_add_u32 s16, s16, _ZL13iq1s_grid_gpu@rel32@lo+4
	s_addc_u32 s17, s17, _ZL13iq1s_grid_gpu@rel32@hi+12
	v_add_co_u32_e32 v20, vcc, v29, v18
	v_addc_co_u32_e32 v21, vcc, 0, v30, vcc
	global_load_dword v24, v[20:21], off offset:2
	v_add_co_u32_e32 v20, vcc, v29, v19
	v_addc_co_u32_e32 v21, vcc, 0, v30, vcc
	global_load_ushort v31, v[20:21], off offset:34
	s_waitcnt vmcnt(2)
	v_cvt_f32_f16_sdwa v49, v43 dst_sel:DWORD dst_unused:UNUSED_PAD src0_sel:WORD_1
	global_load_ushort v29, v[29:30], off
	s_waitcnt vmcnt(2)
	v_and_b32_e32 v20, 0xff, v24
	v_lshrrev_b32_e32 v26, 24, v24
	s_waitcnt vmcnt(1)
	v_lshlrev_b32_e32 v21, 8, v31
	v_and_or_b32 v20, v21, s22, v20
	v_lshlrev_b32_e32 v20, 2, v20
	global_load_dword v21, v20, s[16:17]
	v_lshlrev_b32_e32 v23, 5, v31
	v_lshrrev_b32_e32 v30, 11, v31
	v_and_or_b32 v30, v30, 14, 1
	v_cvt_f32_ubyte0_e32 v30, v30
	s_waitcnt vmcnt(1)
	v_cvt_f32_f16_e32 v29, v29
	v_mul_f32_e32 v30, v30, v29
	v_and_b32_e32 v29, 0x8000, v31
	v_cvt_f32_u32_e32 v29, v29
	s_waitcnt vmcnt(0)
	v_and_b32_e32 v20, 0xf0f0f0f, v21
	v_lshrrev_b32_e32 v21, 4, v21
	v_and_b32_e32 v21, 0xf0f0f0f, v21
	v_dot4_i32_i8 v22, v20, v44, 0
	v_dot4_i32_i8 v25, v21, v45, v22
	v_bfe_u32 v22, v24, 8, 8
	v_and_or_b32 v22, v23, s22, v22
	v_lshlrev_b32_e32 v22, 2, v22
	global_load_dword v23, v22, s[16:17]
	v_bfe_u32 v24, v24, 16, 8
	s_waitcnt vmcnt(0)
	v_and_b32_e32 v22, 0xf0f0f0f, v23
	v_lshrrev_b32_e32 v23, 4, v23
	v_and_b32_e32 v23, 0xf0f0f0f, v23
	v_dot4_i32_i8 v25, v22, v46, v25
	v_dot4_i32_i8 v28, v23, v39, v25
	v_lshlrev_b32_e32 v25, 2, v31
	v_and_or_b32 v24, v25, s22, v24
	v_lshlrev_b32_e32 v24, 2, v24
	global_load_dword v25, v24, s[16:17]
	s_waitcnt vmcnt(0)
	v_and_b32_e32 v24, 0xf0f0f0f, v25
	v_lshrrev_b32_e32 v25, 4, v25
	v_and_b32_e32 v25, 0xf0f0f0f, v25
	v_dot4_i32_i8 v28, v24, v40, v28
	v_dot4_i32_i8 v32, v25, v41, v28
	v_lshrrev_b32_e32 v28, 1, v31
	v_and_or_b32 v26, v28, s22, v26
	v_lshlrev_b32_e32 v26, 2, v26
	global_load_dword v28, v26, s[16:17]
	s_waitcnt vmcnt(0)
	v_and_b32_e32 v26, 0xf0f0f0f, v28
	v_lshrrev_b32_e32 v28, 4, v28
	v_and_b32_e32 v28, 0xf0f0f0f, v28
	v_dot4_i32_i8 v32, v26, v42, v32
	v_dot4_i32_i8 v33, v28, v27, v32
	v_mov_b32_e32 v32, 0xbf600000
	v_fmac_f32_e32 v32, 0xb7000000, v29
	v_cvt_f32_i32_e32 v29, v33
	v_mul_f32_e32 v31, v32, v49
	v_fma_mix_f32 v29, v29, v43, v31 op_sel_hi:[0,1,0]
	v_fmac_f32_e32 v15, v30, v29
	v_add_u32_e32 v29, s0, v16
	v_mad_i64_i32 v[47:48], s[26:27], v29, 50, s[20:21]
	v_add_u32_e32 v16, 8, v16
	v_add_co_u32_e32 v33, vcc, v47, v18
	v_addc_co_u32_e32 v34, vcc, 0, v48, vcc
	global_load_dword v29, v[33:34], off offset:2
	v_add_co_u32_e32 v33, vcc, v47, v19
	v_addc_co_u32_e32 v34, vcc, 0, v48, vcc
	global_load_ushort v50, v[33:34], off offset:34
	v_add_co_u32_e32 v4, vcc, 0x900, v4
	v_addc_co_u32_e32 v5, vcc, 0, v5, vcc
	v_cmp_le_u32_e32 vcc, s9, v16
	s_or_b64 s[12:13], vcc, s[12:13]
	s_waitcnt vmcnt(1)
	v_and_b32_e32 v33, 0xff, v29
	v_lshrrev_b32_e32 v31, 24, v29
	s_waitcnt vmcnt(0)
	v_lshlrev_b32_e32 v34, 8, v50
	v_and_or_b32 v33, v34, s22, v33
	v_lshlrev_b32_e32 v33, 2, v33
	global_load_dword v34, v33, s[16:17]
	v_lshlrev_b32_e32 v37, 5, v50
	s_waitcnt vmcnt(0)
	v_and_b32_e32 v33, 0xf0f0f0f, v34
	v_lshrrev_b32_e32 v34, 4, v34
	v_and_b32_e32 v35, 0xf0f0f0f, v34
	v_dot4_i32_i8 v34, v33, v44, 0
	v_dot4_i32_i8 v36, v35, v45, v34
	v_bfe_u32 v34, v29, 8, 8
	v_and_or_b32 v34, v37, s22, v34
	v_lshlrev_b32_e32 v34, 2, v34
	global_load_dword v34, v34, s[16:17]
	v_bfe_u32 v29, v29, 16, 8
	s_waitcnt vmcnt(0)
	v_and_b32_e32 v38, 0xf0f0f0f, v34
	v_lshrrev_b32_e32 v34, 4, v34
	v_and_b32_e32 v34, 0xf0f0f0f, v34
	v_dot4_i32_i8 v36, v38, v46, v36
	v_dot4_i32_i8 v39, v34, v39, v36
	v_lshlrev_b32_e32 v36, 2, v50
	v_and_or_b32 v29, v36, s22, v29
	v_lshlrev_b32_e32 v29, 2, v29
	global_load_dword v29, v29, s[16:17]
	s_waitcnt vmcnt(0)
	v_and_b32_e32 v37, 0xf0f0f0f, v29
	v_lshrrev_b32_e32 v29, 4, v29
	v_and_b32_e32 v36, 0xf0f0f0f, v29
	v_dot4_i32_i8 v29, v37, v40, v39
	v_dot4_i32_i8 v40, v36, v41, v29
	v_lshrrev_b32_e32 v29, 1, v50
	v_and_or_b32 v29, v29, s22, v31
	v_lshlrev_b32_e32 v29, 2, v29
	global_load_dword v29, v29, s[16:17]
	s_waitcnt vmcnt(0)
	v_and_b32_e32 v39, 0xf0f0f0f, v29
	v_lshrrev_b32_e32 v29, 4, v29
	v_and_b32_e32 v29, 0xf0f0f0f, v29
	v_dot4_i32_i8 v31, v39, v42, v40
	v_dot4_i32_i8 v40, v29, v27, v31
	global_load_ushort v27, v[47:48], off
	v_lshrrev_b32_e32 v31, 11, v50
	v_and_or_b32 v31, v31, 14, 1
	v_cvt_f32_ubyte0_e32 v31, v31
	v_cvt_f32_i32_e32 v40, v40
	s_waitcnt vmcnt(0)
	v_cvt_f32_f16_e32 v27, v27
	v_mul_f32_e32 v27, v31, v27
	v_and_b32_e32 v31, 0x8000, v50
	v_cvt_f32_u32_e32 v41, v31
	v_mov_b32_e32 v31, 0xbf600000
	v_fmac_f32_e32 v31, 0xb7000000, v41
	v_mul_f32_e32 v41, v31, v49
	v_fma_mix_f32 v40, v40, v43, v41 op_sel_hi:[0,1,0]
	v_fmac_f32_e32 v14, v27, v40
	v_add_u32_e32 v40, s1, v17
	v_mad_u64_u32 v[48:49], s[16:17], v40, 36, v[2:3]
	global_load_dword v50, v[48:49], off offset:32
	global_load_dwordx4 v[40:43], v[48:49], off offset:16
	global_load_dwordx4 v[44:47], v[48:49], off
	s_waitcnt vmcnt(0)
	v_dot4_i32_i8 v49, v20, v45, 0
	v_dot4_i32_i8 v45, v33, v45, 0
	v_dot4_i32_i8 v49, v21, v46, v49
	v_dot4_i32_i8 v45, v35, v46, v45
	v_dot4_i32_i8 v49, v22, v47, v49
	v_dot4_i32_i8 v45, v38, v47, v45
	v_dot4_i32_i8 v49, v23, v40, v49
	v_dot4_i32_i8 v40, v34, v40, v45
	v_dot4_i32_i8 v40, v37, v41, v40
	v_dot4_i32_i8 v49, v24, v41, v49
	v_dot4_i32_i8 v40, v36, v42, v40
	v_dot4_i32_i8 v49, v25, v42, v49
	v_dot4_i32_i8 v40, v39, v43, v40
	v_cvt_f32_f16_sdwa v48, v44 dst_sel:DWORD dst_unused:UNUSED_PAD src0_sel:WORD_1
	v_dot4_i32_i8 v49, v26, v43, v49
	v_dot4_i32_i8 v40, v29, v50, v40
	v_dot4_i32_i8 v49, v28, v50, v49
	v_cvt_f32_i32_e32 v40, v40
	v_cvt_f32_i32_e32 v49, v49
	v_mul_f32_e32 v41, v31, v48
	v_mul_f32_e32 v51, v32, v48
	v_fma_mix_f32 v40, v40, v44, v41 op_sel_hi:[0,1,0]
	v_fma_mix_f32 v49, v49, v44, v51 op_sel_hi:[0,1,0]
	v_fmac_f32_e32 v12, v27, v40
	v_add_u32_e32 v40, s24, v17
	v_fmac_f32_e32 v13, v30, v49
	v_mad_u64_u32 v[48:49], s[16:17], v40, 36, v[2:3]
	global_load_dword v50, v[48:49], off offset:32
	global_load_dwordx4 v[40:43], v[48:49], off offset:16
	global_load_dwordx4 v[44:47], v[48:49], off
	s_waitcnt vmcnt(0)
	v_dot4_i32_i8 v49, v20, v45, 0
	v_dot4_i32_i8 v45, v33, v45, 0
	v_dot4_i32_i8 v49, v21, v46, v49
	v_dot4_i32_i8 v45, v35, v46, v45
	v_dot4_i32_i8 v49, v22, v47, v49
	v_dot4_i32_i8 v45, v38, v47, v45
	v_dot4_i32_i8 v49, v23, v40, v49
	v_dot4_i32_i8 v40, v34, v40, v45
	v_dot4_i32_i8 v40, v37, v41, v40
	v_dot4_i32_i8 v49, v24, v41, v49
	v_dot4_i32_i8 v40, v36, v42, v40
	v_dot4_i32_i8 v49, v25, v42, v49
	v_dot4_i32_i8 v40, v39, v43, v40
	v_cvt_f32_f16_sdwa v48, v44 dst_sel:DWORD dst_unused:UNUSED_PAD src0_sel:WORD_1
	v_dot4_i32_i8 v49, v26, v43, v49
	v_dot4_i32_i8 v40, v29, v50, v40
	v_dot4_i32_i8 v49, v28, v50, v49
	v_cvt_f32_i32_e32 v40, v40
	v_cvt_f32_i32_e32 v49, v49
	v_mul_f32_e32 v41, v31, v48
	v_mul_f32_e32 v51, v32, v48
	v_fma_mix_f32 v40, v40, v44, v41 op_sel_hi:[0,1,0]
	v_fma_mix_f32 v49, v49, v44, v51 op_sel_hi:[0,1,0]
	v_fmac_f32_e32 v10, v27, v40
	v_add_u32_e32 v40, s19, v17
	v_fmac_f32_e32 v11, v30, v49
	;; [unrolled: 31-line block ×3, first 2 shown]
	v_mad_u64_u32 v[48:49], s[16:17], v40, 36, v[2:3]
	global_load_dword v50, v[48:49], off offset:32
	global_load_dwordx4 v[40:43], v[48:49], off offset:16
	global_load_dwordx4 v[44:47], v[48:49], off
	v_add_u32_e32 v17, 64, v17
	s_waitcnt vmcnt(0)
	v_dot4_i32_i8 v20, v20, v45, 0
	v_dot4_i32_i8 v20, v21, v46, v20
	;; [unrolled: 1-line block ×7, first 2 shown]
	v_cvt_f32_f16_sdwa v48, v44 dst_sel:DWORD dst_unused:UNUSED_PAD src0_sel:WORD_1
	v_dot4_i32_i8 v20, v28, v50, v20
	v_cvt_f32_i32_e32 v20, v20
	v_mul_f32_e32 v21, v32, v48
	v_fma_mix_f32 v20, v20, v44, v21 op_sel_hi:[0,1,0]
	v_fmac_f32_e32 v7, v30, v20
	v_dot4_i32_i8 v20, v33, v45, 0
	v_dot4_i32_i8 v20, v35, v46, v20
	;; [unrolled: 1-line block ×8, first 2 shown]
	v_cvt_f32_i32_e32 v20, v20
	v_mul_f32_e32 v21, v31, v48
	v_fma_mix_f32 v20, v20, v44, v21 op_sel_hi:[0,1,0]
	v_fmac_f32_e32 v6, v27, v20
	s_andn2_b64 exec, exec, s[12:13]
	s_cbranch_execnz .LBB212_2
; %bb.3:
	s_or_b64 exec, exec, s[12:13]
.LBB212_4:
	s_or_b64 exec, exec, s[10:11]
	s_mov_b32 s1, 0
	v_cmp_eq_u32_e32 vcc, 0, v1
	; wave barrier
	s_and_saveexec_b64 s[10:11], vcc
	s_cbranch_execz .LBB212_15
; %bb.5:
	v_mbcnt_lo_u32_b32 v1, -1, 0
	v_mbcnt_hi_u32_b32 v16, -1, v1
	v_and_b32_e32 v1, 64, v16
	v_add_u32_e32 v17, 64, v1
	v_xor_b32_e32 v1, 32, v16
	v_cmp_lt_i32_e32 vcc, v1, v17
	v_cndmask_b32_e32 v1, v16, v1, vcc
	v_lshlrev_b32_e32 v1, 2, v1
	ds_bpermute_b32 v5, v1, v15
	ds_bpermute_b32 v18, v1, v14
	v_xor_b32_e32 v2, 16, v16
	v_cmp_lt_i32_e32 vcc, v2, v17
	v_cndmask_b32_e32 v2, v16, v2, vcc
	v_lshlrev_b32_e32 v2, 2, v2
	s_waitcnt lgkmcnt(1)
	v_add_f32_e32 v5, v15, v5
	s_waitcnt lgkmcnt(0)
	v_add_f32_e32 v14, v14, v18
	ds_bpermute_b32 v15, v2, v5
	ds_bpermute_b32 v18, v2, v14
	v_xor_b32_e32 v3, 8, v16
	v_cmp_lt_i32_e32 vcc, v3, v17
	v_cndmask_b32_e32 v3, v16, v3, vcc
	v_lshlrev_b32_e32 v3, 2, v3
	s_waitcnt lgkmcnt(1)
	v_add_f32_e32 v15, v5, v15
	s_waitcnt lgkmcnt(0)
	v_add_f32_e32 v14, v14, v18
	ds_bpermute_b32 v20, v3, v15
	ds_bpermute_b32 v18, v3, v14
	v_xor_b32_e32 v4, 4, v16
	v_cmp_lt_i32_e32 vcc, v4, v17
	v_cndmask_b32_e32 v4, v16, v4, vcc
	v_lshlrev_b32_e32 v4, 2, v4
	s_waitcnt lgkmcnt(1)
	v_add_f32_e32 v15, v15, v20
	s_waitcnt lgkmcnt(0)
	v_add_f32_e32 v14, v14, v18
	ds_bpermute_b32 v20, v4, v15
	ds_bpermute_b32 v18, v4, v14
	v_xor_b32_e32 v19, 2, v16
	v_cmp_lt_i32_e32 vcc, v19, v17
	v_cndmask_b32_e32 v19, v16, v19, vcc
	v_lshlrev_b32_e32 v5, 2, v19
	v_xor_b32_e32 v19, 1, v16
	s_waitcnt lgkmcnt(1)
	v_add_f32_e32 v15, v15, v20
	s_waitcnt lgkmcnt(0)
	v_add_f32_e32 v14, v14, v18
	v_cmp_lt_i32_e32 vcc, v19, v17
	ds_bpermute_b32 v17, v5, v15
	ds_bpermute_b32 v18, v5, v14
	s_load_dwordx2 s[4:5], s[4:5], 0x38
	v_cndmask_b32_e32 v16, v16, v19, vcc
	s_mul_i32 s3, s14, s7
	v_lshlrev_b32_e32 v16, 2, v16
	s_waitcnt lgkmcnt(0)
	v_add_f32_e32 v15, v15, v17
	v_add_f32_e32 v18, v14, v18
	s_mul_i32 s0, s18, s8
	s_add_i32 s3, s3, s6
	ds_bpermute_b32 v17, v16, v15
	ds_bpermute_b32 v19, v16, v18
	s_add_i32 s0, s3, s0
	s_lshl_b64 s[0:1], s[0:1], 2
	s_add_u32 s4, s4, s0
	v_add_u32_e32 v14, s6, v0
	s_addc_u32 s5, s5, s1
	v_cmp_gt_u32_e32 vcc, 2, v0
	v_cmp_gt_u32_e64 s[0:1], s2, v14
	s_and_b64 s[0:1], vcc, s[0:1]
	s_waitcnt lgkmcnt(1)
	v_add_f32_e32 v14, v15, v17
	s_waitcnt lgkmcnt(0)
	v_add_f32_e32 v15, v18, v19
	s_and_saveexec_b64 s[6:7], s[0:1]
	s_cbranch_execz .LBB212_7
; %bb.6:
	v_cmp_eq_u32_e32 vcc, 1, v0
	v_cndmask_b32_e32 v17, v14, v15, vcc
	v_cmp_eq_u32_e32 vcc, 2, v0
	v_cndmask_b32_e32 v17, v17, v13, vcc
	;; [unrolled: 2-line block ×9, first 2 shown]
	v_lshlrev_b32_e32 v18, 2, v0
	global_store_dword v18, v17, s[4:5]
.LBB212_7:
	s_or_b64 exec, exec, s[6:7]
	ds_bpermute_b32 v17, v1, v13
	ds_bpermute_b32 v18, v1, v12
	s_waitcnt lgkmcnt(1)
	v_add_f32_e32 v13, v13, v17
	s_waitcnt lgkmcnt(0)
	v_add_f32_e32 v12, v12, v18
	ds_bpermute_b32 v17, v2, v13
	ds_bpermute_b32 v18, v2, v12
	s_waitcnt lgkmcnt(1)
	v_add_f32_e32 v13, v13, v17
	s_waitcnt lgkmcnt(0)
	v_add_f32_e32 v12, v12, v18
	;; [unrolled: 6-line block ×6, first 2 shown]
	s_and_saveexec_b64 s[6:7], s[0:1]
	s_cbranch_execz .LBB212_9
; %bb.8:
	v_add_u32_e32 v17, 2, v0
	v_cmp_eq_u32_e32 vcc, 1, v17
	v_cndmask_b32_e32 v18, v14, v15, vcc
	v_cmp_eq_u32_e32 vcc, 2, v17
	v_cndmask_b32_e32 v18, v18, v13, vcc
	v_cmp_eq_u32_e32 vcc, 3, v17
	v_cndmask_b32_e32 v18, v18, v12, vcc
	v_cmp_eq_u32_e32 vcc, 4, v17
	v_cndmask_b32_e32 v18, v18, v11, vcc
	v_cmp_eq_u32_e32 vcc, 5, v17
	v_cndmask_b32_e32 v18, v18, v10, vcc
	v_cmp_eq_u32_e32 vcc, 6, v17
	v_cndmask_b32_e32 v18, v18, v9, vcc
	v_cmp_eq_u32_e32 vcc, 7, v17
	v_cndmask_b32_e32 v18, v18, v8, vcc
	v_cmp_eq_u32_e32 vcc, 8, v17
	v_cndmask_b32_e32 v18, v18, v7, vcc
	v_cmp_eq_u32_e32 vcc, 9, v17
	v_cndmask_b32_e32 v19, v18, v6, vcc
	v_add_u32_e32 v17, s2, v0
	v_mov_b32_e32 v18, 0
	v_lshlrev_b64 v[17:18], 2, v[17:18]
	v_mov_b32_e32 v20, s5
	v_add_co_u32_e32 v17, vcc, s4, v17
	v_addc_co_u32_e32 v18, vcc, v20, v18, vcc
	global_store_dword v[17:18], v19, off
.LBB212_9:
	s_or_b64 exec, exec, s[6:7]
	ds_bpermute_b32 v17, v1, v11
	ds_bpermute_b32 v18, v1, v10
	s_waitcnt lgkmcnt(1)
	v_add_f32_e32 v11, v11, v17
	s_waitcnt lgkmcnt(0)
	v_add_f32_e32 v10, v10, v18
	ds_bpermute_b32 v17, v2, v11
	ds_bpermute_b32 v18, v2, v10
	s_waitcnt lgkmcnt(1)
	v_add_f32_e32 v11, v11, v17
	s_waitcnt lgkmcnt(0)
	v_add_f32_e32 v10, v10, v18
	;; [unrolled: 6-line block ×6, first 2 shown]
	s_and_saveexec_b64 s[6:7], s[0:1]
	s_cbranch_execz .LBB212_11
; %bb.10:
	v_add_u32_e32 v17, 4, v0
	v_cmp_eq_u32_e32 vcc, 1, v17
	v_cndmask_b32_e32 v18, v14, v15, vcc
	v_cmp_eq_u32_e32 vcc, 2, v17
	v_cndmask_b32_e32 v18, v18, v13, vcc
	;; [unrolled: 2-line block ×9, first 2 shown]
	v_lshl_or_b32 v17, s2, 1, v0
	v_mov_b32_e32 v18, 0
	v_lshlrev_b64 v[17:18], 2, v[17:18]
	v_mov_b32_e32 v20, s5
	v_add_co_u32_e32 v17, vcc, s4, v17
	v_addc_co_u32_e32 v18, vcc, v20, v18, vcc
	global_store_dword v[17:18], v19, off
.LBB212_11:
	s_or_b64 exec, exec, s[6:7]
	ds_bpermute_b32 v17, v1, v9
	ds_bpermute_b32 v18, v1, v8
	s_waitcnt lgkmcnt(1)
	v_add_f32_e32 v9, v9, v17
	s_waitcnt lgkmcnt(0)
	v_add_f32_e32 v8, v8, v18
	ds_bpermute_b32 v17, v2, v9
	ds_bpermute_b32 v18, v2, v8
	s_waitcnt lgkmcnt(1)
	v_add_f32_e32 v9, v9, v17
	s_waitcnt lgkmcnt(0)
	v_add_f32_e32 v8, v8, v18
	;; [unrolled: 6-line block ×6, first 2 shown]
	s_and_saveexec_b64 s[6:7], s[0:1]
	s_cbranch_execz .LBB212_13
; %bb.12:
	v_add_u32_e32 v19, 6, v0
	v_cmp_eq_u32_e32 vcc, 1, v19
	v_cndmask_b32_e32 v17, v14, v15, vcc
	v_cmp_eq_u32_e32 vcc, 2, v19
	v_cndmask_b32_e32 v17, v17, v13, vcc
	v_cmp_eq_u32_e32 vcc, 3, v19
	v_cndmask_b32_e32 v17, v17, v12, vcc
	v_cmp_eq_u32_e32 vcc, 4, v19
	v_cndmask_b32_e32 v17, v17, v11, vcc
	v_cmp_eq_u32_e32 vcc, 5, v19
	v_cndmask_b32_e32 v17, v17, v10, vcc
	v_cmp_eq_u32_e32 vcc, 6, v19
	v_cndmask_b32_e32 v17, v17, v9, vcc
	v_cmp_eq_u32_e32 vcc, 7, v19
	v_cndmask_b32_e32 v17, v17, v8, vcc
	v_cmp_eq_u32_e32 vcc, 8, v19
	v_cndmask_b32_e32 v20, v17, v7, vcc
	v_mad_u64_u32 v[17:18], s[8:9], s2, 3, v[0:1]
	v_mov_b32_e32 v18, 0
	v_cmp_eq_u32_e32 vcc, 9, v19
	v_lshlrev_b64 v[17:18], 2, v[17:18]
	v_cndmask_b32_e32 v19, v20, v6, vcc
	v_mov_b32_e32 v20, s5
	v_add_co_u32_e32 v17, vcc, s4, v17
	v_addc_co_u32_e32 v18, vcc, v20, v18, vcc
	global_store_dword v[17:18], v19, off
.LBB212_13:
	s_or_b64 exec, exec, s[6:7]
	ds_bpermute_b32 v17, v1, v7
	ds_bpermute_b32 v1, v1, v6
	s_waitcnt lgkmcnt(1)
	v_add_f32_e32 v7, v7, v17
	s_waitcnt lgkmcnt(0)
	v_add_f32_e32 v1, v6, v1
	ds_bpermute_b32 v6, v2, v7
	ds_bpermute_b32 v2, v2, v1
	s_waitcnt lgkmcnt(1)
	v_add_f32_e32 v6, v7, v6
	s_waitcnt lgkmcnt(0)
	v_add_f32_e32 v1, v1, v2
	;; [unrolled: 6-line block ×5, first 2 shown]
	ds_bpermute_b32 v3, v16, v1
	ds_bpermute_b32 v4, v16, v2
	s_and_b64 exec, exec, s[0:1]
	s_cbranch_execz .LBB212_15
; %bb.14:
	s_waitcnt lgkmcnt(1)
	v_add_f32_e32 v1, v1, v3
	v_add_u32_e32 v3, 8, v0
	v_cmp_eq_u32_e32 vcc, 1, v3
	s_waitcnt lgkmcnt(0)
	v_add_f32_e32 v2, v2, v4
	v_cndmask_b32_e32 v4, v14, v15, vcc
	v_cmp_eq_u32_e32 vcc, 2, v3
	v_cndmask_b32_e32 v4, v4, v13, vcc
	v_cmp_eq_u32_e32 vcc, 3, v3
	;; [unrolled: 2-line block ×8, first 2 shown]
	v_cndmask_b32_e32 v2, v1, v2, vcc
	v_lshl_or_b32 v0, s2, 2, v0
	v_mov_b32_e32 v1, 0
	v_lshlrev_b64 v[0:1], 2, v[0:1]
	v_mov_b32_e32 v3, s5
	v_add_co_u32_e32 v0, vcc, s4, v0
	v_addc_co_u32_e32 v1, vcc, v3, v1, vcc
	global_store_dword v[0:1], v2, off
.LBB212_15:
	s_endpgm
	.section	.rodata,"a",@progbits
	.p2align	6, 0x0
	.amdhsa_kernel _ZL13mul_mat_vec_qIL9ggml_type19ELi5ELb0ELb0EEvPKvS2_PKi31ggml_cuda_mm_fusion_args_devicePfj15HIP_vector_typeIjLj3EEjjjS8_jjjS8_jjjj
		.amdhsa_group_segment_fixed_size 0
		.amdhsa_private_segment_fixed_size 0
		.amdhsa_kernarg_size 144
		.amdhsa_user_sgpr_count 6
		.amdhsa_user_sgpr_private_segment_buffer 1
		.amdhsa_user_sgpr_dispatch_ptr 0
		.amdhsa_user_sgpr_queue_ptr 0
		.amdhsa_user_sgpr_kernarg_segment_ptr 1
		.amdhsa_user_sgpr_dispatch_id 0
		.amdhsa_user_sgpr_flat_scratch_init 0
		.amdhsa_user_sgpr_private_segment_size 0
		.amdhsa_uses_dynamic_stack 0
		.amdhsa_system_sgpr_private_segment_wavefront_offset 0
		.amdhsa_system_sgpr_workgroup_id_x 1
		.amdhsa_system_sgpr_workgroup_id_y 1
		.amdhsa_system_sgpr_workgroup_id_z 1
		.amdhsa_system_sgpr_workgroup_info 0
		.amdhsa_system_vgpr_workitem_id 1
		.amdhsa_next_free_vgpr 52
		.amdhsa_next_free_sgpr 28
		.amdhsa_reserve_vcc 1
		.amdhsa_reserve_flat_scratch 0
		.amdhsa_float_round_mode_32 0
		.amdhsa_float_round_mode_16_64 0
		.amdhsa_float_denorm_mode_32 3
		.amdhsa_float_denorm_mode_16_64 3
		.amdhsa_dx10_clamp 1
		.amdhsa_ieee_mode 1
		.amdhsa_fp16_overflow 0
		.amdhsa_exception_fp_ieee_invalid_op 0
		.amdhsa_exception_fp_denorm_src 0
		.amdhsa_exception_fp_ieee_div_zero 0
		.amdhsa_exception_fp_ieee_overflow 0
		.amdhsa_exception_fp_ieee_underflow 0
		.amdhsa_exception_fp_ieee_inexact 0
		.amdhsa_exception_int_div_zero 0
	.end_amdhsa_kernel
	.section	.text._ZL13mul_mat_vec_qIL9ggml_type19ELi5ELb0ELb0EEvPKvS2_PKi31ggml_cuda_mm_fusion_args_devicePfj15HIP_vector_typeIjLj3EEjjjS8_jjjS8_jjjj,"axG",@progbits,_ZL13mul_mat_vec_qIL9ggml_type19ELi5ELb0ELb0EEvPKvS2_PKi31ggml_cuda_mm_fusion_args_devicePfj15HIP_vector_typeIjLj3EEjjjS8_jjjS8_jjjj,comdat
.Lfunc_end212:
	.size	_ZL13mul_mat_vec_qIL9ggml_type19ELi5ELb0ELb0EEvPKvS2_PKi31ggml_cuda_mm_fusion_args_devicePfj15HIP_vector_typeIjLj3EEjjjS8_jjjS8_jjjj, .Lfunc_end212-_ZL13mul_mat_vec_qIL9ggml_type19ELi5ELb0ELb0EEvPKvS2_PKi31ggml_cuda_mm_fusion_args_devicePfj15HIP_vector_typeIjLj3EEjjjS8_jjjS8_jjjj
                                        ; -- End function
	.set _ZL13mul_mat_vec_qIL9ggml_type19ELi5ELb0ELb0EEvPKvS2_PKi31ggml_cuda_mm_fusion_args_devicePfj15HIP_vector_typeIjLj3EEjjjS8_jjjS8_jjjj.num_vgpr, 52
	.set _ZL13mul_mat_vec_qIL9ggml_type19ELi5ELb0ELb0EEvPKvS2_PKi31ggml_cuda_mm_fusion_args_devicePfj15HIP_vector_typeIjLj3EEjjjS8_jjjS8_jjjj.num_agpr, 0
	.set _ZL13mul_mat_vec_qIL9ggml_type19ELi5ELb0ELb0EEvPKvS2_PKi31ggml_cuda_mm_fusion_args_devicePfj15HIP_vector_typeIjLj3EEjjjS8_jjjS8_jjjj.numbered_sgpr, 28
	.set _ZL13mul_mat_vec_qIL9ggml_type19ELi5ELb0ELb0EEvPKvS2_PKi31ggml_cuda_mm_fusion_args_devicePfj15HIP_vector_typeIjLj3EEjjjS8_jjjS8_jjjj.num_named_barrier, 0
	.set _ZL13mul_mat_vec_qIL9ggml_type19ELi5ELb0ELb0EEvPKvS2_PKi31ggml_cuda_mm_fusion_args_devicePfj15HIP_vector_typeIjLj3EEjjjS8_jjjS8_jjjj.private_seg_size, 0
	.set _ZL13mul_mat_vec_qIL9ggml_type19ELi5ELb0ELb0EEvPKvS2_PKi31ggml_cuda_mm_fusion_args_devicePfj15HIP_vector_typeIjLj3EEjjjS8_jjjS8_jjjj.uses_vcc, 1
	.set _ZL13mul_mat_vec_qIL9ggml_type19ELi5ELb0ELb0EEvPKvS2_PKi31ggml_cuda_mm_fusion_args_devicePfj15HIP_vector_typeIjLj3EEjjjS8_jjjS8_jjjj.uses_flat_scratch, 0
	.set _ZL13mul_mat_vec_qIL9ggml_type19ELi5ELb0ELb0EEvPKvS2_PKi31ggml_cuda_mm_fusion_args_devicePfj15HIP_vector_typeIjLj3EEjjjS8_jjjS8_jjjj.has_dyn_sized_stack, 0
	.set _ZL13mul_mat_vec_qIL9ggml_type19ELi5ELb0ELb0EEvPKvS2_PKi31ggml_cuda_mm_fusion_args_devicePfj15HIP_vector_typeIjLj3EEjjjS8_jjjS8_jjjj.has_recursion, 0
	.set _ZL13mul_mat_vec_qIL9ggml_type19ELi5ELb0ELb0EEvPKvS2_PKi31ggml_cuda_mm_fusion_args_devicePfj15HIP_vector_typeIjLj3EEjjjS8_jjjS8_jjjj.has_indirect_call, 0
	.section	.AMDGPU.csdata,"",@progbits
; Kernel info:
; codeLenInByte = 3932
; TotalNumSgprs: 32
; NumVgprs: 52
; ScratchSize: 0
; MemoryBound: 0
; FloatMode: 240
; IeeeMode: 1
; LDSByteSize: 0 bytes/workgroup (compile time only)
; SGPRBlocks: 3
; VGPRBlocks: 12
; NumSGPRsForWavesPerEU: 32
; NumVGPRsForWavesPerEU: 52
; Occupancy: 4
; WaveLimiterHint : 0
; COMPUTE_PGM_RSRC2:SCRATCH_EN: 0
; COMPUTE_PGM_RSRC2:USER_SGPR: 6
; COMPUTE_PGM_RSRC2:TRAP_HANDLER: 0
; COMPUTE_PGM_RSRC2:TGID_X_EN: 1
; COMPUTE_PGM_RSRC2:TGID_Y_EN: 1
; COMPUTE_PGM_RSRC2:TGID_Z_EN: 1
; COMPUTE_PGM_RSRC2:TIDIG_COMP_CNT: 1
	.section	.text._ZL13mul_mat_vec_qIL9ggml_type19ELi6ELb0ELb0EEvPKvS2_PKi31ggml_cuda_mm_fusion_args_devicePfj15HIP_vector_typeIjLj3EEjjjS8_jjjS8_jjjj,"axG",@progbits,_ZL13mul_mat_vec_qIL9ggml_type19ELi6ELb0ELb0EEvPKvS2_PKi31ggml_cuda_mm_fusion_args_devicePfj15HIP_vector_typeIjLj3EEjjjS8_jjjS8_jjjj,comdat
	.globl	_ZL13mul_mat_vec_qIL9ggml_type19ELi6ELb0ELb0EEvPKvS2_PKi31ggml_cuda_mm_fusion_args_devicePfj15HIP_vector_typeIjLj3EEjjjS8_jjjS8_jjjj ; -- Begin function _ZL13mul_mat_vec_qIL9ggml_type19ELi6ELb0ELb0EEvPKvS2_PKi31ggml_cuda_mm_fusion_args_devicePfj15HIP_vector_typeIjLj3EEjjjS8_jjjS8_jjjj
	.p2align	8
	.type	_ZL13mul_mat_vec_qIL9ggml_type19ELi6ELb0ELb0EEvPKvS2_PKi31ggml_cuda_mm_fusion_args_devicePfj15HIP_vector_typeIjLj3EEjjjS8_jjjS8_jjjj,@function
_ZL13mul_mat_vec_qIL9ggml_type19ELi6ELb0ELb0EEvPKvS2_PKi31ggml_cuda_mm_fusion_args_devicePfj15HIP_vector_typeIjLj3EEjjjS8_jjjS8_jjjj: ; @_ZL13mul_mat_vec_qIL9ggml_type19ELi6ELb0ELb0EEvPKvS2_PKi31ggml_cuda_mm_fusion_args_devicePfj15HIP_vector_typeIjLj3EEjjjS8_jjjS8_jjjj
; %bb.0:
	s_load_dword s9, s[4:5], 0x40
	s_load_dwordx4 s[0:3], s[4:5], 0x50
	s_load_dword s25, s[4:5], 0x60
	s_load_dwordx4 s[12:15], s[4:5], 0x68
	;; [unrolled: 2-line block ×3, first 2 shown]
	v_lshl_or_b32 v2, v1, 6, v0
	s_waitcnt lgkmcnt(0)
	s_lshr_b32 s9, s9, 8
	v_lshrrev_b32_e32 v18, 3, v2
	v_mov_b32_e32 v6, 0
	s_lshl_b32 s6, s6, 1
	v_cmp_gt_u32_e32 vcc, s9, v18
	v_mov_b32_e32 v7, v6
	v_mov_b32_e32 v8, v6
	v_mov_b32_e32 v9, v6
	v_mov_b32_e32 v10, v6
	v_mov_b32_e32 v11, v6
	v_mov_b32_e32 v12, v6
	v_mov_b32_e32 v13, v6
	v_mov_b32_e32 v14, v6
	v_mov_b32_e32 v15, v6
	v_mov_b32_e32 v16, v6
	v_mov_b32_e32 v17, v6
	s_and_saveexec_b64 s[10:11], vcc
	s_cbranch_execz .LBB213_4
; %bb.1:
	s_mul_hi_u32 s3, s3, s7
	s_add_i32 s3, s7, s3
	s_load_dwordx4 s[20:23], s[4:5], 0x0
	s_lshr_b32 s3, s3, s25
	s_mul_i32 s3, s3, s12
	s_mul_hi_u32 s12, s15, s8
	s_add_i32 s12, s8, s12
	s_lshr_b32 s12, s12, s24
	s_mul_i32 s19, s17, s8
	s_mul_i32 s15, s12, s16
	;; [unrolled: 1-line block ×3, first 2 shown]
	s_mul_hi_u32 s12, s19, 36
	s_waitcnt lgkmcnt(0)
	s_add_u32 s16, s22, s16
	s_addc_u32 s17, s23, s12
	s_mul_i32 s12, s13, s7
	s_mul_hi_u32 s13, s12, 36
	s_mul_i32 s12, s12, 36
	s_add_u32 s16, s16, s12
	s_addc_u32 s17, s17, s13
	v_and_b32_e32 v7, 7, v0
	v_mad_u64_u32 v[2:3], s[16:17], v7, 36, s[16:17]
	s_add_i32 s16, s6, 1
	s_add_i32 s15, s15, s3
	s_mul_i32 s3, s6, s0
	s_mul_i32 s0, s0, s16
	v_mov_b32_e32 v4, s12
	s_add_i32 s3, s15, s3
	s_add_i32 s0, s15, s0
	s_movk_i32 s15, 0x120
	v_mov_b32_e32 v5, s13
	v_mad_u64_u32 v[4:5], s[12:13], v18, s15, v[4:5]
	v_mov_b32_e32 v9, s23
	v_lshlrev_b32_e32 v8, 1, v7
	v_mad_u64_u32 v[4:5], s[12:13], s19, 36, v[4:5]
	v_mov_b32_e32 v6, 0
	v_lshlrev_b32_e32 v19, 3, v18
	v_mad_u64_u32 v[4:5], s[12:13], v7, 36, v[4:5]
	s_mul_i32 s15, s1, 5
	s_lshl_b32 s19, s1, 2
	v_add_co_u32_e32 v4, vcc, s22, v4
	v_addc_co_u32_e32 v5, vcc, v9, v5, vcc
	v_add_co_u32_e32 v4, vcc, 16, v4
	s_mul_i32 s24, s1, 3
	s_lshl_b32 s25, s1, 1
	v_addc_co_u32_e32 v5, vcc, 0, v5, vcc
	s_mov_b64 s[12:13], 0
	v_lshlrev_b32_e32 v20, 1, v8
	v_lshlrev_b32_e32 v21, 1, v7
	s_movk_i32 s22, 0x700
	v_mov_b32_e32 v7, v6
	v_mov_b32_e32 v8, v6
	;; [unrolled: 1-line block ×11, first 2 shown]
.LBB213_2:                              ; =>This Inner Loop Header: Depth=1
	v_add_u32_e32 v22, s3, v18
	v_mad_i64_i32 v[22:23], s[16:17], v22, 50, s[20:21]
	global_load_dword v48, v[4:5], off offset:16
	global_load_dwordx4 v[40:43], v[4:5], off
	global_load_dwordx4 v[44:47], v[4:5], off offset:-16
	s_getpc_b64 s[16:17]
	s_add_u32 s16, s16, _ZL13iq1s_grid_gpu@rel32@lo+4
	s_addc_u32 s17, s17, _ZL13iq1s_grid_gpu@rel32@hi+12
	v_add_co_u32_e32 v24, vcc, v22, v20
	v_addc_co_u32_e32 v25, vcc, 0, v23, vcc
	global_load_dword v28, v[24:25], off offset:2
	v_add_co_u32_e32 v24, vcc, v22, v21
	v_addc_co_u32_e32 v25, vcc, 0, v23, vcc
	global_load_ushort v33, v[24:25], off offset:34
	s_waitcnt vmcnt(2)
	v_cvt_f32_f16_sdwa v49, v44 dst_sel:DWORD dst_unused:UNUSED_PAD src0_sel:WORD_1
	global_load_ushort v22, v[22:23], off
	s_waitcnt vmcnt(2)
	v_and_b32_e32 v24, 0xff, v28
	v_lshrrev_b32_e32 v30, 24, v28
	s_waitcnt vmcnt(1)
	v_lshlrev_b32_e32 v25, 8, v33
	v_and_or_b32 v24, v25, s22, v24
	v_lshlrev_b32_e32 v24, 2, v24
	global_load_dword v25, v24, s[16:17]
	v_lshlrev_b32_e32 v27, 5, v33
	v_lshrrev_b32_e32 v23, 11, v33
	v_and_or_b32 v23, v23, 14, 1
	v_cvt_f32_ubyte0_e32 v23, v23
	s_waitcnt vmcnt(1)
	v_cvt_f32_f16_e32 v22, v22
	s_waitcnt vmcnt(0)
	v_and_b32_e32 v24, 0xf0f0f0f, v25
	v_lshrrev_b32_e32 v25, 4, v25
	v_and_b32_e32 v25, 0xf0f0f0f, v25
	v_dot4_i32_i8 v26, v24, v45, 0
	v_dot4_i32_i8 v29, v25, v46, v26
	v_bfe_u32 v26, v28, 8, 8
	v_and_or_b32 v26, v27, s22, v26
	v_lshlrev_b32_e32 v26, 2, v26
	global_load_dword v27, v26, s[16:17]
	v_bfe_u32 v28, v28, 16, 8
	s_waitcnt vmcnt(0)
	v_and_b32_e32 v26, 0xf0f0f0f, v27
	v_lshrrev_b32_e32 v27, 4, v27
	v_and_b32_e32 v27, 0xf0f0f0f, v27
	v_dot4_i32_i8 v29, v26, v47, v29
	v_dot4_i32_i8 v31, v27, v40, v29
	v_lshlrev_b32_e32 v29, 2, v33
	v_and_or_b32 v28, v29, s22, v28
	v_lshlrev_b32_e32 v28, 2, v28
	global_load_dword v29, v28, s[16:17]
	s_waitcnt vmcnt(0)
	v_and_b32_e32 v28, 0xf0f0f0f, v29
	v_lshrrev_b32_e32 v29, 4, v29
	v_and_b32_e32 v29, 0xf0f0f0f, v29
	v_dot4_i32_i8 v31, v28, v41, v31
	v_dot4_i32_i8 v32, v29, v42, v31
	v_lshrrev_b32_e32 v31, 1, v33
	v_and_or_b32 v30, v31, s22, v30
	v_lshlrev_b32_e32 v30, 2, v30
	global_load_dword v31, v30, s[16:17]
	s_waitcnt vmcnt(0)
	v_and_b32_e32 v30, 0xf0f0f0f, v31
	v_lshrrev_b32_e32 v31, 4, v31
	v_and_b32_e32 v31, 0xf0f0f0f, v31
	v_dot4_i32_i8 v32, v30, v43, v32
	v_dot4_i32_i8 v34, v31, v48, v32
	v_mul_f32_e32 v32, v23, v22
	v_and_b32_e32 v22, 0x8000, v33
	v_cvt_f32_u32_e32 v22, v22
	v_mov_b32_e32 v33, 0xbf600000
	v_fmac_f32_e32 v33, 0xb7000000, v22
	v_cvt_f32_i32_e32 v22, v34
	v_mul_f32_e32 v23, v33, v49
	v_fma_mix_f32 v22, v22, v44, v23 op_sel_hi:[0,1,0]
	v_fmac_f32_e32 v17, v32, v22
	v_add_u32_e32 v22, s0, v18
	v_mad_i64_i32 v[22:23], s[26:27], v22, 50, s[20:21]
	v_add_u32_e32 v18, 8, v18
	v_add_co_u32_e32 v34, vcc, v22, v20
	v_addc_co_u32_e32 v35, vcc, 0, v23, vcc
	global_load_dword v37, v[34:35], off offset:2
	v_add_co_u32_e32 v34, vcc, v22, v21
	v_addc_co_u32_e32 v35, vcc, 0, v23, vcc
	global_load_ushort v51, v[34:35], off offset:34
	v_add_co_u32_e32 v4, vcc, 0x900, v4
	global_load_ushort v22, v[22:23], off
	v_addc_co_u32_e32 v5, vcc, 0, v5, vcc
	v_cmp_le_u32_e32 vcc, s9, v18
	s_or_b64 s[12:13], vcc, s[12:13]
	s_waitcnt vmcnt(2)
	v_and_b32_e32 v34, 0xff, v37
	v_lshrrev_b32_e32 v50, 24, v37
	s_waitcnt vmcnt(1)
	v_lshlrev_b32_e32 v35, 8, v51
	v_and_or_b32 v34, v35, s22, v34
	v_lshlrev_b32_e32 v34, 2, v34
	global_load_dword v35, v34, s[16:17]
	v_lshlrev_b32_e32 v39, 5, v51
	s_waitcnt vmcnt(1)
	v_cvt_f32_f16_e32 v22, v22
	v_lshrrev_b32_e32 v23, 11, v51
	v_and_or_b32 v23, v23, 14, 1
	v_cvt_f32_ubyte0_e32 v23, v23
	v_mul_f32_e32 v22, v23, v22
	v_and_b32_e32 v23, 0x8000, v51
	s_waitcnt vmcnt(0)
	v_and_b32_e32 v34, 0xf0f0f0f, v35
	v_lshrrev_b32_e32 v35, 4, v35
	v_and_b32_e32 v36, 0xf0f0f0f, v35
	v_dot4_i32_i8 v35, v34, v45, 0
	v_dot4_i32_i8 v38, v36, v46, v35
	v_bfe_u32 v35, v37, 8, 8
	v_and_or_b32 v35, v39, s22, v35
	v_lshlrev_b32_e32 v35, 2, v35
	global_load_dword v35, v35, s[16:17]
	v_bfe_u32 v37, v37, 16, 8
	s_waitcnt vmcnt(0)
	v_and_b32_e32 v39, 0xf0f0f0f, v35
	v_lshrrev_b32_e32 v35, 4, v35
	v_and_b32_e32 v35, 0xf0f0f0f, v35
	v_dot4_i32_i8 v38, v39, v47, v38
	v_dot4_i32_i8 v40, v35, v40, v38
	v_lshlrev_b32_e32 v38, 2, v51
	v_and_or_b32 v37, v38, s22, v37
	v_lshlrev_b32_e32 v37, 2, v37
	global_load_dword v37, v37, s[16:17]
	s_waitcnt vmcnt(0)
	v_and_b32_e32 v38, 0xf0f0f0f, v37
	v_lshrrev_b32_e32 v37, 4, v37
	v_and_b32_e32 v37, 0xf0f0f0f, v37
	v_dot4_i32_i8 v40, v38, v41, v40
	v_dot4_i32_i8 v42, v37, v42, v40
	v_lshrrev_b32_e32 v40, 1, v51
	v_and_or_b32 v40, v40, s22, v50
	v_lshlrev_b32_e32 v40, 2, v40
	global_load_dword v41, v40, s[16:17]
	s_waitcnt vmcnt(0)
	v_and_b32_e32 v40, 0xf0f0f0f, v41
	v_lshrrev_b32_e32 v41, 4, v41
	v_and_b32_e32 v41, 0xf0f0f0f, v41
	v_dot4_i32_i8 v42, v40, v43, v42
	v_cvt_f32_u32_e32 v43, v23
	v_dot4_i32_i8 v42, v41, v48, v42
	v_cvt_f32_i32_e32 v42, v42
	v_mov_b32_e32 v23, 0xbf600000
	v_fmac_f32_e32 v23, 0xb7000000, v43
	v_mul_f32_e32 v43, v23, v49
	v_fma_mix_f32 v42, v42, v44, v43 op_sel_hi:[0,1,0]
	v_fmac_f32_e32 v16, v22, v42
	v_add_u32_e32 v42, s1, v19
	v_mad_u64_u32 v[50:51], s[16:17], v42, 36, v[2:3]
	global_load_dword v52, v[50:51], off offset:32
	global_load_dwordx4 v[42:45], v[50:51], off offset:16
	global_load_dwordx4 v[46:49], v[50:51], off
	s_waitcnt vmcnt(0)
	v_dot4_i32_i8 v51, v24, v47, 0
	v_dot4_i32_i8 v47, v34, v47, 0
	v_dot4_i32_i8 v51, v25, v48, v51
	v_dot4_i32_i8 v47, v36, v48, v47
	v_dot4_i32_i8 v51, v26, v49, v51
	v_dot4_i32_i8 v47, v39, v49, v47
	v_dot4_i32_i8 v51, v27, v42, v51
	v_dot4_i32_i8 v42, v35, v42, v47
	v_dot4_i32_i8 v42, v38, v43, v42
	v_dot4_i32_i8 v51, v28, v43, v51
	v_dot4_i32_i8 v42, v37, v44, v42
	v_dot4_i32_i8 v51, v29, v44, v51
	v_dot4_i32_i8 v42, v40, v45, v42
	v_cvt_f32_f16_sdwa v50, v46 dst_sel:DWORD dst_unused:UNUSED_PAD src0_sel:WORD_1
	v_dot4_i32_i8 v51, v30, v45, v51
	v_dot4_i32_i8 v42, v41, v52, v42
	v_dot4_i32_i8 v51, v31, v52, v51
	v_cvt_f32_i32_e32 v42, v42
	v_cvt_f32_i32_e32 v51, v51
	v_mul_f32_e32 v43, v23, v50
	v_mul_f32_e32 v53, v33, v50
	v_fma_mix_f32 v42, v42, v46, v43 op_sel_hi:[0,1,0]
	v_fma_mix_f32 v51, v51, v46, v53 op_sel_hi:[0,1,0]
	v_fmac_f32_e32 v14, v22, v42
	v_add_u32_e32 v42, s25, v19
	v_fmac_f32_e32 v15, v32, v51
	v_mad_u64_u32 v[50:51], s[16:17], v42, 36, v[2:3]
	global_load_dword v52, v[50:51], off offset:32
	global_load_dwordx4 v[42:45], v[50:51], off offset:16
	global_load_dwordx4 v[46:49], v[50:51], off
	s_waitcnt vmcnt(0)
	v_dot4_i32_i8 v51, v24, v47, 0
	v_dot4_i32_i8 v47, v34, v47, 0
	v_dot4_i32_i8 v51, v25, v48, v51
	v_dot4_i32_i8 v47, v36, v48, v47
	v_dot4_i32_i8 v51, v26, v49, v51
	v_dot4_i32_i8 v47, v39, v49, v47
	v_dot4_i32_i8 v51, v27, v42, v51
	v_dot4_i32_i8 v42, v35, v42, v47
	v_dot4_i32_i8 v42, v38, v43, v42
	v_dot4_i32_i8 v51, v28, v43, v51
	v_dot4_i32_i8 v42, v37, v44, v42
	v_dot4_i32_i8 v51, v29, v44, v51
	v_dot4_i32_i8 v42, v40, v45, v42
	v_cvt_f32_f16_sdwa v50, v46 dst_sel:DWORD dst_unused:UNUSED_PAD src0_sel:WORD_1
	v_dot4_i32_i8 v51, v30, v45, v51
	v_dot4_i32_i8 v42, v41, v52, v42
	v_dot4_i32_i8 v51, v31, v52, v51
	v_cvt_f32_i32_e32 v42, v42
	v_cvt_f32_i32_e32 v51, v51
	v_mul_f32_e32 v43, v23, v50
	v_mul_f32_e32 v53, v33, v50
	v_fma_mix_f32 v42, v42, v46, v43 op_sel_hi:[0,1,0]
	v_fma_mix_f32 v51, v51, v46, v53 op_sel_hi:[0,1,0]
	v_fmac_f32_e32 v12, v22, v42
	v_add_u32_e32 v42, s24, v19
	v_fmac_f32_e32 v13, v32, v51
	;; [unrolled: 31-line block ×4, first 2 shown]
	v_mad_u64_u32 v[50:51], s[16:17], v42, 36, v[2:3]
	global_load_dword v52, v[50:51], off offset:32
	global_load_dwordx4 v[42:45], v[50:51], off offset:16
	global_load_dwordx4 v[46:49], v[50:51], off
	v_add_u32_e32 v19, 64, v19
	s_waitcnt vmcnt(0)
	v_dot4_i32_i8 v24, v24, v47, 0
	v_dot4_i32_i8 v24, v25, v48, v24
	;; [unrolled: 1-line block ×7, first 2 shown]
	v_cvt_f32_f16_sdwa v50, v46 dst_sel:DWORD dst_unused:UNUSED_PAD src0_sel:WORD_1
	v_dot4_i32_i8 v24, v31, v52, v24
	v_cvt_f32_i32_e32 v24, v24
	v_mul_f32_e32 v25, v33, v50
	v_mul_f32_e32 v23, v23, v50
	v_fma_mix_f32 v24, v24, v46, v25 op_sel_hi:[0,1,0]
	v_fmac_f32_e32 v7, v32, v24
	v_dot4_i32_i8 v24, v34, v47, 0
	v_dot4_i32_i8 v24, v36, v48, v24
	;; [unrolled: 1-line block ×8, first 2 shown]
	v_cvt_f32_i32_e32 v24, v24
	v_fma_mix_f32 v23, v24, v46, v23 op_sel_hi:[0,1,0]
	v_fmac_f32_e32 v6, v22, v23
	s_andn2_b64 exec, exec, s[12:13]
	s_cbranch_execnz .LBB213_2
; %bb.3:
	s_or_b64 exec, exec, s[12:13]
.LBB213_4:
	s_or_b64 exec, exec, s[10:11]
	s_mov_b32 s1, 0
	v_cmp_eq_u32_e32 vcc, 0, v1
	; wave barrier
	s_and_saveexec_b64 s[10:11], vcc
	s_cbranch_execz .LBB213_17
; %bb.5:
	v_mbcnt_lo_u32_b32 v1, -1, 0
	v_mbcnt_hi_u32_b32 v18, -1, v1
	v_and_b32_e32 v1, 64, v18
	v_add_u32_e32 v19, 64, v1
	v_xor_b32_e32 v1, 32, v18
	v_cmp_lt_i32_e32 vcc, v1, v19
	v_cndmask_b32_e32 v1, v18, v1, vcc
	v_lshlrev_b32_e32 v1, 2, v1
	ds_bpermute_b32 v5, v1, v17
	ds_bpermute_b32 v20, v1, v16
	v_xor_b32_e32 v2, 16, v18
	v_cmp_lt_i32_e32 vcc, v2, v19
	v_cndmask_b32_e32 v2, v18, v2, vcc
	v_lshlrev_b32_e32 v2, 2, v2
	s_waitcnt lgkmcnt(1)
	v_add_f32_e32 v5, v17, v5
	s_waitcnt lgkmcnt(0)
	v_add_f32_e32 v16, v16, v20
	ds_bpermute_b32 v17, v2, v5
	ds_bpermute_b32 v20, v2, v16
	v_xor_b32_e32 v3, 8, v18
	v_cmp_lt_i32_e32 vcc, v3, v19
	v_cndmask_b32_e32 v3, v18, v3, vcc
	v_lshlrev_b32_e32 v3, 2, v3
	s_waitcnt lgkmcnt(1)
	v_add_f32_e32 v17, v5, v17
	s_waitcnt lgkmcnt(0)
	v_add_f32_e32 v16, v16, v20
	;; [unrolled: 10-line block ×3, first 2 shown]
	ds_bpermute_b32 v22, v4, v17
	ds_bpermute_b32 v20, v4, v16
	v_xor_b32_e32 v21, 2, v18
	v_cmp_lt_i32_e32 vcc, v21, v19
	v_cndmask_b32_e32 v21, v18, v21, vcc
	v_lshlrev_b32_e32 v5, 2, v21
	v_xor_b32_e32 v21, 1, v18
	s_waitcnt lgkmcnt(1)
	v_add_f32_e32 v17, v17, v22
	s_waitcnt lgkmcnt(0)
	v_add_f32_e32 v16, v16, v20
	v_cmp_lt_i32_e32 vcc, v21, v19
	ds_bpermute_b32 v19, v5, v17
	ds_bpermute_b32 v20, v5, v16
	s_load_dwordx2 s[4:5], s[4:5], 0x38
	v_cndmask_b32_e32 v18, v18, v21, vcc
	s_mul_i32 s3, s14, s7
	v_lshlrev_b32_e32 v18, 2, v18
	s_waitcnt lgkmcnt(0)
	v_add_f32_e32 v17, v17, v19
	v_add_f32_e32 v20, v16, v20
	s_mul_i32 s0, s18, s8
	s_add_i32 s3, s3, s6
	ds_bpermute_b32 v19, v18, v17
	ds_bpermute_b32 v21, v18, v20
	s_add_i32 s0, s3, s0
	s_lshl_b64 s[0:1], s[0:1], 2
	s_add_u32 s4, s4, s0
	v_add_u32_e32 v16, s6, v0
	s_addc_u32 s5, s5, s1
	v_cmp_gt_u32_e32 vcc, 2, v0
	v_cmp_gt_u32_e64 s[0:1], s2, v16
	s_and_b64 s[0:1], vcc, s[0:1]
	s_waitcnt lgkmcnt(1)
	v_add_f32_e32 v16, v17, v19
	s_waitcnt lgkmcnt(0)
	v_add_f32_e32 v17, v20, v21
	s_and_saveexec_b64 s[6:7], s[0:1]
	s_cbranch_execz .LBB213_7
; %bb.6:
	v_cmp_eq_u32_e32 vcc, 1, v0
	v_cndmask_b32_e32 v19, v16, v17, vcc
	v_cmp_eq_u32_e32 vcc, 2, v0
	v_cndmask_b32_e32 v19, v19, v15, vcc
	;; [unrolled: 2-line block ×11, first 2 shown]
	v_lshlrev_b32_e32 v20, 2, v0
	global_store_dword v20, v19, s[4:5]
.LBB213_7:
	s_or_b64 exec, exec, s[6:7]
	ds_bpermute_b32 v19, v1, v15
	ds_bpermute_b32 v20, v1, v14
	s_waitcnt lgkmcnt(1)
	v_add_f32_e32 v15, v15, v19
	s_waitcnt lgkmcnt(0)
	v_add_f32_e32 v14, v14, v20
	ds_bpermute_b32 v19, v2, v15
	ds_bpermute_b32 v20, v2, v14
	s_waitcnt lgkmcnt(1)
	v_add_f32_e32 v15, v15, v19
	s_waitcnt lgkmcnt(0)
	v_add_f32_e32 v14, v14, v20
	;; [unrolled: 6-line block ×6, first 2 shown]
	s_and_saveexec_b64 s[6:7], s[0:1]
	s_cbranch_execz .LBB213_9
; %bb.8:
	v_add_u32_e32 v19, 2, v0
	v_cmp_eq_u32_e32 vcc, 1, v19
	v_cndmask_b32_e32 v20, v16, v17, vcc
	v_cmp_eq_u32_e32 vcc, 2, v19
	v_cndmask_b32_e32 v20, v20, v15, vcc
	;; [unrolled: 2-line block ×11, first 2 shown]
	v_add_u32_e32 v19, s2, v0
	v_mov_b32_e32 v20, 0
	v_lshlrev_b64 v[19:20], 2, v[19:20]
	v_mov_b32_e32 v22, s5
	v_add_co_u32_e32 v19, vcc, s4, v19
	v_addc_co_u32_e32 v20, vcc, v22, v20, vcc
	global_store_dword v[19:20], v21, off
.LBB213_9:
	s_or_b64 exec, exec, s[6:7]
	ds_bpermute_b32 v19, v1, v13
	ds_bpermute_b32 v20, v1, v12
	s_waitcnt lgkmcnt(1)
	v_add_f32_e32 v13, v13, v19
	s_waitcnt lgkmcnt(0)
	v_add_f32_e32 v12, v12, v20
	ds_bpermute_b32 v19, v2, v13
	ds_bpermute_b32 v20, v2, v12
	s_waitcnt lgkmcnt(1)
	v_add_f32_e32 v13, v13, v19
	s_waitcnt lgkmcnt(0)
	v_add_f32_e32 v12, v12, v20
	;; [unrolled: 6-line block ×6, first 2 shown]
	s_and_saveexec_b64 s[6:7], s[0:1]
	s_cbranch_execz .LBB213_11
; %bb.10:
	v_add_u32_e32 v19, 4, v0
	v_cmp_eq_u32_e32 vcc, 1, v19
	v_cndmask_b32_e32 v20, v16, v17, vcc
	v_cmp_eq_u32_e32 vcc, 2, v19
	v_cndmask_b32_e32 v20, v20, v15, vcc
	;; [unrolled: 2-line block ×11, first 2 shown]
	v_lshl_or_b32 v19, s2, 1, v0
	v_mov_b32_e32 v20, 0
	v_lshlrev_b64 v[19:20], 2, v[19:20]
	v_mov_b32_e32 v22, s5
	v_add_co_u32_e32 v19, vcc, s4, v19
	v_addc_co_u32_e32 v20, vcc, v22, v20, vcc
	global_store_dword v[19:20], v21, off
.LBB213_11:
	s_or_b64 exec, exec, s[6:7]
	ds_bpermute_b32 v19, v1, v11
	ds_bpermute_b32 v20, v1, v10
	s_waitcnt lgkmcnt(1)
	v_add_f32_e32 v11, v11, v19
	s_waitcnt lgkmcnt(0)
	v_add_f32_e32 v10, v10, v20
	ds_bpermute_b32 v19, v2, v11
	ds_bpermute_b32 v20, v2, v10
	s_waitcnt lgkmcnt(1)
	v_add_f32_e32 v11, v11, v19
	s_waitcnt lgkmcnt(0)
	v_add_f32_e32 v10, v10, v20
	;; [unrolled: 6-line block ×6, first 2 shown]
	s_and_saveexec_b64 s[6:7], s[0:1]
	s_cbranch_execz .LBB213_13
; %bb.12:
	v_add_u32_e32 v21, 6, v0
	v_cmp_eq_u32_e32 vcc, 1, v21
	v_cndmask_b32_e32 v19, v16, v17, vcc
	v_cmp_eq_u32_e32 vcc, 2, v21
	v_cndmask_b32_e32 v19, v19, v15, vcc
	;; [unrolled: 2-line block ×10, first 2 shown]
	v_mad_u64_u32 v[19:20], s[8:9], s2, 3, v[0:1]
	v_mov_b32_e32 v20, 0
	v_cmp_eq_u32_e32 vcc, 11, v21
	v_lshlrev_b64 v[19:20], 2, v[19:20]
	v_cndmask_b32_e32 v21, v22, v6, vcc
	v_mov_b32_e32 v22, s5
	v_add_co_u32_e32 v19, vcc, s4, v19
	v_addc_co_u32_e32 v20, vcc, v22, v20, vcc
	global_store_dword v[19:20], v21, off
.LBB213_13:
	s_or_b64 exec, exec, s[6:7]
	ds_bpermute_b32 v19, v1, v9
	ds_bpermute_b32 v20, v1, v8
	s_waitcnt lgkmcnt(1)
	v_add_f32_e32 v9, v9, v19
	s_waitcnt lgkmcnt(0)
	v_add_f32_e32 v8, v8, v20
	ds_bpermute_b32 v19, v2, v9
	ds_bpermute_b32 v20, v2, v8
	s_waitcnt lgkmcnt(1)
	v_add_f32_e32 v9, v9, v19
	s_waitcnt lgkmcnt(0)
	v_add_f32_e32 v8, v8, v20
	;; [unrolled: 6-line block ×6, first 2 shown]
	s_and_saveexec_b64 s[6:7], s[0:1]
	s_cbranch_execz .LBB213_15
; %bb.14:
	v_add_u32_e32 v19, 8, v0
	v_cmp_eq_u32_e32 vcc, 1, v19
	v_cndmask_b32_e32 v20, v16, v17, vcc
	v_cmp_eq_u32_e32 vcc, 2, v19
	v_cndmask_b32_e32 v20, v20, v15, vcc
	;; [unrolled: 2-line block ×11, first 2 shown]
	v_lshl_or_b32 v19, s2, 2, v0
	v_mov_b32_e32 v20, 0
	v_lshlrev_b64 v[19:20], 2, v[19:20]
	v_mov_b32_e32 v22, s5
	v_add_co_u32_e32 v19, vcc, s4, v19
	v_addc_co_u32_e32 v20, vcc, v22, v20, vcc
	global_store_dword v[19:20], v21, off
.LBB213_15:
	s_or_b64 exec, exec, s[6:7]
	ds_bpermute_b32 v19, v1, v7
	ds_bpermute_b32 v1, v1, v6
	s_waitcnt lgkmcnt(1)
	v_add_f32_e32 v7, v7, v19
	s_waitcnt lgkmcnt(0)
	v_add_f32_e32 v1, v6, v1
	ds_bpermute_b32 v6, v2, v7
	ds_bpermute_b32 v2, v2, v1
	s_waitcnt lgkmcnt(1)
	v_add_f32_e32 v6, v7, v6
	s_waitcnt lgkmcnt(0)
	v_add_f32_e32 v1, v1, v2
	;; [unrolled: 6-line block ×5, first 2 shown]
	ds_bpermute_b32 v3, v18, v1
	ds_bpermute_b32 v4, v18, v2
	s_and_b64 exec, exec, s[0:1]
	s_cbranch_execz .LBB213_17
; %bb.16:
	s_waitcnt lgkmcnt(1)
	v_add_f32_e32 v1, v1, v3
	v_add_u32_e32 v3, 10, v0
	v_cmp_eq_u32_e32 vcc, 1, v3
	s_waitcnt lgkmcnt(0)
	v_add_f32_e32 v2, v2, v4
	v_cndmask_b32_e32 v4, v16, v17, vcc
	v_cmp_eq_u32_e32 vcc, 2, v3
	v_cndmask_b32_e32 v4, v4, v15, vcc
	v_cmp_eq_u32_e32 vcc, 3, v3
	;; [unrolled: 2-line block ×9, first 2 shown]
	v_cndmask_b32_e32 v4, v4, v1, vcc
	v_mad_u64_u32 v[0:1], s[0:1], s2, 5, v[0:1]
	v_mov_b32_e32 v1, 0
	v_cmp_eq_u32_e32 vcc, 11, v3
	v_lshlrev_b64 v[0:1], 2, v[0:1]
	v_cndmask_b32_e32 v2, v4, v2, vcc
	v_mov_b32_e32 v3, s5
	v_add_co_u32_e32 v0, vcc, s4, v0
	v_addc_co_u32_e32 v1, vcc, v3, v1, vcc
	global_store_dword v[0:1], v2, off
.LBB213_17:
	s_endpgm
	.section	.rodata,"a",@progbits
	.p2align	6, 0x0
	.amdhsa_kernel _ZL13mul_mat_vec_qIL9ggml_type19ELi6ELb0ELb0EEvPKvS2_PKi31ggml_cuda_mm_fusion_args_devicePfj15HIP_vector_typeIjLj3EEjjjS8_jjjS8_jjjj
		.amdhsa_group_segment_fixed_size 0
		.amdhsa_private_segment_fixed_size 0
		.amdhsa_kernarg_size 144
		.amdhsa_user_sgpr_count 6
		.amdhsa_user_sgpr_private_segment_buffer 1
		.amdhsa_user_sgpr_dispatch_ptr 0
		.amdhsa_user_sgpr_queue_ptr 0
		.amdhsa_user_sgpr_kernarg_segment_ptr 1
		.amdhsa_user_sgpr_dispatch_id 0
		.amdhsa_user_sgpr_flat_scratch_init 0
		.amdhsa_user_sgpr_private_segment_size 0
		.amdhsa_uses_dynamic_stack 0
		.amdhsa_system_sgpr_private_segment_wavefront_offset 0
		.amdhsa_system_sgpr_workgroup_id_x 1
		.amdhsa_system_sgpr_workgroup_id_y 1
		.amdhsa_system_sgpr_workgroup_id_z 1
		.amdhsa_system_sgpr_workgroup_info 0
		.amdhsa_system_vgpr_workitem_id 1
		.amdhsa_next_free_vgpr 54
		.amdhsa_next_free_sgpr 28
		.amdhsa_reserve_vcc 1
		.amdhsa_reserve_flat_scratch 0
		.amdhsa_float_round_mode_32 0
		.amdhsa_float_round_mode_16_64 0
		.amdhsa_float_denorm_mode_32 3
		.amdhsa_float_denorm_mode_16_64 3
		.amdhsa_dx10_clamp 1
		.amdhsa_ieee_mode 1
		.amdhsa_fp16_overflow 0
		.amdhsa_exception_fp_ieee_invalid_op 0
		.amdhsa_exception_fp_denorm_src 0
		.amdhsa_exception_fp_ieee_div_zero 0
		.amdhsa_exception_fp_ieee_overflow 0
		.amdhsa_exception_fp_ieee_underflow 0
		.amdhsa_exception_fp_ieee_inexact 0
		.amdhsa_exception_int_div_zero 0
	.end_amdhsa_kernel
	.section	.text._ZL13mul_mat_vec_qIL9ggml_type19ELi6ELb0ELb0EEvPKvS2_PKi31ggml_cuda_mm_fusion_args_devicePfj15HIP_vector_typeIjLj3EEjjjS8_jjjS8_jjjj,"axG",@progbits,_ZL13mul_mat_vec_qIL9ggml_type19ELi6ELb0ELb0EEvPKvS2_PKi31ggml_cuda_mm_fusion_args_devicePfj15HIP_vector_typeIjLj3EEjjjS8_jjjS8_jjjj,comdat
.Lfunc_end213:
	.size	_ZL13mul_mat_vec_qIL9ggml_type19ELi6ELb0ELb0EEvPKvS2_PKi31ggml_cuda_mm_fusion_args_devicePfj15HIP_vector_typeIjLj3EEjjjS8_jjjS8_jjjj, .Lfunc_end213-_ZL13mul_mat_vec_qIL9ggml_type19ELi6ELb0ELb0EEvPKvS2_PKi31ggml_cuda_mm_fusion_args_devicePfj15HIP_vector_typeIjLj3EEjjjS8_jjjS8_jjjj
                                        ; -- End function
	.set _ZL13mul_mat_vec_qIL9ggml_type19ELi6ELb0ELb0EEvPKvS2_PKi31ggml_cuda_mm_fusion_args_devicePfj15HIP_vector_typeIjLj3EEjjjS8_jjjS8_jjjj.num_vgpr, 54
	.set _ZL13mul_mat_vec_qIL9ggml_type19ELi6ELb0ELb0EEvPKvS2_PKi31ggml_cuda_mm_fusion_args_devicePfj15HIP_vector_typeIjLj3EEjjjS8_jjjS8_jjjj.num_agpr, 0
	.set _ZL13mul_mat_vec_qIL9ggml_type19ELi6ELb0ELb0EEvPKvS2_PKi31ggml_cuda_mm_fusion_args_devicePfj15HIP_vector_typeIjLj3EEjjjS8_jjjS8_jjjj.numbered_sgpr, 28
	.set _ZL13mul_mat_vec_qIL9ggml_type19ELi6ELb0ELb0EEvPKvS2_PKi31ggml_cuda_mm_fusion_args_devicePfj15HIP_vector_typeIjLj3EEjjjS8_jjjS8_jjjj.num_named_barrier, 0
	.set _ZL13mul_mat_vec_qIL9ggml_type19ELi6ELb0ELb0EEvPKvS2_PKi31ggml_cuda_mm_fusion_args_devicePfj15HIP_vector_typeIjLj3EEjjjS8_jjjS8_jjjj.private_seg_size, 0
	.set _ZL13mul_mat_vec_qIL9ggml_type19ELi6ELb0ELb0EEvPKvS2_PKi31ggml_cuda_mm_fusion_args_devicePfj15HIP_vector_typeIjLj3EEjjjS8_jjjS8_jjjj.uses_vcc, 1
	.set _ZL13mul_mat_vec_qIL9ggml_type19ELi6ELb0ELb0EEvPKvS2_PKi31ggml_cuda_mm_fusion_args_devicePfj15HIP_vector_typeIjLj3EEjjjS8_jjjS8_jjjj.uses_flat_scratch, 0
	.set _ZL13mul_mat_vec_qIL9ggml_type19ELi6ELb0ELb0EEvPKvS2_PKi31ggml_cuda_mm_fusion_args_devicePfj15HIP_vector_typeIjLj3EEjjjS8_jjjS8_jjjj.has_dyn_sized_stack, 0
	.set _ZL13mul_mat_vec_qIL9ggml_type19ELi6ELb0ELb0EEvPKvS2_PKi31ggml_cuda_mm_fusion_args_devicePfj15HIP_vector_typeIjLj3EEjjjS8_jjjS8_jjjj.has_recursion, 0
	.set _ZL13mul_mat_vec_qIL9ggml_type19ELi6ELb0ELb0EEvPKvS2_PKi31ggml_cuda_mm_fusion_args_devicePfj15HIP_vector_typeIjLj3EEjjjS8_jjjS8_jjjj.has_indirect_call, 0
	.section	.AMDGPU.csdata,"",@progbits
; Kernel info:
; codeLenInByte = 4584
; TotalNumSgprs: 32
; NumVgprs: 54
; ScratchSize: 0
; MemoryBound: 0
; FloatMode: 240
; IeeeMode: 1
; LDSByteSize: 0 bytes/workgroup (compile time only)
; SGPRBlocks: 3
; VGPRBlocks: 13
; NumSGPRsForWavesPerEU: 32
; NumVGPRsForWavesPerEU: 54
; Occupancy: 4
; WaveLimiterHint : 0
; COMPUTE_PGM_RSRC2:SCRATCH_EN: 0
; COMPUTE_PGM_RSRC2:USER_SGPR: 6
; COMPUTE_PGM_RSRC2:TRAP_HANDLER: 0
; COMPUTE_PGM_RSRC2:TGID_X_EN: 1
; COMPUTE_PGM_RSRC2:TGID_Y_EN: 1
; COMPUTE_PGM_RSRC2:TGID_Z_EN: 1
; COMPUTE_PGM_RSRC2:TIDIG_COMP_CNT: 1
	.section	.text._ZL13mul_mat_vec_qIL9ggml_type19ELi7ELb0ELb0EEvPKvS2_PKi31ggml_cuda_mm_fusion_args_devicePfj15HIP_vector_typeIjLj3EEjjjS8_jjjS8_jjjj,"axG",@progbits,_ZL13mul_mat_vec_qIL9ggml_type19ELi7ELb0ELb0EEvPKvS2_PKi31ggml_cuda_mm_fusion_args_devicePfj15HIP_vector_typeIjLj3EEjjjS8_jjjS8_jjjj,comdat
	.globl	_ZL13mul_mat_vec_qIL9ggml_type19ELi7ELb0ELb0EEvPKvS2_PKi31ggml_cuda_mm_fusion_args_devicePfj15HIP_vector_typeIjLj3EEjjjS8_jjjS8_jjjj ; -- Begin function _ZL13mul_mat_vec_qIL9ggml_type19ELi7ELb0ELb0EEvPKvS2_PKi31ggml_cuda_mm_fusion_args_devicePfj15HIP_vector_typeIjLj3EEjjjS8_jjjS8_jjjj
	.p2align	8
	.type	_ZL13mul_mat_vec_qIL9ggml_type19ELi7ELb0ELb0EEvPKvS2_PKi31ggml_cuda_mm_fusion_args_devicePfj15HIP_vector_typeIjLj3EEjjjS8_jjjS8_jjjj,@function
_ZL13mul_mat_vec_qIL9ggml_type19ELi7ELb0ELb0EEvPKvS2_PKi31ggml_cuda_mm_fusion_args_devicePfj15HIP_vector_typeIjLj3EEjjjS8_jjjS8_jjjj: ; @_ZL13mul_mat_vec_qIL9ggml_type19ELi7ELb0ELb0EEvPKvS2_PKi31ggml_cuda_mm_fusion_args_devicePfj15HIP_vector_typeIjLj3EEjjjS8_jjjS8_jjjj
; %bb.0:
	s_load_dword s9, s[4:5], 0x40
	s_load_dwordx4 s[0:3], s[4:5], 0x50
	s_load_dword s25, s[4:5], 0x60
	s_load_dwordx4 s[12:15], s[4:5], 0x68
	;; [unrolled: 2-line block ×3, first 2 shown]
	v_lshl_or_b32 v2, v1, 6, v0
	s_waitcnt lgkmcnt(0)
	s_lshr_b32 s9, s9, 8
	v_lshrrev_b32_e32 v20, 3, v2
	s_lshl_b32 s6, s6, 1
	v_cmp_gt_u32_e32 vcc, s9, v20
	v_mov_b32_e32 v6, 0
	v_mov_b32_e32 v7, 0
	;; [unrolled: 1-line block ×14, first 2 shown]
	s_and_saveexec_b64 s[10:11], vcc
	s_cbranch_execz .LBB214_4
; %bb.1:
	s_mul_hi_u32 s3, s3, s7
	s_add_i32 s3, s7, s3
	s_load_dwordx4 s[20:23], s[4:5], 0x0
	s_lshr_b32 s3, s3, s25
	s_mul_i32 s3, s3, s12
	s_mul_hi_u32 s12, s15, s8
	s_add_i32 s12, s8, s12
	s_lshr_b32 s12, s12, s24
	s_mul_i32 s24, s17, s8
	s_mul_i32 s15, s12, s16
	;; [unrolled: 1-line block ×3, first 2 shown]
	s_mul_hi_u32 s12, s24, 36
	s_waitcnt lgkmcnt(0)
	s_add_u32 s16, s22, s16
	s_addc_u32 s17, s23, s12
	s_mul_i32 s12, s13, s7
	s_mul_hi_u32 s13, s12, 36
	s_mul_i32 s12, s12, 36
	s_add_u32 s16, s16, s12
	s_addc_u32 s17, s17, s13
	v_and_b32_e32 v7, 7, v0
	v_mad_u64_u32 v[2:3], s[16:17], v7, 36, s[16:17]
	s_add_i32 s16, s6, 1
	s_add_i32 s15, s15, s3
	s_mul_i32 s3, s6, s0
	s_mul_i32 s0, s0, s16
	v_mov_b32_e32 v4, s12
	s_add_i32 s3, s15, s3
	s_add_i32 s0, s15, s0
	s_movk_i32 s15, 0x120
	v_mov_b32_e32 v5, s13
	v_mad_u64_u32 v[4:5], s[12:13], v20, s15, v[4:5]
	v_mov_b32_e32 v9, s23
	v_lshlrev_b32_e32 v8, 1, v7
	v_mad_u64_u32 v[4:5], s[12:13], s24, 36, v[4:5]
	v_mov_b32_e32 v6, 0
	v_lshlrev_b32_e32 v21, 3, v20
	v_mad_u64_u32 v[4:5], s[12:13], v7, 36, v[4:5]
	s_mul_i32 s15, s1, 6
	s_mul_i32 s19, s1, 5
	v_add_co_u32_e32 v4, vcc, s22, v4
	v_addc_co_u32_e32 v5, vcc, v9, v5, vcc
	v_add_co_u32_e32 v4, vcc, 16, v4
	s_lshl_b32 s24, s1, 2
	s_mul_i32 s25, s1, 3
	s_lshl_b32 s26, s1, 1
	v_addc_co_u32_e32 v5, vcc, 0, v5, vcc
	s_mov_b64 s[12:13], 0
	v_lshlrev_b32_e32 v22, 1, v8
	v_lshlrev_b32_e32 v23, 1, v7
	s_movk_i32 s22, 0x700
	v_mov_b32_e32 v7, 0
	v_mov_b32_e32 v8, 0
	;; [unrolled: 1-line block ×13, first 2 shown]
.LBB214_2:                              ; =>This Inner Loop Header: Depth=1
	v_add_u32_e32 v24, s3, v20
	v_mad_i64_i32 v[24:25], s[16:17], v24, 50, s[20:21]
	global_load_dword v50, v[4:5], off offset:16
	global_load_dwordx4 v[42:45], v[4:5], off
	global_load_dwordx4 v[46:49], v[4:5], off offset:-16
	s_getpc_b64 s[16:17]
	s_add_u32 s16, s16, _ZL13iq1s_grid_gpu@rel32@lo+4
	s_addc_u32 s17, s17, _ZL13iq1s_grid_gpu@rel32@hi+12
	v_add_co_u32_e32 v26, vcc, v24, v22
	v_addc_co_u32_e32 v27, vcc, 0, v25, vcc
	global_load_dword v30, v[26:27], off offset:2
	v_add_co_u32_e32 v26, vcc, v24, v23
	v_addc_co_u32_e32 v27, vcc, 0, v25, vcc
	global_load_ushort v35, v[26:27], off offset:34
	s_waitcnt vmcnt(2)
	v_cvt_f32_f16_sdwa v51, v46 dst_sel:DWORD dst_unused:UNUSED_PAD src0_sel:WORD_1
	global_load_ushort v24, v[24:25], off
	s_waitcnt vmcnt(2)
	v_and_b32_e32 v26, 0xff, v30
	v_lshrrev_b32_e32 v32, 24, v30
	s_waitcnt vmcnt(1)
	v_lshlrev_b32_e32 v27, 8, v35
	v_and_or_b32 v26, v27, s22, v26
	v_lshlrev_b32_e32 v26, 2, v26
	global_load_dword v27, v26, s[16:17]
	v_lshlrev_b32_e32 v29, 5, v35
	v_lshrrev_b32_e32 v25, 11, v35
	v_and_or_b32 v25, v25, 14, 1
	v_cvt_f32_ubyte0_e32 v25, v25
	s_waitcnt vmcnt(1)
	v_cvt_f32_f16_e32 v24, v24
	s_waitcnt vmcnt(0)
	v_and_b32_e32 v26, 0xf0f0f0f, v27
	v_lshrrev_b32_e32 v27, 4, v27
	v_and_b32_e32 v27, 0xf0f0f0f, v27
	v_dot4_i32_i8 v28, v26, v47, 0
	v_dot4_i32_i8 v31, v27, v48, v28
	v_bfe_u32 v28, v30, 8, 8
	v_and_or_b32 v28, v29, s22, v28
	v_lshlrev_b32_e32 v28, 2, v28
	global_load_dword v29, v28, s[16:17]
	v_bfe_u32 v30, v30, 16, 8
	s_waitcnt vmcnt(0)
	v_and_b32_e32 v28, 0xf0f0f0f, v29
	v_lshrrev_b32_e32 v29, 4, v29
	v_and_b32_e32 v29, 0xf0f0f0f, v29
	v_dot4_i32_i8 v31, v28, v49, v31
	v_dot4_i32_i8 v33, v29, v42, v31
	v_lshlrev_b32_e32 v31, 2, v35
	v_and_or_b32 v30, v31, s22, v30
	v_lshlrev_b32_e32 v30, 2, v30
	global_load_dword v31, v30, s[16:17]
	s_waitcnt vmcnt(0)
	v_and_b32_e32 v30, 0xf0f0f0f, v31
	v_lshrrev_b32_e32 v31, 4, v31
	v_and_b32_e32 v31, 0xf0f0f0f, v31
	v_dot4_i32_i8 v33, v30, v43, v33
	v_dot4_i32_i8 v34, v31, v44, v33
	v_lshrrev_b32_e32 v33, 1, v35
	v_and_or_b32 v32, v33, s22, v32
	v_lshlrev_b32_e32 v32, 2, v32
	global_load_dword v33, v32, s[16:17]
	s_waitcnt vmcnt(0)
	v_and_b32_e32 v32, 0xf0f0f0f, v33
	v_lshrrev_b32_e32 v33, 4, v33
	v_and_b32_e32 v33, 0xf0f0f0f, v33
	v_dot4_i32_i8 v34, v32, v45, v34
	v_dot4_i32_i8 v36, v33, v50, v34
	v_mul_f32_e32 v34, v25, v24
	v_and_b32_e32 v24, 0x8000, v35
	v_cvt_f32_u32_e32 v24, v24
	v_mov_b32_e32 v35, 0xbf600000
	v_fmac_f32_e32 v35, 0xb7000000, v24
	v_cvt_f32_i32_e32 v24, v36
	v_mul_f32_e32 v25, v35, v51
	v_fma_mix_f32 v24, v24, v46, v25 op_sel_hi:[0,1,0]
	v_fmac_f32_e32 v19, v34, v24
	v_add_u32_e32 v24, s0, v20
	v_mad_i64_i32 v[24:25], s[28:29], v24, 50, s[20:21]
	v_add_u32_e32 v20, 8, v20
	v_add_co_u32_e32 v36, vcc, v24, v22
	v_addc_co_u32_e32 v37, vcc, 0, v25, vcc
	global_load_dword v39, v[36:37], off offset:2
	v_add_co_u32_e32 v36, vcc, v24, v23
	v_addc_co_u32_e32 v37, vcc, 0, v25, vcc
	global_load_ushort v53, v[36:37], off offset:34
	v_add_co_u32_e32 v4, vcc, 0x900, v4
	global_load_ushort v24, v[24:25], off
	v_addc_co_u32_e32 v5, vcc, 0, v5, vcc
	v_cmp_le_u32_e32 vcc, s9, v20
	s_or_b64 s[12:13], vcc, s[12:13]
	s_waitcnt vmcnt(2)
	v_and_b32_e32 v36, 0xff, v39
	v_lshrrev_b32_e32 v52, 24, v39
	s_waitcnt vmcnt(1)
	v_lshlrev_b32_e32 v37, 8, v53
	v_and_or_b32 v36, v37, s22, v36
	v_lshlrev_b32_e32 v36, 2, v36
	global_load_dword v37, v36, s[16:17]
	v_lshlrev_b32_e32 v41, 5, v53
	s_waitcnt vmcnt(1)
	v_cvt_f32_f16_e32 v24, v24
	v_lshrrev_b32_e32 v25, 11, v53
	v_and_or_b32 v25, v25, 14, 1
	v_cvt_f32_ubyte0_e32 v25, v25
	v_mul_f32_e32 v24, v25, v24
	v_and_b32_e32 v25, 0x8000, v53
	s_waitcnt vmcnt(0)
	v_and_b32_e32 v36, 0xf0f0f0f, v37
	v_lshrrev_b32_e32 v37, 4, v37
	v_and_b32_e32 v38, 0xf0f0f0f, v37
	v_dot4_i32_i8 v37, v36, v47, 0
	v_dot4_i32_i8 v40, v38, v48, v37
	v_bfe_u32 v37, v39, 8, 8
	v_and_or_b32 v37, v41, s22, v37
	v_lshlrev_b32_e32 v37, 2, v37
	global_load_dword v37, v37, s[16:17]
	v_bfe_u32 v39, v39, 16, 8
	s_waitcnt vmcnt(0)
	v_and_b32_e32 v41, 0xf0f0f0f, v37
	v_lshrrev_b32_e32 v37, 4, v37
	v_and_b32_e32 v37, 0xf0f0f0f, v37
	v_dot4_i32_i8 v40, v41, v49, v40
	v_dot4_i32_i8 v42, v37, v42, v40
	v_lshlrev_b32_e32 v40, 2, v53
	v_and_or_b32 v39, v40, s22, v39
	v_lshlrev_b32_e32 v39, 2, v39
	global_load_dword v39, v39, s[16:17]
	s_waitcnt vmcnt(0)
	v_and_b32_e32 v40, 0xf0f0f0f, v39
	v_lshrrev_b32_e32 v39, 4, v39
	v_and_b32_e32 v39, 0xf0f0f0f, v39
	v_dot4_i32_i8 v42, v40, v43, v42
	v_dot4_i32_i8 v44, v39, v44, v42
	v_lshrrev_b32_e32 v42, 1, v53
	v_and_or_b32 v42, v42, s22, v52
	v_lshlrev_b32_e32 v42, 2, v42
	global_load_dword v43, v42, s[16:17]
	s_waitcnt vmcnt(0)
	v_and_b32_e32 v42, 0xf0f0f0f, v43
	v_lshrrev_b32_e32 v43, 4, v43
	v_and_b32_e32 v43, 0xf0f0f0f, v43
	v_dot4_i32_i8 v44, v42, v45, v44
	v_cvt_f32_u32_e32 v45, v25
	v_dot4_i32_i8 v44, v43, v50, v44
	v_cvt_f32_i32_e32 v44, v44
	v_mov_b32_e32 v25, 0xbf600000
	v_fmac_f32_e32 v25, 0xb7000000, v45
	v_mul_f32_e32 v45, v25, v51
	v_fma_mix_f32 v44, v44, v46, v45 op_sel_hi:[0,1,0]
	v_fmac_f32_e32 v18, v24, v44
	v_add_u32_e32 v44, s1, v21
	v_mad_u64_u32 v[52:53], s[16:17], v44, 36, v[2:3]
	global_load_dword v54, v[52:53], off offset:32
	global_load_dwordx4 v[44:47], v[52:53], off offset:16
	global_load_dwordx4 v[48:51], v[52:53], off
	s_waitcnt vmcnt(0)
	v_dot4_i32_i8 v53, v26, v49, 0
	v_dot4_i32_i8 v49, v36, v49, 0
	v_dot4_i32_i8 v53, v27, v50, v53
	v_dot4_i32_i8 v49, v38, v50, v49
	v_dot4_i32_i8 v53, v28, v51, v53
	v_dot4_i32_i8 v49, v41, v51, v49
	v_dot4_i32_i8 v53, v29, v44, v53
	v_dot4_i32_i8 v44, v37, v44, v49
	v_dot4_i32_i8 v44, v40, v45, v44
	v_dot4_i32_i8 v53, v30, v45, v53
	v_dot4_i32_i8 v44, v39, v46, v44
	v_dot4_i32_i8 v53, v31, v46, v53
	v_dot4_i32_i8 v44, v42, v47, v44
	v_cvt_f32_f16_sdwa v52, v48 dst_sel:DWORD dst_unused:UNUSED_PAD src0_sel:WORD_1
	v_dot4_i32_i8 v53, v32, v47, v53
	v_dot4_i32_i8 v44, v43, v54, v44
	v_dot4_i32_i8 v53, v33, v54, v53
	v_cvt_f32_i32_e32 v44, v44
	v_cvt_f32_i32_e32 v53, v53
	v_mul_f32_e32 v45, v25, v52
	v_mul_f32_e32 v55, v35, v52
	v_fma_mix_f32 v44, v44, v48, v45 op_sel_hi:[0,1,0]
	v_fma_mix_f32 v53, v53, v48, v55 op_sel_hi:[0,1,0]
	v_fmac_f32_e32 v16, v24, v44
	v_add_u32_e32 v44, s26, v21
	v_fmac_f32_e32 v17, v34, v53
	v_mad_u64_u32 v[52:53], s[16:17], v44, 36, v[2:3]
	global_load_dword v54, v[52:53], off offset:32
	global_load_dwordx4 v[44:47], v[52:53], off offset:16
	global_load_dwordx4 v[48:51], v[52:53], off
	s_waitcnt vmcnt(0)
	v_dot4_i32_i8 v53, v26, v49, 0
	v_dot4_i32_i8 v49, v36, v49, 0
	v_dot4_i32_i8 v53, v27, v50, v53
	v_dot4_i32_i8 v49, v38, v50, v49
	v_dot4_i32_i8 v53, v28, v51, v53
	v_dot4_i32_i8 v49, v41, v51, v49
	v_dot4_i32_i8 v53, v29, v44, v53
	v_dot4_i32_i8 v44, v37, v44, v49
	v_dot4_i32_i8 v44, v40, v45, v44
	v_dot4_i32_i8 v53, v30, v45, v53
	v_dot4_i32_i8 v44, v39, v46, v44
	v_dot4_i32_i8 v53, v31, v46, v53
	v_dot4_i32_i8 v44, v42, v47, v44
	v_cvt_f32_f16_sdwa v52, v48 dst_sel:DWORD dst_unused:UNUSED_PAD src0_sel:WORD_1
	v_dot4_i32_i8 v53, v32, v47, v53
	v_dot4_i32_i8 v44, v43, v54, v44
	v_dot4_i32_i8 v53, v33, v54, v53
	v_cvt_f32_i32_e32 v44, v44
	v_cvt_f32_i32_e32 v53, v53
	v_mul_f32_e32 v45, v25, v52
	v_mul_f32_e32 v55, v35, v52
	v_fma_mix_f32 v44, v44, v48, v45 op_sel_hi:[0,1,0]
	v_fma_mix_f32 v53, v53, v48, v55 op_sel_hi:[0,1,0]
	v_fmac_f32_e32 v14, v24, v44
	v_add_u32_e32 v44, s25, v21
	v_fmac_f32_e32 v15, v34, v53
	;; [unrolled: 31-line block ×5, first 2 shown]
	v_mad_u64_u32 v[52:53], s[16:17], v44, 36, v[2:3]
	global_load_dword v54, v[52:53], off offset:32
	global_load_dwordx4 v[44:47], v[52:53], off offset:16
	global_load_dwordx4 v[48:51], v[52:53], off
	v_add_u32_e32 v21, 64, v21
	s_waitcnt vmcnt(0)
	v_dot4_i32_i8 v26, v26, v49, 0
	v_dot4_i32_i8 v26, v27, v50, v26
	;; [unrolled: 1-line block ×7, first 2 shown]
	v_cvt_f32_f16_sdwa v52, v48 dst_sel:DWORD dst_unused:UNUSED_PAD src0_sel:WORD_1
	v_dot4_i32_i8 v26, v33, v54, v26
	v_cvt_f32_i32_e32 v26, v26
	v_mul_f32_e32 v27, v35, v52
	v_mul_f32_e32 v25, v25, v52
	v_fma_mix_f32 v26, v26, v48, v27 op_sel_hi:[0,1,0]
	v_fmac_f32_e32 v7, v34, v26
	v_dot4_i32_i8 v26, v36, v49, 0
	v_dot4_i32_i8 v26, v38, v50, v26
	;; [unrolled: 1-line block ×8, first 2 shown]
	v_cvt_f32_i32_e32 v26, v26
	v_fma_mix_f32 v25, v26, v48, v25 op_sel_hi:[0,1,0]
	v_fmac_f32_e32 v6, v24, v25
	s_andn2_b64 exec, exec, s[12:13]
	s_cbranch_execnz .LBB214_2
; %bb.3:
	s_or_b64 exec, exec, s[12:13]
.LBB214_4:
	s_or_b64 exec, exec, s[10:11]
	s_mov_b32 s1, 0
	v_cmp_eq_u32_e32 vcc, 0, v1
	; wave barrier
	s_and_saveexec_b64 s[10:11], vcc
	s_cbranch_execz .LBB214_19
; %bb.5:
	v_mbcnt_lo_u32_b32 v1, -1, 0
	v_mbcnt_hi_u32_b32 v20, -1, v1
	v_and_b32_e32 v1, 64, v20
	v_add_u32_e32 v21, 64, v1
	v_xor_b32_e32 v1, 32, v20
	v_cmp_lt_i32_e32 vcc, v1, v21
	v_cndmask_b32_e32 v1, v20, v1, vcc
	v_lshlrev_b32_e32 v1, 2, v1
	ds_bpermute_b32 v5, v1, v19
	ds_bpermute_b32 v22, v1, v18
	v_xor_b32_e32 v2, 16, v20
	v_cmp_lt_i32_e32 vcc, v2, v21
	v_cndmask_b32_e32 v2, v20, v2, vcc
	v_lshlrev_b32_e32 v2, 2, v2
	s_waitcnt lgkmcnt(1)
	v_add_f32_e32 v5, v19, v5
	s_waitcnt lgkmcnt(0)
	v_add_f32_e32 v18, v18, v22
	ds_bpermute_b32 v19, v2, v5
	ds_bpermute_b32 v22, v2, v18
	v_xor_b32_e32 v3, 8, v20
	v_cmp_lt_i32_e32 vcc, v3, v21
	v_cndmask_b32_e32 v3, v20, v3, vcc
	v_lshlrev_b32_e32 v3, 2, v3
	s_waitcnt lgkmcnt(1)
	v_add_f32_e32 v19, v5, v19
	s_waitcnt lgkmcnt(0)
	v_add_f32_e32 v18, v18, v22
	;; [unrolled: 10-line block ×3, first 2 shown]
	ds_bpermute_b32 v24, v4, v19
	ds_bpermute_b32 v22, v4, v18
	v_xor_b32_e32 v23, 2, v20
	v_cmp_lt_i32_e32 vcc, v23, v21
	v_cndmask_b32_e32 v23, v20, v23, vcc
	v_lshlrev_b32_e32 v5, 2, v23
	v_xor_b32_e32 v23, 1, v20
	s_waitcnt lgkmcnt(1)
	v_add_f32_e32 v19, v19, v24
	s_waitcnt lgkmcnt(0)
	v_add_f32_e32 v18, v18, v22
	v_cmp_lt_i32_e32 vcc, v23, v21
	ds_bpermute_b32 v21, v5, v19
	ds_bpermute_b32 v22, v5, v18
	s_load_dwordx2 s[4:5], s[4:5], 0x38
	v_cndmask_b32_e32 v20, v20, v23, vcc
	s_mul_i32 s3, s14, s7
	v_lshlrev_b32_e32 v20, 2, v20
	s_waitcnt lgkmcnt(0)
	v_add_f32_e32 v19, v19, v21
	v_add_f32_e32 v22, v18, v22
	s_mul_i32 s0, s18, s8
	s_add_i32 s3, s3, s6
	ds_bpermute_b32 v21, v20, v19
	ds_bpermute_b32 v23, v20, v22
	s_add_i32 s0, s3, s0
	s_lshl_b64 s[0:1], s[0:1], 2
	s_add_u32 s4, s4, s0
	v_add_u32_e32 v18, s6, v0
	s_addc_u32 s5, s5, s1
	v_cmp_gt_u32_e32 vcc, 2, v0
	v_cmp_gt_u32_e64 s[0:1], s2, v18
	s_and_b64 s[0:1], vcc, s[0:1]
	s_waitcnt lgkmcnt(1)
	v_add_f32_e32 v18, v19, v21
	s_waitcnt lgkmcnt(0)
	v_add_f32_e32 v19, v22, v23
	s_and_saveexec_b64 s[6:7], s[0:1]
	s_cbranch_execz .LBB214_7
; %bb.6:
	v_cmp_eq_u32_e32 vcc, 1, v0
	v_cndmask_b32_e32 v21, v18, v19, vcc
	v_cmp_eq_u32_e32 vcc, 2, v0
	v_cndmask_b32_e32 v21, v21, v17, vcc
	;; [unrolled: 2-line block ×13, first 2 shown]
	v_lshlrev_b32_e32 v22, 2, v0
	global_store_dword v22, v21, s[4:5]
.LBB214_7:
	s_or_b64 exec, exec, s[6:7]
	ds_bpermute_b32 v21, v1, v17
	ds_bpermute_b32 v22, v1, v16
	s_waitcnt lgkmcnt(1)
	v_add_f32_e32 v17, v17, v21
	s_waitcnt lgkmcnt(0)
	v_add_f32_e32 v16, v16, v22
	ds_bpermute_b32 v21, v2, v17
	ds_bpermute_b32 v22, v2, v16
	s_waitcnt lgkmcnt(1)
	v_add_f32_e32 v17, v17, v21
	s_waitcnt lgkmcnt(0)
	v_add_f32_e32 v16, v16, v22
	;; [unrolled: 6-line block ×6, first 2 shown]
	s_and_saveexec_b64 s[6:7], s[0:1]
	s_cbranch_execz .LBB214_9
; %bb.8:
	v_add_u32_e32 v21, 2, v0
	v_cmp_eq_u32_e32 vcc, 1, v21
	v_cndmask_b32_e32 v22, v18, v19, vcc
	v_cmp_eq_u32_e32 vcc, 2, v21
	v_cndmask_b32_e32 v22, v22, v17, vcc
	;; [unrolled: 2-line block ×13, first 2 shown]
	v_add_u32_e32 v21, s2, v0
	v_mov_b32_e32 v22, 0
	v_lshlrev_b64 v[21:22], 2, v[21:22]
	v_mov_b32_e32 v24, s5
	v_add_co_u32_e32 v21, vcc, s4, v21
	v_addc_co_u32_e32 v22, vcc, v24, v22, vcc
	global_store_dword v[21:22], v23, off
.LBB214_9:
	s_or_b64 exec, exec, s[6:7]
	ds_bpermute_b32 v21, v1, v15
	ds_bpermute_b32 v22, v1, v14
	s_waitcnt lgkmcnt(1)
	v_add_f32_e32 v15, v15, v21
	s_waitcnt lgkmcnt(0)
	v_add_f32_e32 v14, v14, v22
	ds_bpermute_b32 v21, v2, v15
	ds_bpermute_b32 v22, v2, v14
	s_waitcnt lgkmcnt(1)
	v_add_f32_e32 v15, v15, v21
	s_waitcnt lgkmcnt(0)
	v_add_f32_e32 v14, v14, v22
	;; [unrolled: 6-line block ×6, first 2 shown]
	s_and_saveexec_b64 s[6:7], s[0:1]
	s_cbranch_execz .LBB214_11
; %bb.10:
	v_add_u32_e32 v21, 4, v0
	v_cmp_eq_u32_e32 vcc, 1, v21
	v_cndmask_b32_e32 v22, v18, v19, vcc
	v_cmp_eq_u32_e32 vcc, 2, v21
	v_cndmask_b32_e32 v22, v22, v17, vcc
	;; [unrolled: 2-line block ×13, first 2 shown]
	v_lshl_or_b32 v21, s2, 1, v0
	v_mov_b32_e32 v22, 0
	v_lshlrev_b64 v[21:22], 2, v[21:22]
	v_mov_b32_e32 v24, s5
	v_add_co_u32_e32 v21, vcc, s4, v21
	v_addc_co_u32_e32 v22, vcc, v24, v22, vcc
	global_store_dword v[21:22], v23, off
.LBB214_11:
	s_or_b64 exec, exec, s[6:7]
	ds_bpermute_b32 v21, v1, v13
	ds_bpermute_b32 v22, v1, v12
	s_waitcnt lgkmcnt(1)
	v_add_f32_e32 v13, v13, v21
	s_waitcnt lgkmcnt(0)
	v_add_f32_e32 v12, v12, v22
	ds_bpermute_b32 v21, v2, v13
	ds_bpermute_b32 v22, v2, v12
	s_waitcnt lgkmcnt(1)
	v_add_f32_e32 v13, v13, v21
	s_waitcnt lgkmcnt(0)
	v_add_f32_e32 v12, v12, v22
	;; [unrolled: 6-line block ×6, first 2 shown]
	s_and_saveexec_b64 s[6:7], s[0:1]
	s_cbranch_execz .LBB214_13
; %bb.12:
	v_add_u32_e32 v23, 6, v0
	v_cmp_eq_u32_e32 vcc, 1, v23
	v_cndmask_b32_e32 v21, v18, v19, vcc
	v_cmp_eq_u32_e32 vcc, 2, v23
	v_cndmask_b32_e32 v21, v21, v17, vcc
	;; [unrolled: 2-line block ×12, first 2 shown]
	v_mad_u64_u32 v[21:22], s[8:9], s2, 3, v[0:1]
	v_mov_b32_e32 v22, 0
	v_cmp_eq_u32_e32 vcc, 13, v23
	v_lshlrev_b64 v[21:22], 2, v[21:22]
	v_cndmask_b32_e32 v23, v24, v6, vcc
	v_mov_b32_e32 v24, s5
	v_add_co_u32_e32 v21, vcc, s4, v21
	v_addc_co_u32_e32 v22, vcc, v24, v22, vcc
	global_store_dword v[21:22], v23, off
.LBB214_13:
	s_or_b64 exec, exec, s[6:7]
	ds_bpermute_b32 v21, v1, v11
	ds_bpermute_b32 v22, v1, v10
	s_waitcnt lgkmcnt(1)
	v_add_f32_e32 v11, v11, v21
	s_waitcnt lgkmcnt(0)
	v_add_f32_e32 v10, v10, v22
	ds_bpermute_b32 v21, v2, v11
	ds_bpermute_b32 v22, v2, v10
	s_waitcnt lgkmcnt(1)
	v_add_f32_e32 v11, v11, v21
	s_waitcnt lgkmcnt(0)
	v_add_f32_e32 v10, v10, v22
	;; [unrolled: 6-line block ×6, first 2 shown]
	s_and_saveexec_b64 s[6:7], s[0:1]
	s_cbranch_execz .LBB214_15
; %bb.14:
	v_add_u32_e32 v21, 8, v0
	v_cmp_eq_u32_e32 vcc, 1, v21
	v_cndmask_b32_e32 v22, v18, v19, vcc
	v_cmp_eq_u32_e32 vcc, 2, v21
	v_cndmask_b32_e32 v22, v22, v17, vcc
	;; [unrolled: 2-line block ×13, first 2 shown]
	v_lshl_or_b32 v21, s2, 2, v0
	v_mov_b32_e32 v22, 0
	v_lshlrev_b64 v[21:22], 2, v[21:22]
	v_mov_b32_e32 v24, s5
	v_add_co_u32_e32 v21, vcc, s4, v21
	v_addc_co_u32_e32 v22, vcc, v24, v22, vcc
	global_store_dword v[21:22], v23, off
.LBB214_15:
	s_or_b64 exec, exec, s[6:7]
	ds_bpermute_b32 v21, v1, v9
	ds_bpermute_b32 v22, v1, v8
	s_waitcnt lgkmcnt(1)
	v_add_f32_e32 v9, v9, v21
	s_waitcnt lgkmcnt(0)
	v_add_f32_e32 v8, v8, v22
	ds_bpermute_b32 v21, v2, v9
	ds_bpermute_b32 v22, v2, v8
	s_waitcnt lgkmcnt(1)
	v_add_f32_e32 v9, v9, v21
	s_waitcnt lgkmcnt(0)
	v_add_f32_e32 v8, v8, v22
	;; [unrolled: 6-line block ×6, first 2 shown]
	s_and_saveexec_b64 s[6:7], s[0:1]
	s_cbranch_execz .LBB214_17
; %bb.16:
	v_add_u32_e32 v23, 10, v0
	v_cmp_eq_u32_e32 vcc, 1, v23
	v_cndmask_b32_e32 v21, v18, v19, vcc
	v_cmp_eq_u32_e32 vcc, 2, v23
	v_cndmask_b32_e32 v21, v21, v17, vcc
	;; [unrolled: 2-line block ×12, first 2 shown]
	v_mad_u64_u32 v[21:22], s[8:9], s2, 5, v[0:1]
	v_mov_b32_e32 v22, 0
	v_cmp_eq_u32_e32 vcc, 13, v23
	v_lshlrev_b64 v[21:22], 2, v[21:22]
	v_cndmask_b32_e32 v23, v24, v6, vcc
	v_mov_b32_e32 v24, s5
	v_add_co_u32_e32 v21, vcc, s4, v21
	v_addc_co_u32_e32 v22, vcc, v24, v22, vcc
	global_store_dword v[21:22], v23, off
.LBB214_17:
	s_or_b64 exec, exec, s[6:7]
	ds_bpermute_b32 v21, v1, v7
	ds_bpermute_b32 v1, v1, v6
	s_waitcnt lgkmcnt(1)
	v_add_f32_e32 v7, v7, v21
	s_waitcnt lgkmcnt(0)
	v_add_f32_e32 v1, v6, v1
	ds_bpermute_b32 v6, v2, v7
	ds_bpermute_b32 v2, v2, v1
	s_waitcnt lgkmcnt(1)
	v_add_f32_e32 v6, v7, v6
	s_waitcnt lgkmcnt(0)
	v_add_f32_e32 v1, v1, v2
	;; [unrolled: 6-line block ×5, first 2 shown]
	ds_bpermute_b32 v3, v20, v1
	ds_bpermute_b32 v4, v20, v2
	s_and_b64 exec, exec, s[0:1]
	s_cbranch_execz .LBB214_19
; %bb.18:
	s_waitcnt lgkmcnt(1)
	v_add_f32_e32 v1, v1, v3
	v_add_u32_e32 v3, 12, v0
	v_cmp_eq_u32_e32 vcc, 1, v3
	s_waitcnt lgkmcnt(0)
	v_add_f32_e32 v2, v2, v4
	v_cndmask_b32_e32 v4, v18, v19, vcc
	v_cmp_eq_u32_e32 vcc, 2, v3
	v_cndmask_b32_e32 v4, v4, v17, vcc
	v_cmp_eq_u32_e32 vcc, 3, v3
	;; [unrolled: 2-line block ×12, first 2 shown]
	s_mul_i32 s0, s2, 6
	v_cndmask_b32_e32 v2, v1, v2, vcc
	v_or_b32_e32 v0, s0, v0
	v_mov_b32_e32 v1, 0
	v_lshlrev_b64 v[0:1], 2, v[0:1]
	v_mov_b32_e32 v3, s5
	v_add_co_u32_e32 v0, vcc, s4, v0
	v_addc_co_u32_e32 v1, vcc, v3, v1, vcc
	global_store_dword v[0:1], v2, off
.LBB214_19:
	s_endpgm
	.section	.rodata,"a",@progbits
	.p2align	6, 0x0
	.amdhsa_kernel _ZL13mul_mat_vec_qIL9ggml_type19ELi7ELb0ELb0EEvPKvS2_PKi31ggml_cuda_mm_fusion_args_devicePfj15HIP_vector_typeIjLj3EEjjjS8_jjjS8_jjjj
		.amdhsa_group_segment_fixed_size 0
		.amdhsa_private_segment_fixed_size 0
		.amdhsa_kernarg_size 144
		.amdhsa_user_sgpr_count 6
		.amdhsa_user_sgpr_private_segment_buffer 1
		.amdhsa_user_sgpr_dispatch_ptr 0
		.amdhsa_user_sgpr_queue_ptr 0
		.amdhsa_user_sgpr_kernarg_segment_ptr 1
		.amdhsa_user_sgpr_dispatch_id 0
		.amdhsa_user_sgpr_flat_scratch_init 0
		.amdhsa_user_sgpr_private_segment_size 0
		.amdhsa_uses_dynamic_stack 0
		.amdhsa_system_sgpr_private_segment_wavefront_offset 0
		.amdhsa_system_sgpr_workgroup_id_x 1
		.amdhsa_system_sgpr_workgroup_id_y 1
		.amdhsa_system_sgpr_workgroup_id_z 1
		.amdhsa_system_sgpr_workgroup_info 0
		.amdhsa_system_vgpr_workitem_id 1
		.amdhsa_next_free_vgpr 56
		.amdhsa_next_free_sgpr 30
		.amdhsa_reserve_vcc 1
		.amdhsa_reserve_flat_scratch 0
		.amdhsa_float_round_mode_32 0
		.amdhsa_float_round_mode_16_64 0
		.amdhsa_float_denorm_mode_32 3
		.amdhsa_float_denorm_mode_16_64 3
		.amdhsa_dx10_clamp 1
		.amdhsa_ieee_mode 1
		.amdhsa_fp16_overflow 0
		.amdhsa_exception_fp_ieee_invalid_op 0
		.amdhsa_exception_fp_denorm_src 0
		.amdhsa_exception_fp_ieee_div_zero 0
		.amdhsa_exception_fp_ieee_overflow 0
		.amdhsa_exception_fp_ieee_underflow 0
		.amdhsa_exception_fp_ieee_inexact 0
		.amdhsa_exception_int_div_zero 0
	.end_amdhsa_kernel
	.section	.text._ZL13mul_mat_vec_qIL9ggml_type19ELi7ELb0ELb0EEvPKvS2_PKi31ggml_cuda_mm_fusion_args_devicePfj15HIP_vector_typeIjLj3EEjjjS8_jjjS8_jjjj,"axG",@progbits,_ZL13mul_mat_vec_qIL9ggml_type19ELi7ELb0ELb0EEvPKvS2_PKi31ggml_cuda_mm_fusion_args_devicePfj15HIP_vector_typeIjLj3EEjjjS8_jjjS8_jjjj,comdat
.Lfunc_end214:
	.size	_ZL13mul_mat_vec_qIL9ggml_type19ELi7ELb0ELb0EEvPKvS2_PKi31ggml_cuda_mm_fusion_args_devicePfj15HIP_vector_typeIjLj3EEjjjS8_jjjS8_jjjj, .Lfunc_end214-_ZL13mul_mat_vec_qIL9ggml_type19ELi7ELb0ELb0EEvPKvS2_PKi31ggml_cuda_mm_fusion_args_devicePfj15HIP_vector_typeIjLj3EEjjjS8_jjjS8_jjjj
                                        ; -- End function
	.set _ZL13mul_mat_vec_qIL9ggml_type19ELi7ELb0ELb0EEvPKvS2_PKi31ggml_cuda_mm_fusion_args_devicePfj15HIP_vector_typeIjLj3EEjjjS8_jjjS8_jjjj.num_vgpr, 56
	.set _ZL13mul_mat_vec_qIL9ggml_type19ELi7ELb0ELb0EEvPKvS2_PKi31ggml_cuda_mm_fusion_args_devicePfj15HIP_vector_typeIjLj3EEjjjS8_jjjS8_jjjj.num_agpr, 0
	.set _ZL13mul_mat_vec_qIL9ggml_type19ELi7ELb0ELb0EEvPKvS2_PKi31ggml_cuda_mm_fusion_args_devicePfj15HIP_vector_typeIjLj3EEjjjS8_jjjS8_jjjj.numbered_sgpr, 30
	.set _ZL13mul_mat_vec_qIL9ggml_type19ELi7ELb0ELb0EEvPKvS2_PKi31ggml_cuda_mm_fusion_args_devicePfj15HIP_vector_typeIjLj3EEjjjS8_jjjS8_jjjj.num_named_barrier, 0
	.set _ZL13mul_mat_vec_qIL9ggml_type19ELi7ELb0ELb0EEvPKvS2_PKi31ggml_cuda_mm_fusion_args_devicePfj15HIP_vector_typeIjLj3EEjjjS8_jjjS8_jjjj.private_seg_size, 0
	.set _ZL13mul_mat_vec_qIL9ggml_type19ELi7ELb0ELb0EEvPKvS2_PKi31ggml_cuda_mm_fusion_args_devicePfj15HIP_vector_typeIjLj3EEjjjS8_jjjS8_jjjj.uses_vcc, 1
	.set _ZL13mul_mat_vec_qIL9ggml_type19ELi7ELb0ELb0EEvPKvS2_PKi31ggml_cuda_mm_fusion_args_devicePfj15HIP_vector_typeIjLj3EEjjjS8_jjjS8_jjjj.uses_flat_scratch, 0
	.set _ZL13mul_mat_vec_qIL9ggml_type19ELi7ELb0ELb0EEvPKvS2_PKi31ggml_cuda_mm_fusion_args_devicePfj15HIP_vector_typeIjLj3EEjjjS8_jjjS8_jjjj.has_dyn_sized_stack, 0
	.set _ZL13mul_mat_vec_qIL9ggml_type19ELi7ELb0ELb0EEvPKvS2_PKi31ggml_cuda_mm_fusion_args_devicePfj15HIP_vector_typeIjLj3EEjjjS8_jjjS8_jjjj.has_recursion, 0
	.set _ZL13mul_mat_vec_qIL9ggml_type19ELi7ELb0ELb0EEvPKvS2_PKi31ggml_cuda_mm_fusion_args_devicePfj15HIP_vector_typeIjLj3EEjjjS8_jjjS8_jjjj.has_indirect_call, 0
	.section	.AMDGPU.csdata,"",@progbits
; Kernel info:
; codeLenInByte = 5268
; TotalNumSgprs: 34
; NumVgprs: 56
; ScratchSize: 0
; MemoryBound: 0
; FloatMode: 240
; IeeeMode: 1
; LDSByteSize: 0 bytes/workgroup (compile time only)
; SGPRBlocks: 4
; VGPRBlocks: 13
; NumSGPRsForWavesPerEU: 34
; NumVGPRsForWavesPerEU: 56
; Occupancy: 4
; WaveLimiterHint : 0
; COMPUTE_PGM_RSRC2:SCRATCH_EN: 0
; COMPUTE_PGM_RSRC2:USER_SGPR: 6
; COMPUTE_PGM_RSRC2:TRAP_HANDLER: 0
; COMPUTE_PGM_RSRC2:TGID_X_EN: 1
; COMPUTE_PGM_RSRC2:TGID_Y_EN: 1
; COMPUTE_PGM_RSRC2:TGID_Z_EN: 1
; COMPUTE_PGM_RSRC2:TIDIG_COMP_CNT: 1
	.section	.text._ZL13mul_mat_vec_qIL9ggml_type19ELi8ELb0ELb0EEvPKvS2_PKi31ggml_cuda_mm_fusion_args_devicePfj15HIP_vector_typeIjLj3EEjjjS8_jjjS8_jjjj,"axG",@progbits,_ZL13mul_mat_vec_qIL9ggml_type19ELi8ELb0ELb0EEvPKvS2_PKi31ggml_cuda_mm_fusion_args_devicePfj15HIP_vector_typeIjLj3EEjjjS8_jjjS8_jjjj,comdat
	.globl	_ZL13mul_mat_vec_qIL9ggml_type19ELi8ELb0ELb0EEvPKvS2_PKi31ggml_cuda_mm_fusion_args_devicePfj15HIP_vector_typeIjLj3EEjjjS8_jjjS8_jjjj ; -- Begin function _ZL13mul_mat_vec_qIL9ggml_type19ELi8ELb0ELb0EEvPKvS2_PKi31ggml_cuda_mm_fusion_args_devicePfj15HIP_vector_typeIjLj3EEjjjS8_jjjS8_jjjj
	.p2align	8
	.type	_ZL13mul_mat_vec_qIL9ggml_type19ELi8ELb0ELb0EEvPKvS2_PKi31ggml_cuda_mm_fusion_args_devicePfj15HIP_vector_typeIjLj3EEjjjS8_jjjS8_jjjj,@function
_ZL13mul_mat_vec_qIL9ggml_type19ELi8ELb0ELb0EEvPKvS2_PKi31ggml_cuda_mm_fusion_args_devicePfj15HIP_vector_typeIjLj3EEjjjS8_jjjS8_jjjj: ; @_ZL13mul_mat_vec_qIL9ggml_type19ELi8ELb0ELb0EEvPKvS2_PKi31ggml_cuda_mm_fusion_args_devicePfj15HIP_vector_typeIjLj3EEjjjS8_jjjS8_jjjj
; %bb.0:
	s_load_dword s9, s[4:5], 0x40
	s_load_dwordx4 s[0:3], s[4:5], 0x50
	s_load_dword s25, s[4:5], 0x60
	s_load_dwordx4 s[12:15], s[4:5], 0x68
	;; [unrolled: 2-line block ×3, first 2 shown]
	v_lshl_or_b32 v2, v1, 6, v0
	s_waitcnt lgkmcnt(0)
	s_lshr_b32 s9, s9, 8
	v_lshrrev_b32_e32 v22, 3, v2
	v_mov_b32_e32 v6, 0
	s_lshl_b32 s6, s6, 1
	v_cmp_gt_u32_e32 vcc, s9, v22
	v_mov_b32_e32 v7, v6
	v_mov_b32_e32 v8, v6
	v_mov_b32_e32 v9, v6
	v_mov_b32_e32 v10, v6
	v_mov_b32_e32 v11, v6
	v_mov_b32_e32 v12, v6
	v_mov_b32_e32 v13, v6
	v_mov_b32_e32 v14, v6
	v_mov_b32_e32 v15, v6
	v_mov_b32_e32 v16, v6
	v_mov_b32_e32 v17, v6
	v_mov_b32_e32 v18, v6
	v_mov_b32_e32 v19, v6
	v_mov_b32_e32 v20, v6
	v_mov_b32_e32 v21, v6
	s_and_saveexec_b64 s[10:11], vcc
	s_cbranch_execz .LBB215_4
; %bb.1:
	s_mul_hi_u32 s3, s3, s7
	s_add_i32 s3, s7, s3
	s_load_dwordx4 s[20:23], s[4:5], 0x0
	s_lshr_b32 s3, s3, s25
	s_mul_i32 s3, s3, s12
	s_mul_hi_u32 s12, s15, s8
	s_add_i32 s12, s8, s12
	s_lshr_b32 s12, s12, s24
	s_mul_i32 s25, s17, s8
	s_mul_i32 s15, s12, s16
	;; [unrolled: 1-line block ×3, first 2 shown]
	s_mul_hi_u32 s12, s25, 36
	s_waitcnt lgkmcnt(0)
	s_add_u32 s16, s22, s16
	s_addc_u32 s17, s23, s12
	s_mul_i32 s12, s13, s7
	s_mul_hi_u32 s13, s12, 36
	s_mul_i32 s12, s12, 36
	s_add_u32 s16, s16, s12
	s_addc_u32 s17, s17, s13
	v_and_b32_e32 v7, 7, v0
	v_mad_u64_u32 v[2:3], s[16:17], v7, 36, s[16:17]
	s_add_i32 s16, s6, 1
	v_mov_b32_e32 v4, s12
	s_add_i32 s15, s15, s3
	s_mul_i32 s3, s6, s0
	s_mul_i32 s0, s0, s16
	s_movk_i32 s16, 0x120
	v_mov_b32_e32 v5, s13
	v_mad_u64_u32 v[4:5], s[12:13], v22, s16, v[4:5]
	v_mov_b32_e32 v9, s23
	v_lshlrev_b32_e32 v8, 1, v7
	v_mad_u64_u32 v[4:5], s[12:13], s25, 36, v[4:5]
	v_mov_b32_e32 v6, 0
	s_add_i32 s3, s15, s3
	v_mad_u64_u32 v[4:5], s[12:13], v7, 36, v[4:5]
	s_add_i32 s0, s15, s0
	v_lshlrev_b32_e32 v23, 3, v22
	v_add_co_u32_e32 v4, vcc, s22, v4
	v_addc_co_u32_e32 v5, vcc, v9, v5, vcc
	v_add_co_u32_e32 v4, vcc, 16, v4
	s_mul_i32 s15, s1, 7
	s_mul_i32 s19, s1, 6
	;; [unrolled: 1-line block ×3, first 2 shown]
	s_lshl_b32 s25, s1, 2
	s_mul_i32 s26, s1, 3
	s_lshl_b32 s27, s1, 1
	v_addc_co_u32_e32 v5, vcc, 0, v5, vcc
	s_mov_b64 s[12:13], 0
	v_lshlrev_b32_e32 v24, 1, v8
	v_lshlrev_b32_e32 v25, 1, v7
	s_movk_i32 s22, 0x700
	v_mov_b32_e32 v7, v6
	v_mov_b32_e32 v8, v6
	;; [unrolled: 1-line block ×15, first 2 shown]
.LBB215_2:                              ; =>This Inner Loop Header: Depth=1
	v_add_u32_e32 v26, s3, v22
	v_mad_i64_i32 v[26:27], s[16:17], v26, 50, s[20:21]
	global_load_dword v53, v[4:5], off offset:16
	global_load_dwordx4 v[45:48], v[4:5], off
	global_load_dwordx4 v[49:52], v[4:5], off offset:-16
	s_getpc_b64 s[16:17]
	s_add_u32 s16, s16, _ZL13iq1s_grid_gpu@rel32@lo+4
	s_addc_u32 s17, s17, _ZL13iq1s_grid_gpu@rel32@hi+12
	v_add_co_u32_e32 v28, vcc, v26, v24
	v_addc_co_u32_e32 v29, vcc, 0, v27, vcc
	global_load_dword v33, v[28:29], off offset:2
	v_add_co_u32_e32 v28, vcc, v26, v25
	v_addc_co_u32_e32 v29, vcc, 0, v27, vcc
	global_load_ushort v28, v[28:29], off offset:34
	v_mov_b32_e32 v38, 0xbf600000
	global_load_ushort v26, v[26:27], off
	s_waitcnt vmcnt(3)
	v_cvt_f32_f16_sdwa v54, v49 dst_sel:DWORD dst_unused:UNUSED_PAD src0_sel:WORD_1
	s_waitcnt vmcnt(2)
	v_and_b32_e32 v29, 0xff, v33
	v_lshrrev_b32_e32 v35, 24, v33
	s_waitcnt vmcnt(1)
	v_lshlrev_b32_e32 v30, 8, v28
	v_and_or_b32 v29, v30, s22, v29
	v_lshlrev_b32_e32 v29, 2, v29
	global_load_dword v30, v29, s[16:17]
	v_lshlrev_b32_e32 v32, 5, v28
	s_waitcnt vmcnt(1)
	v_cvt_f32_f16_e32 v26, v26
	v_lshrrev_b32_e32 v27, 11, v28
	v_and_or_b32 v27, v27, 14, 1
	v_cvt_f32_ubyte0_e32 v27, v27
	s_waitcnt vmcnt(0)
	v_and_b32_e32 v29, 0xf0f0f0f, v30
	v_lshrrev_b32_e32 v30, 4, v30
	v_and_b32_e32 v30, 0xf0f0f0f, v30
	v_dot4_i32_i8 v31, v29, v50, 0
	v_dot4_i32_i8 v34, v30, v51, v31
	v_bfe_u32 v31, v33, 8, 8
	v_and_or_b32 v31, v32, s22, v31
	v_lshlrev_b32_e32 v31, 2, v31
	global_load_dword v32, v31, s[16:17]
	v_bfe_u32 v33, v33, 16, 8
	s_waitcnt vmcnt(0)
	v_and_b32_e32 v31, 0xf0f0f0f, v32
	v_lshrrev_b32_e32 v32, 4, v32
	v_and_b32_e32 v32, 0xf0f0f0f, v32
	v_dot4_i32_i8 v34, v31, v52, v34
	v_dot4_i32_i8 v36, v32, v45, v34
	v_lshlrev_b32_e32 v34, 2, v28
	v_and_or_b32 v33, v34, s22, v33
	v_lshlrev_b32_e32 v33, 2, v33
	global_load_dword v34, v33, s[16:17]
	s_waitcnt vmcnt(0)
	v_and_b32_e32 v33, 0xf0f0f0f, v34
	v_lshrrev_b32_e32 v34, 4, v34
	v_and_b32_e32 v34, 0xf0f0f0f, v34
	v_dot4_i32_i8 v36, v33, v46, v36
	v_dot4_i32_i8 v37, v34, v47, v36
	v_lshrrev_b32_e32 v36, 1, v28
	v_and_or_b32 v35, v36, s22, v35
	v_lshlrev_b32_e32 v35, 2, v35
	global_load_dword v36, v35, s[16:17]
	s_waitcnt vmcnt(0)
	v_and_b32_e32 v35, 0xf0f0f0f, v36
	v_lshrrev_b32_e32 v36, 4, v36
	v_and_b32_e32 v36, 0xf0f0f0f, v36
	v_dot4_i32_i8 v37, v35, v48, v37
	v_dot4_i32_i8 v39, v36, v53, v37
	v_mul_f32_e32 v37, v27, v26
	v_and_b32_e32 v26, 0x8000, v28
	v_cvt_f32_u32_e32 v26, v26
	v_fmac_f32_e32 v38, 0xb7000000, v26
	v_cvt_f32_i32_e32 v26, v39
	v_mul_f32_e32 v27, v38, v54
	v_fma_mix_f32 v26, v26, v49, v27 op_sel_hi:[0,1,0]
	v_fmac_f32_e32 v21, v37, v26
	v_add_u32_e32 v26, s0, v22
	v_mad_i64_i32 v[26:27], s[28:29], v26, 50, s[20:21]
	v_add_u32_e32 v22, 8, v22
	v_add_co_u32_e32 v39, vcc, v26, v24
	v_addc_co_u32_e32 v40, vcc, 0, v27, vcc
	global_load_dword v28, v[39:40], off offset:2
	v_add_co_u32_e32 v39, vcc, v26, v25
	v_addc_co_u32_e32 v40, vcc, 0, v27, vcc
	global_load_ushort v56, v[39:40], off offset:34
	v_add_co_u32_e32 v4, vcc, 0x900, v4
	global_load_ushort v26, v[26:27], off
	v_addc_co_u32_e32 v5, vcc, 0, v5, vcc
	v_cmp_le_u32_e32 vcc, s9, v22
	s_or_b64 s[12:13], vcc, s[12:13]
	s_waitcnt vmcnt(2)
	v_and_b32_e32 v39, 0xff, v28
	v_lshrrev_b32_e32 v55, 24, v28
	s_waitcnt vmcnt(1)
	v_lshlrev_b32_e32 v40, 8, v56
	v_and_or_b32 v39, v40, s22, v39
	v_lshlrev_b32_e32 v39, 2, v39
	global_load_dword v40, v39, s[16:17]
	v_lshlrev_b32_e32 v43, 5, v56
	s_waitcnt vmcnt(1)
	v_cvt_f32_f16_e32 v26, v26
	v_lshrrev_b32_e32 v27, 11, v56
	v_and_or_b32 v27, v27, 14, 1
	v_cvt_f32_ubyte0_e32 v27, v27
	v_mul_f32_e32 v26, v27, v26
	v_and_b32_e32 v27, 0x8000, v56
	s_waitcnt vmcnt(0)
	v_and_b32_e32 v39, 0xf0f0f0f, v40
	v_lshrrev_b32_e32 v40, 4, v40
	v_and_b32_e32 v41, 0xf0f0f0f, v40
	v_dot4_i32_i8 v40, v39, v50, 0
	v_dot4_i32_i8 v42, v41, v51, v40
	v_bfe_u32 v40, v28, 8, 8
	v_and_or_b32 v40, v43, s22, v40
	v_lshlrev_b32_e32 v40, 2, v40
	global_load_dword v40, v40, s[16:17]
	v_bfe_u32 v28, v28, 16, 8
	s_waitcnt vmcnt(0)
	v_and_b32_e32 v44, 0xf0f0f0f, v40
	v_lshrrev_b32_e32 v40, 4, v40
	v_and_b32_e32 v40, 0xf0f0f0f, v40
	v_dot4_i32_i8 v42, v44, v52, v42
	v_dot4_i32_i8 v45, v40, v45, v42
	v_lshlrev_b32_e32 v42, 2, v56
	v_and_or_b32 v28, v42, s22, v28
	v_lshlrev_b32_e32 v28, 2, v28
	global_load_dword v28, v28, s[16:17]
	s_waitcnt vmcnt(0)
	v_and_b32_e32 v43, 0xf0f0f0f, v28
	v_lshrrev_b32_e32 v28, 4, v28
	v_and_b32_e32 v42, 0xf0f0f0f, v28
	v_dot4_i32_i8 v28, v43, v46, v45
	v_dot4_i32_i8 v46, v42, v47, v28
	v_lshrrev_b32_e32 v28, 1, v56
	v_and_or_b32 v28, v28, s22, v55
	v_lshlrev_b32_e32 v28, 2, v28
	global_load_dword v28, v28, s[16:17]
	v_cvt_f32_u32_e32 v47, v27
	v_mov_b32_e32 v27, 0xbf600000
	v_fmac_f32_e32 v27, 0xb7000000, v47
	v_mul_f32_e32 v47, v27, v54
	s_waitcnt vmcnt(0)
	v_and_b32_e32 v45, 0xf0f0f0f, v28
	v_lshrrev_b32_e32 v28, 4, v28
	v_and_b32_e32 v28, 0xf0f0f0f, v28
	v_dot4_i32_i8 v46, v45, v48, v46
	v_dot4_i32_i8 v46, v28, v53, v46
	v_cvt_f32_i32_e32 v46, v46
	v_fma_mix_f32 v46, v46, v49, v47 op_sel_hi:[0,1,0]
	v_fmac_f32_e32 v20, v26, v46
	v_add_u32_e32 v46, s1, v23
	v_mad_u64_u32 v[54:55], s[16:17], v46, 36, v[2:3]
	global_load_dword v56, v[54:55], off offset:32
	global_load_dwordx4 v[46:49], v[54:55], off offset:16
	global_load_dwordx4 v[50:53], v[54:55], off
	s_waitcnt vmcnt(0)
	v_dot4_i32_i8 v55, v29, v51, 0
	v_dot4_i32_i8 v51, v39, v51, 0
	v_dot4_i32_i8 v55, v30, v52, v55
	v_dot4_i32_i8 v51, v41, v52, v51
	v_dot4_i32_i8 v55, v31, v53, v55
	v_dot4_i32_i8 v51, v44, v53, v51
	v_dot4_i32_i8 v55, v32, v46, v55
	v_dot4_i32_i8 v46, v40, v46, v51
	v_dot4_i32_i8 v46, v43, v47, v46
	v_dot4_i32_i8 v55, v33, v47, v55
	v_dot4_i32_i8 v46, v42, v48, v46
	v_dot4_i32_i8 v55, v34, v48, v55
	v_dot4_i32_i8 v46, v45, v49, v46
	v_cvt_f32_f16_sdwa v54, v50 dst_sel:DWORD dst_unused:UNUSED_PAD src0_sel:WORD_1
	v_dot4_i32_i8 v55, v35, v49, v55
	v_dot4_i32_i8 v46, v28, v56, v46
	v_dot4_i32_i8 v55, v36, v56, v55
	v_cvt_f32_i32_e32 v46, v46
	v_cvt_f32_i32_e32 v55, v55
	v_mul_f32_e32 v47, v27, v54
	v_mul_f32_e32 v57, v38, v54
	v_fma_mix_f32 v46, v46, v50, v47 op_sel_hi:[0,1,0]
	v_fma_mix_f32 v55, v55, v50, v57 op_sel_hi:[0,1,0]
	v_fmac_f32_e32 v18, v26, v46
	v_add_u32_e32 v46, s27, v23
	v_fmac_f32_e32 v19, v37, v55
	v_mad_u64_u32 v[54:55], s[16:17], v46, 36, v[2:3]
	global_load_dword v56, v[54:55], off offset:32
	global_load_dwordx4 v[46:49], v[54:55], off offset:16
	global_load_dwordx4 v[50:53], v[54:55], off
	s_waitcnt vmcnt(0)
	v_dot4_i32_i8 v55, v29, v51, 0
	v_dot4_i32_i8 v51, v39, v51, 0
	v_dot4_i32_i8 v55, v30, v52, v55
	v_dot4_i32_i8 v51, v41, v52, v51
	v_dot4_i32_i8 v55, v31, v53, v55
	v_dot4_i32_i8 v51, v44, v53, v51
	v_dot4_i32_i8 v55, v32, v46, v55
	v_dot4_i32_i8 v46, v40, v46, v51
	v_dot4_i32_i8 v46, v43, v47, v46
	v_dot4_i32_i8 v55, v33, v47, v55
	v_dot4_i32_i8 v46, v42, v48, v46
	v_dot4_i32_i8 v55, v34, v48, v55
	v_dot4_i32_i8 v46, v45, v49, v46
	v_cvt_f32_f16_sdwa v54, v50 dst_sel:DWORD dst_unused:UNUSED_PAD src0_sel:WORD_1
	v_dot4_i32_i8 v55, v35, v49, v55
	v_dot4_i32_i8 v46, v28, v56, v46
	v_dot4_i32_i8 v55, v36, v56, v55
	v_cvt_f32_i32_e32 v46, v46
	v_cvt_f32_i32_e32 v55, v55
	v_mul_f32_e32 v47, v27, v54
	v_mul_f32_e32 v57, v38, v54
	v_fma_mix_f32 v46, v46, v50, v47 op_sel_hi:[0,1,0]
	v_fma_mix_f32 v55, v55, v50, v57 op_sel_hi:[0,1,0]
	v_fmac_f32_e32 v16, v26, v46
	v_add_u32_e32 v46, s26, v23
	v_fmac_f32_e32 v17, v37, v55
	;; [unrolled: 31-line block ×6, first 2 shown]
	v_mad_u64_u32 v[54:55], s[16:17], v46, 36, v[2:3]
	global_load_dword v56, v[54:55], off offset:32
	global_load_dwordx4 v[46:49], v[54:55], off offset:16
	global_load_dwordx4 v[50:53], v[54:55], off
	v_add_u32_e32 v23, 64, v23
	s_waitcnt vmcnt(0)
	v_dot4_i32_i8 v29, v29, v51, 0
	v_dot4_i32_i8 v29, v30, v52, v29
	;; [unrolled: 1-line block ×7, first 2 shown]
	v_cvt_f32_f16_sdwa v54, v50 dst_sel:DWORD dst_unused:UNUSED_PAD src0_sel:WORD_1
	v_dot4_i32_i8 v29, v36, v56, v29
	v_cvt_f32_i32_e32 v29, v29
	v_mul_f32_e32 v30, v38, v54
	v_mul_f32_e32 v27, v27, v54
	v_fma_mix_f32 v29, v29, v50, v30 op_sel_hi:[0,1,0]
	v_fmac_f32_e32 v7, v37, v29
	v_dot4_i32_i8 v29, v39, v51, 0
	v_dot4_i32_i8 v29, v41, v52, v29
	;; [unrolled: 1-line block ×8, first 2 shown]
	v_cvt_f32_i32_e32 v28, v28
	v_fma_mix_f32 v27, v28, v50, v27 op_sel_hi:[0,1,0]
	v_fmac_f32_e32 v6, v26, v27
	s_andn2_b64 exec, exec, s[12:13]
	s_cbranch_execnz .LBB215_2
; %bb.3:
	s_or_b64 exec, exec, s[12:13]
.LBB215_4:
	s_or_b64 exec, exec, s[10:11]
	s_mov_b32 s1, 0
	v_cmp_eq_u32_e32 vcc, 0, v1
	; wave barrier
	s_and_saveexec_b64 s[10:11], vcc
	s_cbranch_execz .LBB215_21
; %bb.5:
	v_mbcnt_lo_u32_b32 v1, -1, 0
	v_mbcnt_hi_u32_b32 v22, -1, v1
	v_and_b32_e32 v1, 64, v22
	v_add_u32_e32 v23, 64, v1
	v_xor_b32_e32 v1, 32, v22
	v_cmp_lt_i32_e32 vcc, v1, v23
	v_cndmask_b32_e32 v1, v22, v1, vcc
	v_lshlrev_b32_e32 v1, 2, v1
	ds_bpermute_b32 v5, v1, v21
	ds_bpermute_b32 v24, v1, v20
	v_xor_b32_e32 v2, 16, v22
	v_cmp_lt_i32_e32 vcc, v2, v23
	v_cndmask_b32_e32 v2, v22, v2, vcc
	v_lshlrev_b32_e32 v2, 2, v2
	s_waitcnt lgkmcnt(1)
	v_add_f32_e32 v5, v21, v5
	s_waitcnt lgkmcnt(0)
	v_add_f32_e32 v20, v20, v24
	ds_bpermute_b32 v21, v2, v5
	ds_bpermute_b32 v24, v2, v20
	v_xor_b32_e32 v3, 8, v22
	v_cmp_lt_i32_e32 vcc, v3, v23
	v_cndmask_b32_e32 v3, v22, v3, vcc
	v_lshlrev_b32_e32 v3, 2, v3
	s_waitcnt lgkmcnt(1)
	v_add_f32_e32 v21, v5, v21
	s_waitcnt lgkmcnt(0)
	v_add_f32_e32 v20, v20, v24
	;; [unrolled: 10-line block ×3, first 2 shown]
	ds_bpermute_b32 v26, v4, v21
	ds_bpermute_b32 v24, v4, v20
	v_xor_b32_e32 v25, 2, v22
	v_cmp_lt_i32_e32 vcc, v25, v23
	v_cndmask_b32_e32 v25, v22, v25, vcc
	v_lshlrev_b32_e32 v5, 2, v25
	v_xor_b32_e32 v25, 1, v22
	s_waitcnt lgkmcnt(1)
	v_add_f32_e32 v21, v21, v26
	s_waitcnt lgkmcnt(0)
	v_add_f32_e32 v20, v20, v24
	v_cmp_lt_i32_e32 vcc, v25, v23
	ds_bpermute_b32 v23, v5, v21
	ds_bpermute_b32 v24, v5, v20
	s_load_dwordx2 s[4:5], s[4:5], 0x38
	v_cndmask_b32_e32 v22, v22, v25, vcc
	s_mul_i32 s3, s14, s7
	v_lshlrev_b32_e32 v22, 2, v22
	s_waitcnt lgkmcnt(0)
	v_add_f32_e32 v21, v21, v23
	v_add_f32_e32 v24, v20, v24
	s_mul_i32 s0, s18, s8
	s_add_i32 s3, s3, s6
	ds_bpermute_b32 v23, v22, v21
	ds_bpermute_b32 v25, v22, v24
	s_add_i32 s0, s3, s0
	s_lshl_b64 s[0:1], s[0:1], 2
	s_add_u32 s4, s4, s0
	v_add_u32_e32 v20, s6, v0
	s_addc_u32 s5, s5, s1
	v_cmp_gt_u32_e32 vcc, 2, v0
	v_cmp_gt_u32_e64 s[0:1], s2, v20
	s_and_b64 s[0:1], vcc, s[0:1]
	s_waitcnt lgkmcnt(1)
	v_add_f32_e32 v20, v21, v23
	s_waitcnt lgkmcnt(0)
	v_add_f32_e32 v21, v24, v25
	s_and_saveexec_b64 s[6:7], s[0:1]
	s_cbranch_execz .LBB215_7
; %bb.6:
	v_cmp_eq_u32_e32 vcc, 1, v0
	v_cndmask_b32_e32 v23, v20, v21, vcc
	v_cmp_eq_u32_e32 vcc, 2, v0
	v_cndmask_b32_e32 v23, v23, v19, vcc
	;; [unrolled: 2-line block ×15, first 2 shown]
	v_lshlrev_b32_e32 v24, 2, v0
	global_store_dword v24, v23, s[4:5]
.LBB215_7:
	s_or_b64 exec, exec, s[6:7]
	ds_bpermute_b32 v23, v1, v19
	ds_bpermute_b32 v24, v1, v18
	s_waitcnt lgkmcnt(1)
	v_add_f32_e32 v19, v19, v23
	s_waitcnt lgkmcnt(0)
	v_add_f32_e32 v18, v18, v24
	ds_bpermute_b32 v23, v2, v19
	ds_bpermute_b32 v24, v2, v18
	s_waitcnt lgkmcnt(1)
	v_add_f32_e32 v19, v19, v23
	s_waitcnt lgkmcnt(0)
	v_add_f32_e32 v18, v18, v24
	;; [unrolled: 6-line block ×6, first 2 shown]
	s_and_saveexec_b64 s[6:7], s[0:1]
	s_cbranch_execz .LBB215_9
; %bb.8:
	v_add_u32_e32 v23, 2, v0
	v_cmp_eq_u32_e32 vcc, 1, v23
	v_cndmask_b32_e32 v24, v20, v21, vcc
	v_cmp_eq_u32_e32 vcc, 2, v23
	v_cndmask_b32_e32 v24, v24, v19, vcc
	;; [unrolled: 2-line block ×15, first 2 shown]
	v_add_u32_e32 v23, s2, v0
	v_mov_b32_e32 v24, 0
	v_lshlrev_b64 v[23:24], 2, v[23:24]
	v_mov_b32_e32 v26, s5
	v_add_co_u32_e32 v23, vcc, s4, v23
	v_addc_co_u32_e32 v24, vcc, v26, v24, vcc
	global_store_dword v[23:24], v25, off
.LBB215_9:
	s_or_b64 exec, exec, s[6:7]
	ds_bpermute_b32 v23, v1, v17
	ds_bpermute_b32 v24, v1, v16
	s_waitcnt lgkmcnt(1)
	v_add_f32_e32 v17, v17, v23
	s_waitcnt lgkmcnt(0)
	v_add_f32_e32 v16, v16, v24
	ds_bpermute_b32 v23, v2, v17
	ds_bpermute_b32 v24, v2, v16
	s_waitcnt lgkmcnt(1)
	v_add_f32_e32 v17, v17, v23
	s_waitcnt lgkmcnt(0)
	v_add_f32_e32 v16, v16, v24
	;; [unrolled: 6-line block ×6, first 2 shown]
	s_and_saveexec_b64 s[6:7], s[0:1]
	s_cbranch_execz .LBB215_11
; %bb.10:
	v_add_u32_e32 v23, 4, v0
	v_cmp_eq_u32_e32 vcc, 1, v23
	v_cndmask_b32_e32 v24, v20, v21, vcc
	v_cmp_eq_u32_e32 vcc, 2, v23
	v_cndmask_b32_e32 v24, v24, v19, vcc
	;; [unrolled: 2-line block ×15, first 2 shown]
	v_lshl_or_b32 v23, s2, 1, v0
	v_mov_b32_e32 v24, 0
	v_lshlrev_b64 v[23:24], 2, v[23:24]
	v_mov_b32_e32 v26, s5
	v_add_co_u32_e32 v23, vcc, s4, v23
	v_addc_co_u32_e32 v24, vcc, v26, v24, vcc
	global_store_dword v[23:24], v25, off
.LBB215_11:
	s_or_b64 exec, exec, s[6:7]
	ds_bpermute_b32 v23, v1, v15
	ds_bpermute_b32 v24, v1, v14
	s_waitcnt lgkmcnt(1)
	v_add_f32_e32 v15, v15, v23
	s_waitcnt lgkmcnt(0)
	v_add_f32_e32 v14, v14, v24
	ds_bpermute_b32 v23, v2, v15
	ds_bpermute_b32 v24, v2, v14
	s_waitcnt lgkmcnt(1)
	v_add_f32_e32 v15, v15, v23
	s_waitcnt lgkmcnt(0)
	v_add_f32_e32 v14, v14, v24
	;; [unrolled: 6-line block ×6, first 2 shown]
	s_and_saveexec_b64 s[6:7], s[0:1]
	s_cbranch_execz .LBB215_13
; %bb.12:
	v_add_u32_e32 v25, 6, v0
	v_cmp_eq_u32_e32 vcc, 1, v25
	v_cndmask_b32_e32 v23, v20, v21, vcc
	v_cmp_eq_u32_e32 vcc, 2, v25
	v_cndmask_b32_e32 v23, v23, v19, vcc
	;; [unrolled: 2-line block ×14, first 2 shown]
	v_mad_u64_u32 v[23:24], s[8:9], s2, 3, v[0:1]
	v_mov_b32_e32 v24, 0
	v_cmp_eq_u32_e32 vcc, 15, v25
	v_lshlrev_b64 v[23:24], 2, v[23:24]
	v_cndmask_b32_e32 v25, v26, v6, vcc
	v_mov_b32_e32 v26, s5
	v_add_co_u32_e32 v23, vcc, s4, v23
	v_addc_co_u32_e32 v24, vcc, v26, v24, vcc
	global_store_dword v[23:24], v25, off
.LBB215_13:
	s_or_b64 exec, exec, s[6:7]
	ds_bpermute_b32 v23, v1, v13
	ds_bpermute_b32 v24, v1, v12
	s_waitcnt lgkmcnt(1)
	v_add_f32_e32 v13, v13, v23
	s_waitcnt lgkmcnt(0)
	v_add_f32_e32 v12, v12, v24
	ds_bpermute_b32 v23, v2, v13
	ds_bpermute_b32 v24, v2, v12
	s_waitcnt lgkmcnt(1)
	v_add_f32_e32 v13, v13, v23
	s_waitcnt lgkmcnt(0)
	v_add_f32_e32 v12, v12, v24
	;; [unrolled: 6-line block ×6, first 2 shown]
	s_and_saveexec_b64 s[6:7], s[0:1]
	s_cbranch_execz .LBB215_15
; %bb.14:
	v_add_u32_e32 v23, 8, v0
	v_cmp_eq_u32_e32 vcc, 1, v23
	v_cndmask_b32_e32 v24, v20, v21, vcc
	v_cmp_eq_u32_e32 vcc, 2, v23
	v_cndmask_b32_e32 v24, v24, v19, vcc
	v_cmp_eq_u32_e32 vcc, 3, v23
	v_cndmask_b32_e32 v24, v24, v18, vcc
	v_cmp_eq_u32_e32 vcc, 4, v23
	v_cndmask_b32_e32 v24, v24, v17, vcc
	v_cmp_eq_u32_e32 vcc, 5, v23
	v_cndmask_b32_e32 v24, v24, v16, vcc
	v_cmp_eq_u32_e32 vcc, 6, v23
	v_cndmask_b32_e32 v24, v24, v15, vcc
	v_cmp_eq_u32_e32 vcc, 7, v23
	v_cndmask_b32_e32 v24, v24, v14, vcc
	v_cmp_eq_u32_e32 vcc, 8, v23
	v_cndmask_b32_e32 v24, v24, v13, vcc
	v_cmp_eq_u32_e32 vcc, 9, v23
	v_cndmask_b32_e32 v24, v24, v12, vcc
	v_cmp_eq_u32_e32 vcc, 10, v23
	v_cndmask_b32_e32 v24, v24, v11, vcc
	v_cmp_eq_u32_e32 vcc, 11, v23
	v_cndmask_b32_e32 v24, v24, v10, vcc
	v_cmp_eq_u32_e32 vcc, 12, v23
	v_cndmask_b32_e32 v24, v24, v9, vcc
	v_cmp_eq_u32_e32 vcc, 13, v23
	v_cndmask_b32_e32 v24, v24, v8, vcc
	v_cmp_eq_u32_e32 vcc, 14, v23
	v_cndmask_b32_e32 v24, v24, v7, vcc
	v_cmp_eq_u32_e32 vcc, 15, v23
	v_cndmask_b32_e32 v25, v24, v6, vcc
	v_lshl_or_b32 v23, s2, 2, v0
	v_mov_b32_e32 v24, 0
	v_lshlrev_b64 v[23:24], 2, v[23:24]
	v_mov_b32_e32 v26, s5
	v_add_co_u32_e32 v23, vcc, s4, v23
	v_addc_co_u32_e32 v24, vcc, v26, v24, vcc
	global_store_dword v[23:24], v25, off
.LBB215_15:
	s_or_b64 exec, exec, s[6:7]
	ds_bpermute_b32 v23, v1, v11
	ds_bpermute_b32 v24, v1, v10
	s_waitcnt lgkmcnt(1)
	v_add_f32_e32 v11, v11, v23
	s_waitcnt lgkmcnt(0)
	v_add_f32_e32 v10, v10, v24
	ds_bpermute_b32 v23, v2, v11
	ds_bpermute_b32 v24, v2, v10
	s_waitcnt lgkmcnt(1)
	v_add_f32_e32 v11, v11, v23
	s_waitcnt lgkmcnt(0)
	v_add_f32_e32 v10, v10, v24
	;; [unrolled: 6-line block ×6, first 2 shown]
	s_and_saveexec_b64 s[6:7], s[0:1]
	s_cbranch_execz .LBB215_17
; %bb.16:
	v_add_u32_e32 v25, 10, v0
	v_cmp_eq_u32_e32 vcc, 1, v25
	v_cndmask_b32_e32 v23, v20, v21, vcc
	v_cmp_eq_u32_e32 vcc, 2, v25
	v_cndmask_b32_e32 v23, v23, v19, vcc
	v_cmp_eq_u32_e32 vcc, 3, v25
	v_cndmask_b32_e32 v23, v23, v18, vcc
	v_cmp_eq_u32_e32 vcc, 4, v25
	v_cndmask_b32_e32 v23, v23, v17, vcc
	v_cmp_eq_u32_e32 vcc, 5, v25
	v_cndmask_b32_e32 v23, v23, v16, vcc
	v_cmp_eq_u32_e32 vcc, 6, v25
	v_cndmask_b32_e32 v23, v23, v15, vcc
	v_cmp_eq_u32_e32 vcc, 7, v25
	v_cndmask_b32_e32 v23, v23, v14, vcc
	v_cmp_eq_u32_e32 vcc, 8, v25
	v_cndmask_b32_e32 v23, v23, v13, vcc
	v_cmp_eq_u32_e32 vcc, 9, v25
	v_cndmask_b32_e32 v23, v23, v12, vcc
	v_cmp_eq_u32_e32 vcc, 10, v25
	v_cndmask_b32_e32 v23, v23, v11, vcc
	v_cmp_eq_u32_e32 vcc, 11, v25
	v_cndmask_b32_e32 v23, v23, v10, vcc
	v_cmp_eq_u32_e32 vcc, 12, v25
	v_cndmask_b32_e32 v23, v23, v9, vcc
	v_cmp_eq_u32_e32 vcc, 13, v25
	v_cndmask_b32_e32 v23, v23, v8, vcc
	v_cmp_eq_u32_e32 vcc, 14, v25
	v_cndmask_b32_e32 v26, v23, v7, vcc
	v_mad_u64_u32 v[23:24], s[8:9], s2, 5, v[0:1]
	v_mov_b32_e32 v24, 0
	v_cmp_eq_u32_e32 vcc, 15, v25
	v_lshlrev_b64 v[23:24], 2, v[23:24]
	v_cndmask_b32_e32 v25, v26, v6, vcc
	v_mov_b32_e32 v26, s5
	v_add_co_u32_e32 v23, vcc, s4, v23
	v_addc_co_u32_e32 v24, vcc, v26, v24, vcc
	global_store_dword v[23:24], v25, off
.LBB215_17:
	s_or_b64 exec, exec, s[6:7]
	ds_bpermute_b32 v23, v1, v9
	ds_bpermute_b32 v24, v1, v8
	s_waitcnt lgkmcnt(1)
	v_add_f32_e32 v9, v9, v23
	s_waitcnt lgkmcnt(0)
	v_add_f32_e32 v8, v8, v24
	ds_bpermute_b32 v23, v2, v9
	ds_bpermute_b32 v24, v2, v8
	s_waitcnt lgkmcnt(1)
	v_add_f32_e32 v9, v9, v23
	s_waitcnt lgkmcnt(0)
	v_add_f32_e32 v8, v8, v24
	;; [unrolled: 6-line block ×6, first 2 shown]
	s_and_saveexec_b64 s[6:7], s[0:1]
	s_cbranch_execz .LBB215_19
; %bb.18:
	v_add_u32_e32 v23, 12, v0
	v_cmp_eq_u32_e32 vcc, 1, v23
	v_cndmask_b32_e32 v24, v20, v21, vcc
	v_cmp_eq_u32_e32 vcc, 2, v23
	v_cndmask_b32_e32 v24, v24, v19, vcc
	;; [unrolled: 2-line block ×14, first 2 shown]
	v_cmp_eq_u32_e32 vcc, 15, v23
	s_mul_i32 s3, s2, 6
	v_cndmask_b32_e32 v25, v24, v6, vcc
	v_or_b32_e32 v23, s3, v0
	v_mov_b32_e32 v24, 0
	v_lshlrev_b64 v[23:24], 2, v[23:24]
	v_mov_b32_e32 v26, s5
	v_add_co_u32_e32 v23, vcc, s4, v23
	v_addc_co_u32_e32 v24, vcc, v26, v24, vcc
	global_store_dword v[23:24], v25, off
.LBB215_19:
	s_or_b64 exec, exec, s[6:7]
	ds_bpermute_b32 v23, v1, v7
	ds_bpermute_b32 v1, v1, v6
	s_waitcnt lgkmcnt(1)
	v_add_f32_e32 v7, v7, v23
	s_waitcnt lgkmcnt(0)
	v_add_f32_e32 v1, v6, v1
	ds_bpermute_b32 v6, v2, v7
	ds_bpermute_b32 v2, v2, v1
	s_waitcnt lgkmcnt(1)
	v_add_f32_e32 v6, v7, v6
	s_waitcnt lgkmcnt(0)
	v_add_f32_e32 v1, v1, v2
	;; [unrolled: 6-line block ×5, first 2 shown]
	ds_bpermute_b32 v3, v22, v1
	ds_bpermute_b32 v4, v22, v2
	s_and_b64 exec, exec, s[0:1]
	s_cbranch_execz .LBB215_21
; %bb.20:
	s_waitcnt lgkmcnt(1)
	v_add_f32_e32 v1, v1, v3
	v_add_u32_e32 v3, 14, v0
	v_cmp_eq_u32_e32 vcc, 1, v3
	s_waitcnt lgkmcnt(0)
	v_add_f32_e32 v2, v2, v4
	v_cndmask_b32_e32 v4, v20, v21, vcc
	v_cmp_eq_u32_e32 vcc, 2, v3
	v_cndmask_b32_e32 v4, v4, v19, vcc
	v_cmp_eq_u32_e32 vcc, 3, v3
	;; [unrolled: 2-line block ×13, first 2 shown]
	v_cndmask_b32_e32 v4, v4, v1, vcc
	v_mad_u64_u32 v[0:1], s[0:1], s2, 7, v[0:1]
	v_mov_b32_e32 v1, 0
	v_cmp_eq_u32_e32 vcc, 15, v3
	v_lshlrev_b64 v[0:1], 2, v[0:1]
	v_cndmask_b32_e32 v2, v4, v2, vcc
	v_mov_b32_e32 v3, s5
	v_add_co_u32_e32 v0, vcc, s4, v0
	v_addc_co_u32_e32 v1, vcc, v3, v1, vcc
	global_store_dword v[0:1], v2, off
.LBB215_21:
	s_endpgm
	.section	.rodata,"a",@progbits
	.p2align	6, 0x0
	.amdhsa_kernel _ZL13mul_mat_vec_qIL9ggml_type19ELi8ELb0ELb0EEvPKvS2_PKi31ggml_cuda_mm_fusion_args_devicePfj15HIP_vector_typeIjLj3EEjjjS8_jjjS8_jjjj
		.amdhsa_group_segment_fixed_size 0
		.amdhsa_private_segment_fixed_size 0
		.amdhsa_kernarg_size 144
		.amdhsa_user_sgpr_count 6
		.amdhsa_user_sgpr_private_segment_buffer 1
		.amdhsa_user_sgpr_dispatch_ptr 0
		.amdhsa_user_sgpr_queue_ptr 0
		.amdhsa_user_sgpr_kernarg_segment_ptr 1
		.amdhsa_user_sgpr_dispatch_id 0
		.amdhsa_user_sgpr_flat_scratch_init 0
		.amdhsa_user_sgpr_private_segment_size 0
		.amdhsa_uses_dynamic_stack 0
		.amdhsa_system_sgpr_private_segment_wavefront_offset 0
		.amdhsa_system_sgpr_workgroup_id_x 1
		.amdhsa_system_sgpr_workgroup_id_y 1
		.amdhsa_system_sgpr_workgroup_id_z 1
		.amdhsa_system_sgpr_workgroup_info 0
		.amdhsa_system_vgpr_workitem_id 1
		.amdhsa_next_free_vgpr 58
		.amdhsa_next_free_sgpr 30
		.amdhsa_reserve_vcc 1
		.amdhsa_reserve_flat_scratch 0
		.amdhsa_float_round_mode_32 0
		.amdhsa_float_round_mode_16_64 0
		.amdhsa_float_denorm_mode_32 3
		.amdhsa_float_denorm_mode_16_64 3
		.amdhsa_dx10_clamp 1
		.amdhsa_ieee_mode 1
		.amdhsa_fp16_overflow 0
		.amdhsa_exception_fp_ieee_invalid_op 0
		.amdhsa_exception_fp_denorm_src 0
		.amdhsa_exception_fp_ieee_div_zero 0
		.amdhsa_exception_fp_ieee_overflow 0
		.amdhsa_exception_fp_ieee_underflow 0
		.amdhsa_exception_fp_ieee_inexact 0
		.amdhsa_exception_int_div_zero 0
	.end_amdhsa_kernel
	.section	.text._ZL13mul_mat_vec_qIL9ggml_type19ELi8ELb0ELb0EEvPKvS2_PKi31ggml_cuda_mm_fusion_args_devicePfj15HIP_vector_typeIjLj3EEjjjS8_jjjS8_jjjj,"axG",@progbits,_ZL13mul_mat_vec_qIL9ggml_type19ELi8ELb0ELb0EEvPKvS2_PKi31ggml_cuda_mm_fusion_args_devicePfj15HIP_vector_typeIjLj3EEjjjS8_jjjS8_jjjj,comdat
.Lfunc_end215:
	.size	_ZL13mul_mat_vec_qIL9ggml_type19ELi8ELb0ELb0EEvPKvS2_PKi31ggml_cuda_mm_fusion_args_devicePfj15HIP_vector_typeIjLj3EEjjjS8_jjjS8_jjjj, .Lfunc_end215-_ZL13mul_mat_vec_qIL9ggml_type19ELi8ELb0ELb0EEvPKvS2_PKi31ggml_cuda_mm_fusion_args_devicePfj15HIP_vector_typeIjLj3EEjjjS8_jjjS8_jjjj
                                        ; -- End function
	.set _ZL13mul_mat_vec_qIL9ggml_type19ELi8ELb0ELb0EEvPKvS2_PKi31ggml_cuda_mm_fusion_args_devicePfj15HIP_vector_typeIjLj3EEjjjS8_jjjS8_jjjj.num_vgpr, 58
	.set _ZL13mul_mat_vec_qIL9ggml_type19ELi8ELb0ELb0EEvPKvS2_PKi31ggml_cuda_mm_fusion_args_devicePfj15HIP_vector_typeIjLj3EEjjjS8_jjjS8_jjjj.num_agpr, 0
	.set _ZL13mul_mat_vec_qIL9ggml_type19ELi8ELb0ELb0EEvPKvS2_PKi31ggml_cuda_mm_fusion_args_devicePfj15HIP_vector_typeIjLj3EEjjjS8_jjjS8_jjjj.numbered_sgpr, 30
	.set _ZL13mul_mat_vec_qIL9ggml_type19ELi8ELb0ELb0EEvPKvS2_PKi31ggml_cuda_mm_fusion_args_devicePfj15HIP_vector_typeIjLj3EEjjjS8_jjjS8_jjjj.num_named_barrier, 0
	.set _ZL13mul_mat_vec_qIL9ggml_type19ELi8ELb0ELb0EEvPKvS2_PKi31ggml_cuda_mm_fusion_args_devicePfj15HIP_vector_typeIjLj3EEjjjS8_jjjS8_jjjj.private_seg_size, 0
	.set _ZL13mul_mat_vec_qIL9ggml_type19ELi8ELb0ELb0EEvPKvS2_PKi31ggml_cuda_mm_fusion_args_devicePfj15HIP_vector_typeIjLj3EEjjjS8_jjjS8_jjjj.uses_vcc, 1
	.set _ZL13mul_mat_vec_qIL9ggml_type19ELi8ELb0ELb0EEvPKvS2_PKi31ggml_cuda_mm_fusion_args_devicePfj15HIP_vector_typeIjLj3EEjjjS8_jjjS8_jjjj.uses_flat_scratch, 0
	.set _ZL13mul_mat_vec_qIL9ggml_type19ELi8ELb0ELb0EEvPKvS2_PKi31ggml_cuda_mm_fusion_args_devicePfj15HIP_vector_typeIjLj3EEjjjS8_jjjS8_jjjj.has_dyn_sized_stack, 0
	.set _ZL13mul_mat_vec_qIL9ggml_type19ELi8ELb0ELb0EEvPKvS2_PKi31ggml_cuda_mm_fusion_args_devicePfj15HIP_vector_typeIjLj3EEjjjS8_jjjS8_jjjj.has_recursion, 0
	.set _ZL13mul_mat_vec_qIL9ggml_type19ELi8ELb0ELb0EEvPKvS2_PKi31ggml_cuda_mm_fusion_args_devicePfj15HIP_vector_typeIjLj3EEjjjS8_jjjS8_jjjj.has_indirect_call, 0
	.section	.AMDGPU.csdata,"",@progbits
; Kernel info:
; codeLenInByte = 5984
; TotalNumSgprs: 34
; NumVgprs: 58
; ScratchSize: 0
; MemoryBound: 0
; FloatMode: 240
; IeeeMode: 1
; LDSByteSize: 0 bytes/workgroup (compile time only)
; SGPRBlocks: 4
; VGPRBlocks: 14
; NumSGPRsForWavesPerEU: 34
; NumVGPRsForWavesPerEU: 58
; Occupancy: 4
; WaveLimiterHint : 0
; COMPUTE_PGM_RSRC2:SCRATCH_EN: 0
; COMPUTE_PGM_RSRC2:USER_SGPR: 6
; COMPUTE_PGM_RSRC2:TRAP_HANDLER: 0
; COMPUTE_PGM_RSRC2:TGID_X_EN: 1
; COMPUTE_PGM_RSRC2:TGID_Y_EN: 1
; COMPUTE_PGM_RSRC2:TGID_Z_EN: 1
; COMPUTE_PGM_RSRC2:TIDIG_COMP_CNT: 1
	.section	.text._ZL17mul_mat_vec_q_moeIL9ggml_type29ELi2EEvPKvS2_PKiPfj15HIP_vector_typeIjLj3EEjjjjjjjjj,"axG",@progbits,_ZL17mul_mat_vec_q_moeIL9ggml_type29ELi2EEvPKvS2_PKiPfj15HIP_vector_typeIjLj3EEjjjjjjjjj,comdat
	.globl	_ZL17mul_mat_vec_q_moeIL9ggml_type29ELi2EEvPKvS2_PKiPfj15HIP_vector_typeIjLj3EEjjjjjjjjj ; -- Begin function _ZL17mul_mat_vec_q_moeIL9ggml_type29ELi2EEvPKvS2_PKiPfj15HIP_vector_typeIjLj3EEjjjjjjjjj
	.p2align	8
	.type	_ZL17mul_mat_vec_q_moeIL9ggml_type29ELi2EEvPKvS2_PKiPfj15HIP_vector_typeIjLj3EEjjjjjjjjj,@function
_ZL17mul_mat_vec_q_moeIL9ggml_type29ELi2EEvPKvS2_PKiPfj15HIP_vector_typeIjLj3EEjjjjjjjjj: ; @_ZL17mul_mat_vec_q_moeIL9ggml_type29ELi2EEvPKvS2_PKiPfj15HIP_vector_typeIjLj3EEjjjjjjjjj
; %bb.0:
	s_load_dwordx8 s[8:15], s[4:5], 0x30
	s_waitcnt lgkmcnt(0)
	v_cmp_gt_u32_e32 vcc, s15, v1
	s_and_saveexec_b64 s[0:1], vcc
	s_cbranch_execz .LBB216_7
; %bb.1:
	s_load_dword s1, s[4:5], 0x20
	s_load_dword s0, s[4:5], 0x50
	s_load_dwordx8 s[16:23], s[4:5], 0x0
	v_lshrrev_b32_e32 v13, 3, v0
	s_lshl_b32 s6, s6, 1
	s_waitcnt lgkmcnt(0)
	s_lshr_b32 s15, s1, 8
	v_cmp_gt_u32_e32 vcc, s15, v13
	v_mov_b32_e32 v14, 0
	v_mov_b32_e32 v10, 0
	s_and_saveexec_b64 s[24:25], vcc
	s_cbranch_execz .LBB216_5
; %bb.2:
	v_mul_lo_u32 v2, s0, v1
	v_mov_b32_e32 v10, 0
	v_mov_b32_e32 v4, s21
	s_load_dwordx4 s[0:3], s[4:5], 0x24
	v_add_u32_e32 v9, s7, v2
	v_lshlrev_b64 v[2:3], 2, v[9:10]
	v_lshrrev_b32_e32 v8, 3, v0
	v_add_co_u32_e32 v2, vcc, s20, v2
	v_addc_co_u32_e32 v3, vcc, v4, v3, vcc
	global_load_dword v4, v[2:3], off
	v_mul_lo_u32 v2, s10, v1
	s_waitcnt lgkmcnt(0)
	s_mul_hi_u32 s0, s0, s7
	s_add_i32 s0, s7, s0
	s_movk_i32 s33, 0x120
	v_mad_u64_u32 v[2:3], s[28:29], v2, 36, 0
	s_lshr_b32 s0, s0, s1
	s_mul_i32 s2, s0, s2
	v_mad_u64_u32 v[2:3], s[0:1], v8, s33, v[2:3]
	s_sub_i32 s0, s7, s2
	s_mul_i32 s0, s0, s13
	v_mad_u64_u32 v[2:3], s[0:1], s0, 36, v[2:3]
	v_and_b32_e32 v5, 7, v0
	v_and_b32_e32 v7, 1, v0
	v_mad_u64_u32 v[2:3], s[0:1], v5, 36, v[2:3]
	v_cmp_eq_u32_e32 vcc, 1, v7
	v_mov_b32_e32 v9, s19
	v_cndmask_b32_e64 v18, 0, 6, vcc
	v_add_co_u32_e32 v2, vcc, s18, v2
	s_add_i32 s31, s6, 1
	v_addc_co_u32_e32 v3, vcc, v9, v3, vcc
	v_bfe_u32 v6, v0, 1, 2
	s_mul_i32 s30, s6, s9
	s_mul_i32 s2, s9, s31
	v_add_co_u32_e32 v11, vcc, 32, v2
	s_mov_b64 s[4:5], 0
	s_mov_b32 s3, 0x1010101
	s_movk_i32 s10, 0x700
	s_movk_i32 s19, 0xf000
	s_mov_b32 s20, 0x8000c
	s_mov_b32 s21, 0xffff
	;; [unrolled: 1-line block ×4, first 2 shown]
	v_mov_b32_e32 v15, 8
	v_mov_b32_e32 v16, 4
	v_lshlrev_b32_e32 v17, 1, v5
	v_lshlrev_b32_e32 v19, 2, v5
	v_lshlrev_b32_e32 v20, 1, v6
	v_addc_co_u32_e32 v12, vcc, 0, v3, vcc
	v_mov_b32_e32 v14, v10
	s_getpc_b64 s[0:1]
	s_add_u32 s0, s0, _ZL13iq1s_grid_gpu@rel32@lo+4
	s_addc_u32 s1, s1, _ZL13iq1s_grid_gpu@rel32@hi+12
	s_waitcnt vmcnt(0)
	v_mul_lo_u32 v4, v4, s12
	v_add_u32_e32 v21, s30, v4
	v_add_u32_e32 v22, s2, v4
.LBB216_3:                              ; =>This Inner Loop Header: Depth=1
	v_add_u32_e32 v23, v21, v13
	v_mad_i64_i32 v[28:29], s[12:13], v23, 56, s[16:17]
	global_load_dwordx4 v[6:9], v[11:12], off offset:-32
	global_load_dwordx4 v[2:5], v[11:12], off offset:-16
	global_load_dword v25, v[11:12], off
	v_add_co_u32_e32 v11, vcc, 0x900, v11
	v_add_u32_e32 v24, v22, v13
	v_add_u32_e32 v13, 8, v13
	v_addc_co_u32_e32 v12, vcc, 0, v12, vcc
	v_cmp_le_u32_e32 vcc, s15, v13
	v_mad_i64_i32 v[23:24], s[12:13], v24, 56, s[16:17]
	s_or_b64 s[4:5], vcc, s[4:5]
	v_add_co_u32_e32 v30, vcc, v28, v19
	v_addc_co_u32_e32 v31, vcc, 0, v29, vcc
	v_add_co_u32_e32 v32, vcc, v28, v17
	v_addc_co_u32_e32 v33, vcc, 0, v29, vcc
	;; [unrolled: 2-line block ×4, first 2 shown]
	global_load_ushort v46, v[36:37], off offset:32
	v_add_co_u32_e32 v36, vcc, v28, v20
	v_addc_co_u32_e32 v37, vcc, 0, v29, vcc
	global_load_ushort v47, v[32:33], off offset:32
	global_load_ushort v48, v[36:37], off offset:48
	v_add_co_u32_e32 v32, vcc, v23, v20
	v_addc_co_u32_e32 v33, vcc, 0, v24, vcc
	global_load_dwordx2 v[36:37], v[28:29], off offset:48
	global_load_ushort v49, v[32:33], off offset:48
	global_load_dwordx2 v[38:39], v[23:24], off offset:48
	global_load_dword v50, v[30:31], off
	global_load_dword v51, v[34:35], off
	v_mov_b32_e32 v40, 0xbf600000
	v_mov_b32_e32 v41, 0xbf600000
	;; [unrolled: 1-line block ×8, first 2 shown]
	s_waitcnt vmcnt(10)
	v_dot4_i32_i8 v32, v9, s3, 0
	s_waitcnt vmcnt(9)
	v_dot4_i32_i8 v32, v2, s3, v32
	v_cvt_f32_i32_e32 v32, v32
	v_cvt_f32_f16_e32 v6, v6
	s_waitcnt vmcnt(7)
	v_bfe_u32 v34, v46, 4, 4
	v_and_b32_e32 v34, 8, v34
	v_cvt_f32_ubyte0_e32 v34, v34
	v_fmac_f32_e32 v43, 0xbd000000, v34
	s_waitcnt vmcnt(6)
	v_lshlrev_b32_e32 v34, 4, v47
	s_waitcnt vmcnt(4)
	v_lshrrev_b16_e32 v23, 12, v36
	v_lshrrev_b32_e32 v24, 24, v36
	v_lshrrev_b16_e32 v28, 4, v37
	s_waitcnt vmcnt(2)
	v_pk_lshrrev_b16 v30, s20, v38
	v_pk_lshrrev_b16 v31, 4, v39
	v_and_b32_sdwa v29, v37, s19 dst_sel:DWORD dst_unused:UNUSED_PAD src0_sel:WORD_1 src1_sel:DWORD
	v_bfi_b32 v24, s21, v24, v30
	v_perm_b32 v23, v30, v23, s27
	v_and_b32_e32 v28, 0xf00, v28
	v_and_b32_e32 v31, 0xf0000f00, v31
	v_and_or_b32 v23, v24, s26, v23
	v_perm_b32 v28, v31, v28, s27
	v_bfi_b32 v29, s21, v29, v31
	v_or3_b32 v23, v23, v28, v29
	v_and_b32_e32 v29, 8, v47
	v_dot4_i32_i8 v24, v7, s3, 0
	v_cvt_f32_ubyte0_e32 v29, v29
	v_dot4_i32_i8 v24, v8, s3, v24
	v_fmac_f32_e32 v40, 0xbd000000, v29
	v_and_b32_e32 v29, 8, v46
	v_cvt_f32_i32_e32 v24, v24
	v_cvt_f32_ubyte0_e32 v29, v29
	v_fmac_f32_e32 v41, 0xbd000000, v29
	v_lshrrev_b32_e32 v29, 4, v47
	v_and_b32_e32 v29, 8, v29
	v_cvt_f32_ubyte0_e32 v29, v29
	v_fmac_f32_e32 v42, 0xbd000000, v29
	v_fma_f32 v33, v40, v24, 0
	v_fma_f32 v24, v41, v24, 0
	s_waitcnt vmcnt(1)
	v_and_b32_e32 v31, 0xff, v50
	v_lshlrev_b32_e32 v28, 8, v47
	v_bfe_u32 v29, v50, 8, 8
	v_fmac_f32_e32 v33, v42, v32
	v_bfe_u32 v35, v50, 16, 8
	v_fmac_f32_e32 v24, v43, v32
	v_lshlrev_b32_sdwa v32, v15, v47 dst_sel:DWORD dst_unused:UNUSED_PAD src0_sel:DWORD src1_sel:BYTE_1
	v_lshrrev_b32_e32 v36, 24, v50
	v_lshlrev_b32_sdwa v37, v16, v47 dst_sel:DWORD dst_unused:UNUSED_PAD src0_sel:DWORD src1_sel:BYTE_1
	v_and_or_b32 v28, v28, s10, v31
	s_waitcnt vmcnt(0)
	v_and_b32_e32 v31, 0xff, v51
	v_and_or_b32 v29, v34, s10, v29
	v_lshlrev_b32_e32 v34, 8, v46
	v_and_or_b32 v32, v32, s10, v35
	v_bfe_u32 v35, v51, 8, 8
	v_and_or_b32 v36, v37, s10, v36
	v_lshlrev_b32_e32 v37, 4, v46
	v_and_or_b32 v31, v34, s10, v31
	v_bfe_u32 v34, v51, 16, 8
	v_and_or_b32 v35, v37, s10, v35
	v_lshlrev_b32_sdwa v37, v15, v46 dst_sel:DWORD dst_unused:UNUSED_PAD src0_sel:DWORD src1_sel:BYTE_1
	v_lshrrev_b32_sdwa v38, v16, v46 dst_sel:DWORD dst_unused:UNUSED_PAD src0_sel:DWORD src1_sel:BYTE_1
	v_and_or_b32 v34, v37, s10, v34
	v_and_b32_sdwa v37, v47, v15 dst_sel:DWORD dst_unused:UNUSED_PAD src0_sel:BYTE_1 src1_sel:DWORD
	v_alignbit_b32 v39, v38, v51, 24
	v_cvt_f32_ubyte0_e32 v37, v37
	v_lshlrev_b32_e32 v28, 2, v28
	v_and_b32_e32 v39, 0x7ff, v39
	v_fmac_f32_e32 v44, 0xbd000000, v37
	v_and_b32_sdwa v37, v46, v15 dst_sel:DWORD dst_unused:UNUSED_PAD src0_sel:BYTE_1 src1_sel:DWORD
	v_lshlrev_b32_e32 v29, 2, v29
	v_lshlrev_b32_e32 v32, 2, v32
	;; [unrolled: 1-line block ×5, first 2 shown]
	global_load_dword v40, v28, s[0:1]
	global_load_dword v41, v32, s[0:1]
	global_load_dword v42, v31, s[0:1]
	global_load_dword v43, v34, s[0:1]
	global_load_dword v46, v29, s[0:1]
	global_load_dword v50, v36, s[0:1]
	v_lshlrev_b32_e32 v28, 2, v39
	v_lshlrev_b32_e32 v35, 2, v35
	global_load_dword v29, v28, s[0:1]
	global_load_dword v31, v35, s[0:1]
	v_lshrrev_b32_sdwa v28, v16, v47 dst_sel:DWORD dst_unused:UNUSED_PAD src0_sel:DWORD src1_sel:BYTE_1
	v_and_b32_e32 v28, 8, v28
	v_dot4_i32_i8 v30, v3, s3, 0
	v_cvt_f32_ubyte0_e32 v37, v37
	v_cvt_f32_ubyte0_e32 v28, v28
	v_fmac_f32_e32 v45, 0xbd000000, v37
	v_dot4_i32_i8 v37, v5, s3, 0
	v_fmac_f32_e32 v26, 0xbd000000, v28
	v_dot4_i32_i8 v28, v4, s3, v30
	v_dot4_i32_i8 v30, v25, s3, v37
	v_cvt_f32_i32_e32 v28, v28
	v_cvt_f32_i32_e32 v30, v30
	v_lshrrev_b32_e32 v32, v18, v49
	v_and_b32_e32 v35, 8, v38
	v_fma_f32 v36, v44, v28, 0
	v_fmac_f32_e32 v36, v26, v30
	v_cvt_f32_f16_e32 v26, v23
	v_cvt_f32_f16_sdwa v23, v23 dst_sel:DWORD dst_unused:UNUSED_PAD src0_sel:WORD_1
	v_lshlrev_b32_e32 v37, 1, v32
	v_lshrrev_b32_e32 v32, 2, v32
	v_cvt_f32_ubyte0_e32 v35, v35
	v_and_b32_e32 v32, 14, v32
	v_fma_f32 v28, v45, v28, 0
	v_fmac_f32_e32 v27, 0xbd000000, v35
	v_or_b32_e32 v32, 1, v32
	v_and_b32_e32 v37, 14, v37
	v_fmac_f32_e32 v28, v27, v30
	v_cvt_f32_ubyte0_e32 v30, v32
	v_mul_f32_e32 v26, v6, v26
	v_mul_f32_e32 v6, v6, v23
	v_or_b32_e32 v37, 1, v37
	v_cvt_f32_ubyte0_e32 v27, v37
	v_lshrrev_b32_e32 v34, v18, v48
	v_lshrrev_b32_e32 v35, 2, v34
	v_lshlrev_b32_e32 v34, 1, v34
	v_and_or_b32 v35, v35, 14, 1
	v_and_or_b32 v34, v34, 14, 1
	v_cvt_f32_ubyte0_e32 v35, v35
	v_cvt_f32_ubyte0_e32 v34, v34
	s_waitcnt vmcnt(7)
	v_and_b32_e32 v23, 0xf0f0f0f, v40
	v_lshrrev_b32_e32 v32, 4, v40
	v_and_b32_e32 v32, 0xf0f0f0f, v32
	v_dot4_i32_i8 v23, v23, v7, 0
	s_waitcnt vmcnt(6)
	v_and_b32_e32 v37, 0xf0f0f0f, v41
	v_lshrrev_b32_e32 v38, 4, v41
	s_waitcnt vmcnt(5)
	v_and_b32_e32 v39, 0xf0f0f0f, v42
	v_lshrrev_b32_e32 v40, 4, v42
	v_dot4_i32_i8 v23, v32, v8, v23
	s_waitcnt vmcnt(4)
	v_and_b32_e32 v32, 0xf0f0f0f, v43
	v_lshrrev_b32_e32 v41, 4, v43
	v_and_b32_e32 v38, 0xf0f0f0f, v38
	v_dot4_i32_i8 v37, v37, v3, 0
	v_and_b32_e32 v40, 0xf0f0f0f, v40
	v_dot4_i32_i8 v7, v39, v7, 0
	;; [unrolled: 2-line block ×3, first 2 shown]
	v_dot4_i32_i8 v37, v38, v4, v37
	s_waitcnt vmcnt(3)
	v_and_b32_e32 v38, 0xf0f0f0f, v46
	v_dot4_i32_i8 v7, v40, v8, v7
	s_waitcnt vmcnt(2)
	v_and_b32_e32 v8, 0xf0f0f0f, v50
	v_lshrrev_b32_e32 v39, 4, v46
	v_lshrrev_b32_e32 v40, 4, v50
	v_dot4_i32_i8 v3, v41, v4, v3
	s_waitcnt vmcnt(0)
	v_and_b32_e32 v4, 0xf0f0f0f, v31
	v_lshrrev_b32_e32 v31, 4, v31
	v_dot4_i32_i8 v23, v38, v9, v23
	v_and_b32_e32 v32, 0xf0f0f0f, v29
	v_and_b32_e32 v38, 0xf0f0f0f, v39
	;; [unrolled: 1-line block ×3, first 2 shown]
	v_lshrrev_b32_e32 v29, 4, v29
	v_and_b32_e32 v31, 0xf0f0f0f, v31
	v_dot4_i32_i8 v8, v8, v5, v37
	v_dot4_i32_i8 v4, v4, v9, v7
	v_and_b32_e32 v29, 0xf0f0f0f, v29
	v_dot4_i32_i8 v3, v32, v5, v3
	v_dot4_i32_i8 v5, v38, v2, v23
	;; [unrolled: 1-line block ×5, first 2 shown]
	v_cvt_f32_i32_e32 v2, v2
	v_cvt_f32_i32_e32 v4, v4
	;; [unrolled: 1-line block ×4, first 2 shown]
	v_add_f32_e32 v2, v24, v2
	v_add_f32_e32 v4, v36, v4
	;; [unrolled: 1-line block ×4, first 2 shown]
	v_mul_f32_e32 v2, v2, v27
	v_mul_f32_e32 v4, v4, v35
	v_fmac_f32_e32 v2, v3, v30
	v_fmac_f32_e32 v4, v5, v34
	;; [unrolled: 1-line block ×4, first 2 shown]
	s_andn2_b64 exec, exec, s[4:5]
	s_cbranch_execnz .LBB216_3
; %bb.4:
	s_or_b64 exec, exec, s[4:5]
.LBB216_5:
	s_or_b64 exec, exec, s[24:25]
	v_mbcnt_lo_u32_b32 v2, -1, 0
	v_mbcnt_hi_u32_b32 v2, -1, v2
	v_and_b32_e32 v3, 64, v2
	v_add_u32_e32 v3, 64, v3
	v_xor_b32_e32 v4, 32, v2
	v_cmp_lt_i32_e32 vcc, v4, v3
	v_cndmask_b32_e32 v4, v2, v4, vcc
	v_lshlrev_b32_e32 v4, 2, v4
	ds_bpermute_b32 v7, v4, v10
	ds_bpermute_b32 v4, v4, v14
	v_xor_b32_e32 v5, 16, v2
	v_cmp_lt_i32_e32 vcc, v5, v3
	v_cndmask_b32_e32 v5, v2, v5, vcc
	v_lshlrev_b32_e32 v5, 2, v5
	s_waitcnt lgkmcnt(1)
	v_add_f32_e32 v7, v10, v7
	s_waitcnt lgkmcnt(0)
	v_add_f32_e32 v4, v14, v4
	ds_bpermute_b32 v9, v5, v7
	ds_bpermute_b32 v5, v5, v4
	v_xor_b32_e32 v6, 8, v2
	v_cmp_lt_i32_e32 vcc, v6, v3
	v_cndmask_b32_e32 v6, v2, v6, vcc
	v_lshlrev_b32_e32 v6, 2, v6
	s_waitcnt lgkmcnt(1)
	v_add_f32_e32 v7, v7, v9
	s_waitcnt lgkmcnt(0)
	v_add_f32_e32 v4, v4, v5
	;; [unrolled: 10-line block ×5, first 2 shown]
	ds_bpermute_b32 v3, v6, v2
	ds_bpermute_b32 v5, v6, v4
	v_add_u32_e32 v6, s6, v0
	v_cmp_gt_u32_e32 vcc, 2, v0
	v_cmp_gt_u32_e64 s[0:1], s8, v6
	s_and_b64 s[0:1], vcc, s[0:1]
	s_and_b64 exec, exec, s[0:1]
	s_cbranch_execz .LBB216_7
; %bb.6:
	v_mul_lo_u32 v1, s11, v1
	v_cmp_eq_u32_e32 vcc, 1, v0
	s_mul_i32 s0, s14, s7
	v_or_b32_e32 v0, s6, v0
	v_add3_u32 v0, v0, v1, s0
	v_mov_b32_e32 v1, 0
	v_lshlrev_b64 v[0:1], 2, v[0:1]
	s_waitcnt lgkmcnt(1)
	v_add_f32_e32 v2, v2, v3
	s_waitcnt lgkmcnt(0)
	v_add_f32_e32 v3, v4, v5
	v_cndmask_b32_e32 v2, v2, v3, vcc
	v_mov_b32_e32 v3, s23
	v_add_co_u32_e32 v0, vcc, s22, v0
	v_addc_co_u32_e32 v1, vcc, v3, v1, vcc
	global_store_dword v[0:1], v2, off
.LBB216_7:
	s_endpgm
	.section	.rodata,"a",@progbits
	.p2align	6, 0x0
	.amdhsa_kernel _ZL17mul_mat_vec_q_moeIL9ggml_type29ELi2EEvPKvS2_PKiPfj15HIP_vector_typeIjLj3EEjjjjjjjjj
		.amdhsa_group_segment_fixed_size 0
		.amdhsa_private_segment_fixed_size 0
		.amdhsa_kernarg_size 84
		.amdhsa_user_sgpr_count 6
		.amdhsa_user_sgpr_private_segment_buffer 1
		.amdhsa_user_sgpr_dispatch_ptr 0
		.amdhsa_user_sgpr_queue_ptr 0
		.amdhsa_user_sgpr_kernarg_segment_ptr 1
		.amdhsa_user_sgpr_dispatch_id 0
		.amdhsa_user_sgpr_flat_scratch_init 0
		.amdhsa_user_sgpr_private_segment_size 0
		.amdhsa_uses_dynamic_stack 0
		.amdhsa_system_sgpr_private_segment_wavefront_offset 0
		.amdhsa_system_sgpr_workgroup_id_x 1
		.amdhsa_system_sgpr_workgroup_id_y 1
		.amdhsa_system_sgpr_workgroup_id_z 0
		.amdhsa_system_sgpr_workgroup_info 0
		.amdhsa_system_vgpr_workitem_id 1
		.amdhsa_next_free_vgpr 52
		.amdhsa_next_free_sgpr 34
		.amdhsa_reserve_vcc 1
		.amdhsa_reserve_flat_scratch 0
		.amdhsa_float_round_mode_32 0
		.amdhsa_float_round_mode_16_64 0
		.amdhsa_float_denorm_mode_32 3
		.amdhsa_float_denorm_mode_16_64 3
		.amdhsa_dx10_clamp 1
		.amdhsa_ieee_mode 1
		.amdhsa_fp16_overflow 0
		.amdhsa_exception_fp_ieee_invalid_op 0
		.amdhsa_exception_fp_denorm_src 0
		.amdhsa_exception_fp_ieee_div_zero 0
		.amdhsa_exception_fp_ieee_overflow 0
		.amdhsa_exception_fp_ieee_underflow 0
		.amdhsa_exception_fp_ieee_inexact 0
		.amdhsa_exception_int_div_zero 0
	.end_amdhsa_kernel
	.section	.text._ZL17mul_mat_vec_q_moeIL9ggml_type29ELi2EEvPKvS2_PKiPfj15HIP_vector_typeIjLj3EEjjjjjjjjj,"axG",@progbits,_ZL17mul_mat_vec_q_moeIL9ggml_type29ELi2EEvPKvS2_PKiPfj15HIP_vector_typeIjLj3EEjjjjjjjjj,comdat
.Lfunc_end216:
	.size	_ZL17mul_mat_vec_q_moeIL9ggml_type29ELi2EEvPKvS2_PKiPfj15HIP_vector_typeIjLj3EEjjjjjjjjj, .Lfunc_end216-_ZL17mul_mat_vec_q_moeIL9ggml_type29ELi2EEvPKvS2_PKiPfj15HIP_vector_typeIjLj3EEjjjjjjjjj
                                        ; -- End function
	.set _ZL17mul_mat_vec_q_moeIL9ggml_type29ELi2EEvPKvS2_PKiPfj15HIP_vector_typeIjLj3EEjjjjjjjjj.num_vgpr, 52
	.set _ZL17mul_mat_vec_q_moeIL9ggml_type29ELi2EEvPKvS2_PKiPfj15HIP_vector_typeIjLj3EEjjjjjjjjj.num_agpr, 0
	.set _ZL17mul_mat_vec_q_moeIL9ggml_type29ELi2EEvPKvS2_PKiPfj15HIP_vector_typeIjLj3EEjjjjjjjjj.numbered_sgpr, 34
	.set _ZL17mul_mat_vec_q_moeIL9ggml_type29ELi2EEvPKvS2_PKiPfj15HIP_vector_typeIjLj3EEjjjjjjjjj.num_named_barrier, 0
	.set _ZL17mul_mat_vec_q_moeIL9ggml_type29ELi2EEvPKvS2_PKiPfj15HIP_vector_typeIjLj3EEjjjjjjjjj.private_seg_size, 0
	.set _ZL17mul_mat_vec_q_moeIL9ggml_type29ELi2EEvPKvS2_PKiPfj15HIP_vector_typeIjLj3EEjjjjjjjjj.uses_vcc, 1
	.set _ZL17mul_mat_vec_q_moeIL9ggml_type29ELi2EEvPKvS2_PKiPfj15HIP_vector_typeIjLj3EEjjjjjjjjj.uses_flat_scratch, 0
	.set _ZL17mul_mat_vec_q_moeIL9ggml_type29ELi2EEvPKvS2_PKiPfj15HIP_vector_typeIjLj3EEjjjjjjjjj.has_dyn_sized_stack, 0
	.set _ZL17mul_mat_vec_q_moeIL9ggml_type29ELi2EEvPKvS2_PKiPfj15HIP_vector_typeIjLj3EEjjjjjjjjj.has_recursion, 0
	.set _ZL17mul_mat_vec_q_moeIL9ggml_type29ELi2EEvPKvS2_PKiPfj15HIP_vector_typeIjLj3EEjjjjjjjjj.has_indirect_call, 0
	.section	.AMDGPU.csdata,"",@progbits
; Kernel info:
; codeLenInByte = 2212
; TotalNumSgprs: 38
; NumVgprs: 52
; ScratchSize: 0
; MemoryBound: 0
; FloatMode: 240
; IeeeMode: 1
; LDSByteSize: 0 bytes/workgroup (compile time only)
; SGPRBlocks: 4
; VGPRBlocks: 12
; NumSGPRsForWavesPerEU: 38
; NumVGPRsForWavesPerEU: 52
; Occupancy: 4
; WaveLimiterHint : 1
; COMPUTE_PGM_RSRC2:SCRATCH_EN: 0
; COMPUTE_PGM_RSRC2:USER_SGPR: 6
; COMPUTE_PGM_RSRC2:TRAP_HANDLER: 0
; COMPUTE_PGM_RSRC2:TGID_X_EN: 1
; COMPUTE_PGM_RSRC2:TGID_Y_EN: 1
; COMPUTE_PGM_RSRC2:TGID_Z_EN: 0
; COMPUTE_PGM_RSRC2:TIDIG_COMP_CNT: 1
	.section	.text._ZL13mul_mat_vec_qIL9ggml_type29ELi1ELb1ELb1EEvPKvS2_PKi31ggml_cuda_mm_fusion_args_devicePfj15HIP_vector_typeIjLj3EEjjjS8_jjjS8_jjjj,"axG",@progbits,_ZL13mul_mat_vec_qIL9ggml_type29ELi1ELb1ELb1EEvPKvS2_PKi31ggml_cuda_mm_fusion_args_devicePfj15HIP_vector_typeIjLj3EEjjjS8_jjjS8_jjjj,comdat
	.globl	_ZL13mul_mat_vec_qIL9ggml_type29ELi1ELb1ELb1EEvPKvS2_PKi31ggml_cuda_mm_fusion_args_devicePfj15HIP_vector_typeIjLj3EEjjjS8_jjjS8_jjjj ; -- Begin function _ZL13mul_mat_vec_qIL9ggml_type29ELi1ELb1ELb1EEvPKvS2_PKi31ggml_cuda_mm_fusion_args_devicePfj15HIP_vector_typeIjLj3EEjjjS8_jjjS8_jjjj
	.p2align	8
	.type	_ZL13mul_mat_vec_qIL9ggml_type29ELi1ELb1ELb1EEvPKvS2_PKi31ggml_cuda_mm_fusion_args_devicePfj15HIP_vector_typeIjLj3EEjjjS8_jjjS8_jjjj,@function
_ZL13mul_mat_vec_qIL9ggml_type29ELi1ELb1ELb1EEvPKvS2_PKi31ggml_cuda_mm_fusion_args_devicePfj15HIP_vector_typeIjLj3EEjjjS8_jjjS8_jjjj: ; @_ZL13mul_mat_vec_qIL9ggml_type29ELi1ELb1ELb1EEvPKvS2_PKi31ggml_cuda_mm_fusion_args_devicePfj15HIP_vector_typeIjLj3EEjjjS8_jjjS8_jjjj
; %bb.0:
	s_load_dwordx8 s[12:19], s[4:5], 0x0
	s_load_dwordx4 s[28:31], s[4:5], 0x20
	s_load_dwordx4 s[36:39], s[4:5], 0x40
	;; [unrolled: 1-line block ×3, first 2 shown]
	s_mov_b32 s34, s7
	s_waitcnt lgkmcnt(0)
	s_cmp_lg_u64 s[16:17], 0
	s_cselect_b64 s[0:1], -1, 0
	s_cmp_eq_u64 s[16:17], 0
	s_mov_b64 s[2:3], 0
	s_cbranch_scc1 .LBB217_5
; %bb.1:
	s_mov_b32 s35, 0
	s_lshl_b64 s[10:11], s[34:35], 2
	s_add_u32 s10, s16, s10
	s_addc_u32 s11, s17, s11
	s_load_dword s35, s[10:11], 0x0
	s_load_dword s33, s[4:5], 0x50
	s_load_dword s42, s[4:5], 0x78
	s_andn2_b64 vcc, exec, s[2:3]
	s_cbranch_vccnz .LBB217_3
.LBB217_2:
	s_load_dwordx2 s[2:3], s[4:5], 0x5c
	s_waitcnt lgkmcnt(0)
	s_mul_hi_u32 s2, s2, s34
	s_add_i32 s2, s34, s2
	s_lshr_b32 s35, s2, s3
.LBB217_3:
	s_andn2_b64 vcc, exec, s[0:1]
	s_cbranch_vccnz .LBB217_6
; %bb.4:
	s_mul_hi_u32 s0, s37, s34
	s_add_i32 s0, s34, s0
	s_lshr_b32 s0, s0, s38
	s_mul_i32 s0, s0, s39
	s_sub_i32 s37, s34, s0
	s_waitcnt lgkmcnt(0)
	s_mov_b32 s43, s35
	s_branch .LBB217_7
.LBB217_5:
                                        ; implicit-def: $sgpr35
	s_load_dword s33, s[4:5], 0x50
	s_load_dword s42, s[4:5], 0x78
	s_branch .LBB217_2
.LBB217_6:
	s_mov_b32 s43, s34
	s_mov_b32 s37, s34
.LBB217_7:
	s_load_dword s9, s[4:5], 0x58
	s_load_dwordx4 s[24:27], s[4:5], 0x80
	s_lshl_b32 s16, s6, 1
	s_cmp_eq_u64 s[18:19], 0
	s_cselect_b64 s[0:1], -1, 0
	v_mov_b32_e32 v20, 0
	s_and_b64 vcc, exec, s[0:1]
	v_cmp_gt_u32_e64 s[2:3], 2, v0
	v_cmp_eq_u32_e64 s[6:7], 0, v1
	v_add_u32_e32 v19, s16, v0
	v_mov_b32_e32 v21, 0
	s_cbranch_vccnz .LBB217_11
; %bb.8:
	s_waitcnt lgkmcnt(0)
	v_cmp_gt_u32_e32 vcc, s9, v19
	s_and_b64 s[2:3], s[2:3], vcc
	s_mov_b32 s11, 0
	s_and_b64 s[6:7], s[2:3], s[6:7]
	v_mov_b32_e32 v21, 0
	s_and_saveexec_b64 s[2:3], s[6:7]
	s_cbranch_execz .LBB217_10
; %bb.9:
	s_mul_i32 s10, s26, s8
	s_lshl_b64 s[6:7], s[10:11], 2
	s_add_u32 s17, s18, s6
	s_mul_i32 s10, s43, s22
	s_addc_u32 s18, s19, s7
	s_lshl_b64 s[6:7], s[10:11], 2
	s_add_u32 s10, s17, s6
	s_addc_u32 s11, s18, s7
	s_ashr_i32 s17, s16, 31
	s_lshl_b64 s[6:7], s[16:17], 2
	s_add_u32 s6, s10, s6
	s_addc_u32 s7, s11, s7
	v_lshlrev_b32_e32 v2, 2, v0
	global_load_dword v21, v2, s[6:7]
.LBB217_10:
	s_or_b64 exec, exec, s[2:3]
.LBB217_11:
	s_cmp_lg_u64 s[28:29], 0
	s_cselect_b64 s[18:19], -1, 0
	s_cmp_eq_u64 s[28:29], 0
	s_cselect_b64 s[38:39], -1, 0
	s_cmp_lg_u64 s[30:31], 0
	s_cselect_b64 s[2:3], -1, 0
	s_and_b64 s[6:7], s[2:3], s[18:19]
	s_andn2_b64 vcc, exec, s[6:7]
	s_waitcnt lgkmcnt(0)
	v_cmp_gt_u32_e64 s[6:7], s9, v19
	s_cbranch_vccnz .LBB217_15
; %bb.12:
	v_cmp_gt_u32_e32 vcc, 2, v0
	v_cmp_eq_u32_e64 s[10:11], 0, v1
	s_and_b64 s[6:7], vcc, s[6:7]
	s_mov_b32 s41, 0
	s_and_b64 s[10:11], s[6:7], s[10:11]
	v_mov_b32_e32 v20, 0
	s_and_saveexec_b64 s[6:7], s[10:11]
	s_cbranch_execz .LBB217_14
; %bb.13:
	s_mul_i32 s40, s26, s8
	s_lshl_b64 s[10:11], s[40:41], 2
	s_add_u32 s17, s30, s10
	s_mul_i32 s40, s43, s22
	s_addc_u32 s27, s31, s11
	s_lshl_b64 s[10:11], s[40:41], 2
	s_add_u32 s30, s17, s10
	s_addc_u32 s27, s27, s11
	s_ashr_i32 s17, s16, 31
	s_lshl_b64 s[10:11], s[16:17], 2
	s_add_u32 s10, s30, s10
	s_addc_u32 s11, s27, s11
	v_lshlrev_b32_e32 v2, 2, v0
	global_load_dword v20, v2, s[10:11]
.LBB217_14:
	s_or_b64 exec, exec, s[6:7]
.LBB217_15:
	v_lshl_add_u32 v2, v1, 6, v0
	v_mov_b32_e32 v12, 0
	s_lshr_b32 s17, s36, 8
	v_lshrrev_b32_e32 v23, 3, v2
	v_mov_b32_e32 v13, v12
	v_mov_b32_e32 v10, v12
	v_cmp_gt_u32_e32 vcc, s17, v23
	v_mov_b32_e32 v22, v12
	v_mov_b32_e32 v11, v13
	s_and_saveexec_b64 s[10:11], vcc
	s_cbranch_execz .LBB217_23
; %bb.16:
	s_mul_hi_u32 s6, s23, s8
	s_add_i32 s6, s8, s6
	s_lshr_b32 s6, s6, s42
	s_mul_i32 s7, s35, s20
	s_mul_i32 s6, s6, s24
	;; [unrolled: 1-line block ×3, first 2 shown]
	s_add_i32 s24, s7, s6
	v_and_b32_e32 v3, 1, v0
	s_mul_hi_u32 s6, s21, 36
	s_mul_i32 s21, s21, 36
	v_cmp_eq_u32_e32 vcc, 1, v3
	v_lshrrev_b32_e32 v6, 3, v2
	v_mov_b32_e32 v2, s21
	v_mov_b32_e32 v3, s6
	s_movk_i32 s6, 0x120
	v_mad_u64_u32 v[2:3], s[6:7], v6, s6, v[2:3]
	s_mul_i32 s20, s25, s8
	s_mul_i32 s6, s16, s33
	s_add_i32 s23, s24, s6
	v_mad_u64_u32 v[2:3], s[6:7], s20, 36, v[2:3]
	v_and_b32_e32 v4, 7, v0
	s_add_i32 s6, s16, 1
	s_mul_i32 s33, s33, s6
	v_mad_u64_u32 v[2:3], s[6:7], v4, 36, v[2:3]
	v_cndmask_b32_e64 v25, 0, 6, vcc
	v_mov_b32_e32 v6, s15
	v_add_co_u32_e32 v2, vcc, s14, v2
	v_addc_co_u32_e32 v3, vcc, v6, v3, vcc
	v_mov_b32_e32 v10, 0
	v_bfe_u32 v5, v0, 1, 2
	v_add_co_u32_e32 v13, vcc, 32, v2
	v_lshlrev_b32_e32 v24, 1, v4
	s_add_i32 s24, s24, s33
	v_addc_co_u32_e32 v14, vcc, 0, v3, vcc
	v_mov_b32_e32 v11, v10
	s_mov_b64 s[14:15], 0
	s_mov_b32 s25, 0x1010101
	s_movk_i32 s27, 0x700
	s_mov_b32 s30, 0x8000c
	s_movk_i32 s31, 0xf0
	v_lshlrev_b32_e32 v26, 2, v4
	v_lshlrev_b32_e32 v27, 1, v5
	v_mov_b32_e32 v28, 4
	v_mov_b32_e32 v29, 8
	;; [unrolled: 1-line block ×4, first 2 shown]
	s_branch .LBB217_18
.LBB217_17:                             ;   in Loop: Header=BB217_18 Depth=1
	v_and_b32_e32 v50, 0xf0f0f0f, v41
	v_lshrrev_b32_e32 v41, 4, v41
	v_and_b32_e32 v41, 0xf0f0f0f, v41
	v_dot4_i32_i8 v50, v50, v7, 0
	v_dot4_i32_i8 v41, v41, v8, v50
	v_and_b32_e32 v50, 0xf0f0f0f, v40
	v_lshrrev_b32_e32 v40, 4, v40
	v_pk_lshrrev_b16 v15, s30, v15
	v_and_b32_e32 v40, 0xf0f0f0f, v40
	v_dot4_i32_i8 v41, v50, v9, v41
	v_and_b32_sdwa v49, v15, s31 dst_sel:DWORD dst_unused:UNUSED_PAD src0_sel:WORD_1 src1_sel:DWORD
	v_pk_lshrrev_b16 v16, 4, v16
	v_dot4_i32_i8 v40, v40, v2, v41
	v_and_b32_e32 v41, 0xf0f0f0f, v39
	v_lshrrev_b32_e32 v39, 4, v39
	v_or_b32_e32 v15, v49, v15
	v_and_b32_e32 v16, 0xf0000f00, v16
	v_and_b32_e32 v39, 0xf0f0f0f, v39
	v_dot4_i32_i8 v41, v41, v3, 0
	v_or_b32_e32 v15, v15, v16
	v_dot4_i32_i8 v39, v39, v4, v41
	v_and_b32_sdwa v41, v33, v29 dst_sel:DWORD dst_unused:UNUSED_PAD src0_sel:BYTE_1 src1_sel:DWORD
	v_or_b32_sdwa v15, v15, v16 dst_sel:DWORD dst_unused:UNUSED_PAD src0_sel:DWORD src1_sel:WORD_1
	v_bfe_u32 v16, v33, 4, 4
	v_and_b32_e32 v33, 8, v33
	v_cvt_f32_ubyte0_e32 v41, v41
	v_mov_b32_e32 v50, 0xbf600000
	v_cvt_f32_ubyte0_e32 v33, v33
	v_fmac_f32_e32 v50, 0xbd000000, v41
	v_mov_b32_e32 v41, 0xbf600000
	v_fmac_f32_e32 v41, 0xbd000000, v33
	v_fma_f32 v33, v41, v35, 0
	v_fma_f32 v41, v50, v34, 0
	v_and_b32_e32 v50, 0xf0f0f0f, v37
	v_lshrrev_b32_e32 v37, 4, v37
	v_and_b32_e32 v37, 0xf0f0f0f, v37
	v_dot4_i32_i8 v39, v50, v5, v39
	v_and_b32_e32 v16, 8, v16
	v_dot4_i32_i8 v37, v37, v30, v39
	v_and_b32_e32 v36, 8, v36
	v_cvt_f32_ubyte0_e32 v16, v16
	v_mov_b32_e32 v39, 0xbf600000
	v_lshrrev_b32_sdwa v38, v25, v38 dst_sel:DWORD dst_unused:UNUSED_PAD src0_sel:DWORD src1_sel:WORD_0
	v_cvt_f32_ubyte0_e32 v36, v36
	v_fmac_f32_e32 v39, 0xbd000000, v16
	v_mov_b32_e32 v16, 0xbf600000
	v_lshlrev_b32_e32 v49, 1, v38
	v_lshrrev_b32_e32 v38, 2, v38
	v_fmac_f32_e32 v16, 0xbd000000, v36
	v_fmac_f32_e32 v41, v16, v32
	v_and_b32_e32 v16, 14, v38
	v_cvt_f32_i32_e32 v38, v40
	v_fmac_f32_e32 v33, v39, v31
	s_waitcnt vmcnt(4)
	v_pk_lshrrev_b16 v17, s30, v17
	v_pk_lshrrev_b16 v18, 4, v18
	v_add_f32_e32 v33, v33, v38
	v_and_b32_sdwa v38, v17, s31 dst_sel:DWORD dst_unused:UNUSED_PAD src0_sel:WORD_1 src1_sel:DWORD
	v_or_b32_e32 v17, v38, v17
	v_and_b32_e32 v18, 0xf0000f00, v18
	v_or_b32_e32 v17, v17, v18
	v_or_b32_sdwa v17, v17, v18 dst_sel:DWORD dst_unused:UNUSED_PAD src0_sel:DWORD src1_sel:WORD_1
	v_cvt_f32_f16_e32 v15, v15
	v_cvt_f32_f16_e32 v17, v17
	s_waitcnt vmcnt(3)
	v_lshrrev_b32_e32 v18, 4, v48
	v_and_b32_e32 v18, 0xf0f0f0f, v18
	v_mul_f32_e32 v15, v6, v15
	v_mul_f32_e32 v6, v6, v17
	v_and_b32_e32 v17, 0xf0f0f0f, v48
	v_dot4_i32_i8 v7, v17, v7, 0
	v_dot4_i32_i8 v7, v18, v8, v7
	s_waitcnt vmcnt(2)
	v_and_b32_e32 v17, 0xf0f0f0f, v47
	v_lshrrev_b32_e32 v18, 4, v47
	v_and_b32_e32 v18, 0xf0f0f0f, v18
	v_dot4_i32_i8 v7, v17, v9, v7
	v_dot4_i32_i8 v2, v18, v2, v7
	s_waitcnt vmcnt(1)
	v_and_b32_e32 v7, 0xf0f0f0f, v46
	v_lshrrev_b32_e32 v9, 4, v46
	v_cvt_f32_i32_e32 v37, v37
	v_and_b32_e32 v9, 0xf0f0f0f, v9
	v_dot4_i32_i8 v3, v7, v3, 0
	v_dot4_i32_i8 v3, v9, v4, v3
	v_and_b32_sdwa v4, v42, v29 dst_sel:DWORD dst_unused:UNUSED_PAD src0_sel:BYTE_1 src1_sel:DWORD
	v_and_b32_e32 v7, 8, v42
	v_cvt_f32_ubyte0_e32 v4, v4
	v_mov_b32_e32 v9, 0xbf600000
	v_and_b32_e32 v36, 14, v49
	v_or_b32_e32 v16, 1, v16
	v_cvt_f32_ubyte0_e32 v7, v7
	v_fmac_f32_e32 v9, 0xbd000000, v4
	v_mov_b32_e32 v4, 0xbf600000
	v_or_b32_e32 v36, 1, v36
	v_add_f32_e32 v37, v41, v37
	v_cvt_f32_ubyte0_e32 v16, v16
	v_fmac_f32_e32 v4, 0xbd000000, v7
	v_fma_f32 v7, v9, v34, 0
	s_waitcnt vmcnt(0)
	v_and_b32_e32 v9, 0xf0f0f0f, v45
	v_lshrrev_b32_e32 v17, 4, v45
	v_cvt_f32_ubyte0_e32 v36, v36
	v_mul_f32_e32 v16, v37, v16
	v_bfe_u32 v8, v42, 4, 4
	v_and_b32_e32 v17, 0xf0f0f0f, v17
	v_dot4_i32_i8 v3, v9, v5, v3
	v_fmac_f32_e32 v16, v33, v36
	v_dot4_i32_i8 v3, v17, v30, v3
	v_and_b32_e32 v8, 8, v8
	v_fmac_f32_e32 v22, v15, v16
	v_lshrrev_b32_e32 v15, v25, v44
	v_and_b32_e32 v5, 8, v43
	v_cvt_f32_ubyte0_e32 v8, v8
	v_mov_b32_e32 v9, 0xbf600000
	v_cvt_f32_i32_e32 v3, v3
	v_lshlrev_b32_e32 v16, 1, v15
	v_lshrrev_b32_e32 v15, 2, v15
	v_cvt_f32_ubyte0_e32 v5, v5
	v_fmac_f32_e32 v9, 0xbd000000, v8
	v_mov_b32_e32 v8, 0xbf600000
	v_cvt_f32_i32_e32 v2, v2
	v_fmac_f32_e32 v8, 0xbd000000, v5
	v_and_b32_e32 v5, 14, v15
	v_fma_f32 v4, v4, v35, 0
	v_fmac_f32_e32 v7, v8, v32
	v_and_b32_e32 v8, 14, v16
	v_or_b32_e32 v5, 1, v5
	v_fmac_f32_e32 v4, v9, v31
	v_or_b32_e32 v8, 1, v8
	v_add_f32_e32 v3, v7, v3
	v_cvt_f32_ubyte0_e32 v5, v5
	v_add_f32_e32 v2, v4, v2
	v_cvt_f32_ubyte0_e32 v4, v8
	v_mul_f32_e32 v3, v3, v5
	v_add_u32_e32 v23, 16, v23
	v_fmac_f32_e32 v3, v2, v4
	v_add_co_u32_e32 v13, vcc, 0x1200, v13
	v_cmp_le_u32_e64 s[6:7], s17, v23
	v_fmac_f32_e32 v12, v6, v3
	s_or_b64 s[14:15], s[6:7], s[14:15]
	v_addc_co_u32_e32 v14, vcc, 0, v14, vcc
	s_andn2_b64 exec, exec, s[14:15]
	s_cbranch_execz .LBB217_22
.LBB217_18:                             ; =>This Inner Loop Header: Depth=1
	v_add_u32_e32 v17, s23, v23
	v_mad_i64_i32 v[31:32], s[6:7], v17, 56, s[12:13]
	s_getpc_b64 s[20:21]
	s_add_u32 s20, s20, _ZL13iq1s_grid_gpu@rel32@lo+4
	s_addc_u32 s21, s21, _ZL13iq1s_grid_gpu@rel32@hi+12
	v_add_co_u32_e32 v2, vcc, v31, v26
	v_addc_co_u32_e32 v3, vcc, 0, v32, vcc
	global_load_dword v18, v[2:3], off
	v_add_co_u32_e32 v2, vcc, v31, v24
	v_addc_co_u32_e32 v3, vcc, 0, v32, vcc
	global_load_ushort v33, v[2:3], off offset:32
	v_add_co_u32_e32 v34, vcc, v31, v27
	v_addc_co_u32_e32 v35, vcc, 0, v32, vcc
	global_load_dwordx4 v[6:9], v[13:14], off offset:-32
	global_load_dwordx4 v[2:5], v[13:14], off offset:-16
	global_load_dword v30, v[13:14], off
	global_load_ushort v38, v[34:35], off offset:48
	global_load_dwordx2 v[15:16], v[31:32], off offset:48
	s_andn2_b64 vcc, exec, s[18:19]
	s_waitcnt vmcnt(6)
	v_and_b32_e32 v31, 0xff, v18
	v_bfe_u32 v32, v18, 8, 8
	v_bfe_u32 v34, v18, 16, 8
	s_waitcnt vmcnt(5)
	v_lshlrev_b32_e32 v35, 8, v33
	v_lshrrev_b32_sdwa v36, v28, v33 dst_sel:DWORD dst_unused:UNUSED_PAD src0_sel:DWORD src1_sel:BYTE_1
	v_lshlrev_b32_e32 v37, 4, v33
	v_lshlrev_b32_sdwa v39, v29, v33 dst_sel:DWORD dst_unused:UNUSED_PAD src0_sel:DWORD src1_sel:BYTE_1
	v_and_or_b32 v31, v35, s27, v31
	v_alignbit_b32 v18, v36, v18, 24
	v_and_or_b32 v32, v37, s27, v32
	v_and_or_b32 v34, v39, s27, v34
	v_lshlrev_b32_e32 v31, 2, v31
	v_and_b32_e32 v18, 0x7ff, v18
	v_lshlrev_b32_e32 v32, 2, v32
	v_lshlrev_b32_e32 v34, 2, v34
	;; [unrolled: 1-line block ×3, first 2 shown]
	global_load_dword v41, v31, s[20:21]
	global_load_dword v40, v32, s[20:21]
	;; [unrolled: 1-line block ×4, first 2 shown]
	s_waitcnt vmcnt(8)
	v_dot4_i32_i8 v32, v9, s25, 0
	v_dot4_i32_i8 v31, v7, s25, 0
	s_waitcnt vmcnt(7)
	v_dot4_i32_i8 v42, v2, s25, v32
	v_dot4_i32_i8 v32, v3, s25, 0
	;; [unrolled: 1-line block ×5, first 2 shown]
	s_waitcnt vmcnt(6)
	v_dot4_i32_i8 v43, v30, s25, v34
	v_cvt_f32_i32_e32 v34, v32
	v_cvt_f32_i32_e32 v35, v31
	;; [unrolled: 1-line block ×4, first 2 shown]
	v_cvt_f32_f16_e32 v6, v6
	v_cndmask_b32_e64 v18, 0, 1, s[18:19]
	v_cmp_ne_u32_e64 s[6:7], 1, v18
	s_cbranch_vccnz .LBB217_20
; %bb.19:                               ;   in Loop: Header=BB217_18 Depth=1
	v_mad_i64_i32 v[17:18], s[36:37], v17, 56, s[28:29]
	v_mov_b32_e32 v51, 0xbf600000
	v_mov_b32_e32 v52, 0xbf600000
	v_add_co_u32_e32 v42, vcc, v17, v26
	v_addc_co_u32_e32 v43, vcc, 0, v18, vcc
	global_load_dword v46, v[42:43], off
	v_add_co_u32_e32 v42, vcc, v17, v24
	v_addc_co_u32_e32 v43, vcc, 0, v18, vcc
	global_load_ushort v47, v[42:43], off offset:32
	v_add_co_u32_e32 v42, vcc, v17, v27
	v_addc_co_u32_e32 v43, vcc, 0, v18, vcc
	global_load_ushort v48, v[42:43], off offset:48
	global_load_dwordx2 v[44:45], v[17:18], off offset:48
	s_waitcnt vmcnt(3)
	v_and_b32_e32 v17, 0xff, v46
	v_bfe_u32 v18, v46, 8, 8
	v_bfe_u32 v42, v46, 16, 8
	s_waitcnt vmcnt(2)
	v_lshlrev_b32_e32 v43, 8, v47
	v_lshlrev_b32_e32 v49, 4, v47
	v_lshlrev_b32_sdwa v50, v29, v47 dst_sel:DWORD dst_unused:UNUSED_PAD src0_sel:DWORD src1_sel:BYTE_1
	v_and_or_b32 v17, v43, s27, v17
	v_and_or_b32 v18, v49, s27, v18
	;; [unrolled: 1-line block ×3, first 2 shown]
	v_lshrrev_b32_sdwa v43, v28, v47 dst_sel:DWORD dst_unused:UNUSED_PAD src0_sel:DWORD src1_sel:BYTE_1
	v_lshlrev_b32_e32 v17, 2, v17
	v_lshlrev_b32_e32 v18, 2, v18
	;; [unrolled: 1-line block ×3, first 2 shown]
	v_alignbit_b32 v46, v43, v46, 24
	global_load_dword v17, v17, s[20:21]
	v_and_b32_e32 v46, 0x7ff, v46
	global_load_dword v18, v18, s[20:21]
	v_lshlrev_b32_e32 v46, 2, v46
	global_load_dword v42, v42, s[20:21]
	s_waitcnt vmcnt(3)
	v_pk_lshrrev_b16 v44, s30, v44
	global_load_dword v46, v46, s[20:21]
	v_bfe_u32 v53, v47, 4, 4
	v_and_b32_sdwa v54, v47, v29 dst_sel:DWORD dst_unused:UNUSED_PAD src0_sel:BYTE_1 src1_sel:DWORD
	v_and_b32_e32 v47, 8, v47
	v_mov_b32_e32 v50, 0xbf600000
	v_pk_lshrrev_b16 v45, 4, v45
	v_and_b32_sdwa v55, v44, s31 dst_sel:DWORD dst_unused:UNUSED_PAD src0_sel:WORD_1 src1_sel:DWORD
	v_cvt_f32_ubyte0_e32 v47, v47
	v_and_b32_e32 v53, 8, v53
	v_and_b32_e32 v45, 0xf0000f00, v45
	v_or_b32_e32 v44, v55, v44
	v_fmac_f32_e32 v50, 0xbd000000, v47
	v_cvt_f32_ubyte0_e32 v47, v53
	v_mov_b32_e32 v49, 0xbf600000
	v_lshrrev_b32_e32 v48, v25, v48
	v_cvt_f32_ubyte0_e32 v54, v54
	v_and_b32_e32 v43, 8, v43
	v_or_b32_e32 v44, v44, v45
	v_fma_f32 v50, v50, v35, 0
	v_fmac_f32_e32 v51, 0xbd000000, v47
	v_lshlrev_b32_e32 v56, 1, v48
	v_lshrrev_b32_e32 v48, 2, v48
	v_fmac_f32_e32 v49, 0xbd000000, v54
	v_cvt_f32_ubyte0_e32 v43, v43
	v_or_b32_sdwa v44, v44, v45 dst_sel:DWORD dst_unused:UNUSED_PAD src0_sel:DWORD src1_sel:WORD_1
	v_fmac_f32_e32 v50, v51, v31
	v_and_b32_e32 v48, 14, v48
	v_fma_f32 v49, v49, v34, 0
	v_fmac_f32_e32 v52, 0xbd000000, v43
	v_or_b32_e32 v43, 1, v48
	v_fmac_f32_e32 v49, v52, v32
	v_cvt_f32_f16_e32 v44, v44
	v_and_b32_e32 v53, 14, v56
	v_or_b32_e32 v47, 1, v53
	v_cvt_f32_ubyte0_e32 v43, v43
	v_mul_f32_e32 v44, v6, v44
	s_waitcnt vmcnt(3)
	v_and_b32_e32 v45, 0xf0f0f0f, v17
	v_lshrrev_b32_e32 v17, 4, v17
	v_and_b32_e32 v17, 0xf0f0f0f, v17
	v_dot4_i32_i8 v45, v45, v7, 0
	s_waitcnt vmcnt(1)
	v_and_b32_e32 v51, 0xf0f0f0f, v42
	v_lshrrev_b32_e32 v42, 4, v42
	v_and_b32_e32 v42, 0xf0f0f0f, v42
	v_dot4_i32_i8 v51, v51, v3, 0
	v_and_b32_e32 v48, 0xf0f0f0f, v18
	v_lshrrev_b32_e32 v18, 4, v18
	s_waitcnt vmcnt(0)
	v_and_b32_e32 v52, 0xf0f0f0f, v46
	v_lshrrev_b32_e32 v46, 4, v46
	v_dot4_i32_i8 v17, v17, v8, v45
	v_dot4_i32_i8 v42, v42, v4, v51
	v_and_b32_e32 v18, 0xf0f0f0f, v18
	v_and_b32_e32 v45, 0xf0f0f0f, v46
	v_dot4_i32_i8 v17, v48, v9, v17
	v_dot4_i32_i8 v42, v52, v5, v42
	;; [unrolled: 1-line block ×4, first 2 shown]
	v_cvt_f32_i32_e32 v18, v18
	v_cvt_f32_i32_e32 v17, v17
	v_cvt_f32_ubyte0_e32 v42, v47
	v_add_f32_e32 v18, v49, v18
	v_add_f32_e32 v17, v50, v17
	v_mul_f32_e32 v18, v18, v43
	v_fmac_f32_e32 v18, v17, v42
	v_fma_f32 v10, v44, v18, v10
.LBB217_20:                             ;   in Loop: Header=BB217_18 Depth=1
	v_add_u32_e32 v49, s24, v23
	v_mad_i64_i32 v[45:46], s[36:37], v49, 56, s[12:13]
	v_add_co_u32_e32 v17, vcc, v45, v26
	v_addc_co_u32_e32 v18, vcc, 0, v46, vcc
	global_load_dword v50, v[17:18], off
	v_add_co_u32_e32 v17, vcc, v45, v24
	v_addc_co_u32_e32 v18, vcc, 0, v46, vcc
	global_load_ushort v42, v[17:18], off offset:32
	v_add_co_u32_e32 v47, vcc, v45, v27
	v_addc_co_u32_e32 v48, vcc, 0, v46, vcc
	global_load_ushort v44, v[47:48], off offset:48
	global_load_dwordx2 v[17:18], v[45:46], off offset:48
	s_and_b64 vcc, exec, s[6:7]
	s_waitcnt vmcnt(3)
	v_and_b32_e32 v45, 0xff, v50
	v_bfe_u32 v46, v50, 8, 8
	v_bfe_u32 v47, v50, 16, 8
	s_waitcnt vmcnt(2)
	v_lshlrev_b32_e32 v48, 8, v42
	v_lshrrev_b32_sdwa v43, v28, v42 dst_sel:DWORD dst_unused:UNUSED_PAD src0_sel:DWORD src1_sel:BYTE_1
	v_lshlrev_b32_e32 v51, 4, v42
	v_lshlrev_b32_sdwa v52, v29, v42 dst_sel:DWORD dst_unused:UNUSED_PAD src0_sel:DWORD src1_sel:BYTE_1
	v_and_or_b32 v45, v48, s27, v45
	v_alignbit_b32 v48, v43, v50, 24
	v_and_or_b32 v46, v51, s27, v46
	v_and_or_b32 v47, v52, s27, v47
	v_lshlrev_b32_e32 v50, 2, v45
	v_and_b32_e32 v45, 0x7ff, v48
	v_lshlrev_b32_e32 v51, 2, v46
	v_lshlrev_b32_e32 v52, 2, v47
	;; [unrolled: 1-line block ×3, first 2 shown]
	global_load_dword v48, v50, s[20:21]
	global_load_dword v47, v51, s[20:21]
	;; [unrolled: 1-line block ×4, first 2 shown]
	s_cbranch_vccnz .LBB217_17
; %bb.21:                               ;   in Loop: Header=BB217_18 Depth=1
	v_mad_i64_i32 v[49:50], s[6:7], v49, 56, s[28:29]
	s_getpc_b64 s[6:7]
	s_add_u32 s6, s6, _ZL13iq1s_grid_gpu@rel32@lo+4
	s_addc_u32 s7, s7, _ZL13iq1s_grid_gpu@rel32@hi+12
	v_add_co_u32_e32 v51, vcc, v49, v26
	v_addc_co_u32_e32 v52, vcc, 0, v50, vcc
	global_load_dword v55, v[51:52], off
	global_load_dwordx2 v[53:54], v[49:50], off offset:48
	v_add_co_u32_e32 v51, vcc, v49, v24
	v_addc_co_u32_e32 v52, vcc, 0, v50, vcc
	v_add_co_u32_e32 v49, vcc, v49, v27
	v_addc_co_u32_e32 v50, vcc, 0, v50, vcc
	global_load_ushort v49, v[49:50], off offset:48
	s_waitcnt vmcnt(2)
	v_and_b32_e32 v56, 0xff, v55
	global_load_ushort v51, v[51:52], off offset:32
	s_waitcnt vmcnt(2)
	v_pk_lshrrev_b16 v53, s30, v53
	v_and_b32_sdwa v59, v53, s31 dst_sel:DWORD dst_unused:UNUSED_PAD src0_sel:WORD_1 src1_sel:DWORD
	v_bfe_u32 v57, v55, 8, 8
	v_or_b32_e32 v53, v59, v53
	v_pk_lshrrev_b16 v54, 4, v54
	v_and_b32_e32 v54, 0xf0000f00, v54
	v_or_b32_e32 v53, v53, v54
	v_or_b32_sdwa v53, v53, v54 dst_sel:DWORD dst_unused:UNUSED_PAD src0_sel:DWORD src1_sel:WORD_1
	v_bfe_u32 v58, v55, 16, 8
	s_waitcnt vmcnt(1)
	v_lshrrev_b32_e32 v49, v25, v49
	v_lshlrev_b32_e32 v50, 1, v49
	v_lshrrev_b32_e32 v49, 2, v49
	v_cvt_f32_f16_e32 v53, v53
	v_and_b32_e32 v49, 14, v49
	v_and_b32_e32 v50, 14, v50
	v_or_b32_e32 v49, 1, v49
	v_or_b32_e32 v50, 1, v50
	v_cvt_f32_ubyte0_e32 v49, v49
	v_cvt_f32_ubyte0_e32 v50, v50
	v_mul_f32_e32 v53, v6, v53
	s_waitcnt vmcnt(0)
	v_lshlrev_b32_e32 v52, 8, v51
	v_and_or_b32 v52, v52, s27, v56
	v_lshlrev_b32_e32 v52, 2, v52
	v_lshlrev_b32_e32 v59, 4, v51
	global_load_dword v52, v52, s[6:7]
	v_and_or_b32 v57, v59, s27, v57
	v_lshlrev_b32_e32 v57, 2, v57
	global_load_dword v57, v57, s[6:7]
	v_bfe_u32 v56, v51, 4, 4
	v_and_b32_e32 v56, 8, v56
	v_cvt_f32_ubyte0_e32 v56, v56
	s_waitcnt vmcnt(1)
	v_and_b32_e32 v54, 0xf0f0f0f, v52
	v_lshrrev_b32_e32 v52, 4, v52
	v_and_b32_e32 v52, 0xf0f0f0f, v52
	v_dot4_i32_i8 v54, v54, v7, 0
	v_dot4_i32_i8 v52, v52, v8, v54
	s_waitcnt vmcnt(0)
	v_and_b32_e32 v59, 0xf0f0f0f, v57
	v_lshrrev_b32_e32 v57, 4, v57
	v_and_b32_e32 v57, 0xf0f0f0f, v57
	v_dot4_i32_i8 v52, v59, v9, v52
	v_dot4_i32_i8 v52, v57, v2, v52
	v_lshlrev_b32_sdwa v57, v29, v51 dst_sel:DWORD dst_unused:UNUSED_PAD src0_sel:DWORD src1_sel:BYTE_1
	v_and_or_b32 v57, v57, s27, v58
	v_lshlrev_b32_e32 v57, 2, v57
	global_load_dword v57, v57, s[6:7]
	v_lshrrev_b32_sdwa v54, v28, v51 dst_sel:DWORD dst_unused:UNUSED_PAD src0_sel:DWORD src1_sel:BYTE_1
	v_alignbit_b32 v55, v54, v55, 24
	v_and_b32_e32 v55, 0x7ff, v55
	v_lshlrev_b32_e32 v55, 2, v55
	global_load_dword v55, v55, s[6:7]
	v_mov_b32_e32 v59, 0xbf600000
	v_and_b32_e32 v54, 8, v54
	v_cvt_f32_ubyte0_e32 v54, v54
	v_cvt_f32_i32_e32 v52, v52
	s_waitcnt vmcnt(1)
	v_and_b32_e32 v58, 0xf0f0f0f, v57
	v_lshrrev_b32_e32 v57, 4, v57
	v_and_b32_e32 v57, 0xf0f0f0f, v57
	v_dot4_i32_i8 v58, v58, v3, 0
	v_dot4_i32_i8 v57, v57, v4, v58
	v_and_b32_sdwa v58, v51, v29 dst_sel:DWORD dst_unused:UNUSED_PAD src0_sel:BYTE_1 src1_sel:DWORD
	v_and_b32_e32 v51, 8, v51
	v_cvt_f32_ubyte0_e32 v58, v58
	v_cvt_f32_ubyte0_e32 v51, v51
	v_fmac_f32_e32 v59, 0xbd000000, v58
	v_mov_b32_e32 v58, 0xbf600000
	v_fmac_f32_e32 v58, 0xbd000000, v51
	v_fma_f32 v51, v58, v35, 0
	v_fma_f32 v58, v59, v34, 0
	s_waitcnt vmcnt(0)
	v_and_b32_e32 v59, 0xf0f0f0f, v55
	v_lshrrev_b32_e32 v55, 4, v55
	v_and_b32_e32 v55, 0xf0f0f0f, v55
	v_dot4_i32_i8 v57, v59, v5, v57
	v_dot4_i32_i8 v55, v55, v30, v57
	v_mov_b32_e32 v57, 0xbf600000
	v_fmac_f32_e32 v57, 0xbd000000, v56
	v_mov_b32_e32 v56, 0xbf600000
	v_fmac_f32_e32 v56, 0xbd000000, v54
	v_cvt_f32_i32_e32 v54, v55
	v_fmac_f32_e32 v58, v56, v32
	v_fmac_f32_e32 v51, v57, v31
	v_add_f32_e32 v51, v51, v52
	v_add_f32_e32 v52, v58, v54
	v_mul_f32_e32 v49, v52, v49
	v_fmac_f32_e32 v49, v51, v50
	v_fma_f32 v11, v53, v49, v11
	s_branch .LBB217_17
.LBB217_22:
	s_or_b64 exec, exec, s[14:15]
.LBB217_23:
	s_or_b64 exec, exec, s[10:11]
	s_load_dword s14, s[4:5], 0x30
	v_cmp_eq_u32_e64 s[6:7], 0, v1
	v_cmp_ne_u32_e32 vcc, 0, v1
	v_lshlrev_b32_e32 v2, 2, v0
	s_and_saveexec_b64 s[10:11], vcc
	s_cbranch_execz .LBB217_28
; %bb.24:
	v_lshl_or_b32 v1, v1, 9, v2
	v_add_u32_e32 v3, 0xfffffe00, v1
	s_mov_b64 s[12:13], -1
	s_and_b64 vcc, exec, s[38:39]
	ds_write_b32 v3, v22
	s_cbranch_vccz .LBB217_26
; %bb.25:
	ds_write_b32 v3, v12 offset:256
	s_mov_b64 s[12:13], 0
.LBB217_26:
	s_andn2_b64 vcc, exec, s[12:13]
	s_cbranch_vccnz .LBB217_28
; %bb.27:
	ds_write_b32 v3, v12 offset:256
	ds_write2st64_b32 v1, v10, v11 offset1:1
.LBB217_28:
	s_or_b64 exec, exec, s[10:11]
	s_waitcnt vmcnt(0) lgkmcnt(0)
	s_barrier
	s_and_saveexec_b64 s[10:11], s[6:7]
	s_cbranch_execz .LBB217_61
; %bb.29:
	ds_read_b32 v4, v2
	v_cndmask_b32_e64 v1, 0, 1, s[18:19]
	v_cmp_ne_u32_e64 s[6:7], 1, v1
	s_andn2_b64 vcc, exec, s[18:19]
	v_or_b32_e32 v3, 0x200, v2
	s_cbranch_vccnz .LBB217_31
; %bb.30:
	ds_read_b32 v1, v3
	s_waitcnt lgkmcnt(0)
	v_add_f32_e32 v10, v10, v1
.LBB217_31:
	v_mbcnt_lo_u32_b32 v1, -1, 0
	v_mbcnt_hi_u32_b32 v5, -1, v1
	v_and_b32_e32 v1, 64, v5
	v_add_u32_e32 v13, 64, v1
	v_xor_b32_e32 v1, 32, v5
	v_cmp_lt_i32_e32 vcc, v1, v13
	v_cndmask_b32_e32 v1, v5, v1, vcc
	v_lshlrev_b32_e32 v1, 2, v1
	s_waitcnt lgkmcnt(0)
	v_add_f32_e32 v4, v22, v4
	ds_bpermute_b32 v7, v1, v4
	v_xor_b32_e32 v6, 16, v5
	v_cmp_lt_i32_e32 vcc, v6, v13
	v_cndmask_b32_e32 v6, v5, v6, vcc
	v_lshlrev_b32_e32 v6, 2, v6
	s_waitcnt lgkmcnt(0)
	v_add_f32_e32 v4, v4, v7
	ds_bpermute_b32 v8, v6, v4
	v_xor_b32_e32 v7, 8, v5
	v_cmp_lt_i32_e32 vcc, v7, v13
	v_cndmask_b32_e32 v7, v5, v7, vcc
	v_lshlrev_b32_e32 v7, 2, v7
	s_waitcnt lgkmcnt(0)
	v_add_f32_e32 v4, v4, v8
	ds_bpermute_b32 v9, v7, v4
	v_xor_b32_e32 v8, 4, v5
	v_cmp_lt_i32_e32 vcc, v8, v13
	v_cndmask_b32_e32 v8, v5, v8, vcc
	v_lshlrev_b32_e32 v8, 2, v8
	s_waitcnt lgkmcnt(0)
	v_add_f32_e32 v4, v4, v9
	ds_bpermute_b32 v14, v8, v4
	v_xor_b32_e32 v9, 2, v5
	v_cmp_lt_i32_e32 vcc, v9, v13
	v_cndmask_b32_e32 v9, v5, v9, vcc
	v_lshlrev_b32_e32 v9, 2, v9
	s_waitcnt lgkmcnt(0)
	v_add_f32_e32 v4, v4, v14
	ds_bpermute_b32 v14, v9, v4
	v_xor_b32_e32 v15, 1, v5
	v_cmp_lt_i32_e32 vcc, v15, v13
	v_cndmask_b32_e32 v5, v5, v15, vcc
	v_lshlrev_b32_e32 v13, 2, v5
	s_waitcnt lgkmcnt(0)
	v_add_f32_e32 v4, v4, v14
	ds_bpermute_b32 v5, v13, v4
	s_and_b64 vcc, exec, s[6:7]
	s_cbranch_vccnz .LBB217_33
; %bb.32:
	ds_bpermute_b32 v14, v1, v10
	s_waitcnt lgkmcnt(0)
	v_add_f32_e32 v10, v10, v14
	ds_bpermute_b32 v14, v6, v10
	s_waitcnt lgkmcnt(0)
	v_add_f32_e32 v10, v10, v14
	;; [unrolled: 3-line block ×6, first 2 shown]
.LBB217_33:
	ds_read_b32 v14, v2 offset:256
	s_and_b64 vcc, exec, s[6:7]
	s_cbranch_vccnz .LBB217_35
; %bb.34:
	ds_read_b32 v3, v3 offset:256
	s_waitcnt lgkmcnt(0)
	v_add_f32_e32 v11, v11, v3
.LBB217_35:
	s_waitcnt lgkmcnt(0)
	v_add_f32_e32 v3, v12, v14
	ds_bpermute_b32 v12, v1, v3
	s_and_b64 vcc, exec, s[6:7]
	s_waitcnt lgkmcnt(0)
	v_add_f32_e32 v3, v3, v12
	ds_bpermute_b32 v12, v6, v3
	s_waitcnt lgkmcnt(0)
	v_add_f32_e32 v3, v3, v12
	ds_bpermute_b32 v12, v7, v3
	;; [unrolled: 3-line block ×5, first 2 shown]
	s_cbranch_vccnz .LBB217_37
; %bb.36:
	ds_bpermute_b32 v1, v1, v11
	s_waitcnt lgkmcnt(0)
	v_add_f32_e32 v1, v11, v1
	ds_bpermute_b32 v6, v6, v1
	s_waitcnt lgkmcnt(0)
	v_add_f32_e32 v1, v1, v6
	;; [unrolled: 3-line block ×6, first 2 shown]
.LBB217_37:
	v_cmp_gt_u32_e32 vcc, s9, v19
	v_cmp_gt_u32_e64 s[10:11], 2, v0
	s_and_b64 s[10:11], s[10:11], vcc
	s_and_b64 exec, exec, s[10:11]
	s_cbranch_execz .LBB217_61
; %bb.38:
	v_add_f32_e32 v1, v4, v5
	s_waitcnt lgkmcnt(0)
	v_add_f32_e32 v3, v3, v12
	v_cmp_eq_u32_e64 s[10:11], 1, v0
	v_cndmask_b32_e64 v0, v1, v3, s[10:11]
	v_add_f32_e32 v1, v21, v0
	s_and_b64 vcc, exec, s[6:7]
	v_cndmask_b32_e64 v0, v1, v0, s[0:1]
	s_cbranch_vccnz .LBB217_60
; %bb.39:
	v_cndmask_b32_e64 v1, v10, v11, s[10:11]
	v_add_f32_e32 v3, v20, v1
	v_cndmask_b32_e64 v1, v1, v3, s[2:3]
	s_cmp_lt_i32 s14, 2
	s_mov_b64 s[0:1], 0
	s_cbranch_scc1 .LBB217_43
; %bb.40:
	s_cmp_gt_i32 s14, 2
	s_cbranch_scc0 .LBB217_44
; %bb.41:
	s_cmp_eq_u32 s14, 3
	s_cbranch_scc0 .LBB217_45
; %bb.42:
	v_max_f32_e32 v3, v1, v1
	v_min_f32_e32 v3, 0x40e00000, v3
	v_mul_f32_e32 v4, 0xbfd9db23, v3
	s_mov_b32 s2, 0x3fb8aa3b
	v_mul_f32_e32 v5, 0x3fb8aa3b, v4
	v_fma_f32 v6, v4, s2, -v5
	v_rndne_f32_e32 v7, v5
	v_fmac_f32_e32 v6, 0x32a5705f, v4
	v_sub_f32_e32 v5, v5, v7
	v_add_f32_e32 v5, v5, v6
	v_exp_f32_e32 v5, v5
	v_cvt_i32_f32_e32 v6, v7
	s_mov_b32 s2, 0xc2ce8ed0
	v_cmp_ngt_f32_e32 vcc, s2, v4
	s_mov_b32 s2, 0x42b17218
	v_ldexp_f32 v5, v5, v6
	v_cndmask_b32_e32 v5, 0, v5, vcc
	v_mov_b32_e32 v6, 0x7f800000
	v_cmp_nlt_f32_e32 vcc, s2, v4
	v_cndmask_b32_e32 v4, v6, v5, vcc
	v_add_f32_e32 v4, 1.0, v4
	v_div_scale_f32 v5, s[2:3], v4, v4, v3
	v_div_scale_f32 v6, vcc, v3, v4, v3
	s_mov_b64 s[2:3], 0
	v_rcp_f32_e32 v7, v5
	v_fma_f32 v8, -v5, v7, 1.0
	v_fmac_f32_e32 v7, v8, v7
	v_mul_f32_e32 v8, v6, v7
	v_fma_f32 v9, -v5, v8, v6
	v_fmac_f32_e32 v8, v9, v7
	v_fma_f32 v5, -v5, v8, v6
	v_div_fmas_f32 v5, v5, v7, v8
	v_max_f32_e32 v6, v0, v0
	v_min_f32_e32 v6, 0x40e00000, v6
	v_max_f32_e32 v6, 0xc0e00000, v6
	v_add_f32_e32 v6, 1.0, v6
	v_div_fixup_f32 v3, v5, v4, v3
	v_mul_f32_e32 v3, v6, v3
	s_branch .LBB217_46
.LBB217_43:
                                        ; implicit-def: $vgpr3
	s_mov_b64 s[2:3], 0
	s_cbranch_execnz .LBB217_50
	s_branch .LBB217_51
.LBB217_44:
	s_mov_b64 s[6:7], -1
	s_mov_b64 s[2:3], 0
                                        ; implicit-def: $vgpr3
	s_branch .LBB217_47
.LBB217_45:
	s_mov_b64 s[2:3], -1
                                        ; implicit-def: $vgpr3
.LBB217_46:
	s_mov_b64 s[6:7], 0
.LBB217_47:
	s_and_b64 vcc, exec, s[6:7]
	s_cbranch_vccz .LBB217_49
; %bb.48:
	v_mul_f32_e32 v3, 0xbfb8aa3b, v1
	s_mov_b32 s6, 0xbfb8aa3b
	v_rndne_f32_e32 v4, v3
	v_sub_f32_e32 v5, v3, v4
	v_fma_f32 v3, v1, s6, -v3
	v_fmac_f32_e32 v3, 0xb2a5705f, v1
	v_add_f32_e32 v3, v5, v3
	v_exp_f32_e32 v3, v3
	v_cvt_i32_f32_e32 v4, v4
	s_mov_b32 s6, 0x42ce8ed0
	v_cmp_nlt_f32_e32 vcc, s6, v1
	s_mov_b32 s6, 0xc2b17218
	v_ldexp_f32 v3, v3, v4
	v_cndmask_b32_e32 v3, 0, v3, vcc
	v_mov_b32_e32 v4, 0x7f800000
	v_cmp_ngt_f32_e32 vcc, s6, v1
	v_cndmask_b32_e32 v3, v4, v3, vcc
	v_add_f32_e32 v3, 1.0, v3
	v_div_scale_f32 v4, s[6:7], v3, v3, v1
	v_div_scale_f32 v5, vcc, v1, v3, v1
	v_rcp_f32_e32 v6, v4
	v_fma_f32 v7, -v4, v6, 1.0
	v_fmac_f32_e32 v6, v7, v6
	v_mul_f32_e32 v7, v5, v6
	v_fma_f32 v8, -v4, v7, v5
	v_fmac_f32_e32 v7, v8, v6
	v_fma_f32 v4, -v4, v7, v5
	v_div_fmas_f32 v4, v4, v6, v7
	v_div_fixup_f32 v3, v4, v3, v1
	v_mul_f32_e32 v3, v0, v3
.LBB217_49:
	s_branch .LBB217_51
.LBB217_50:
	s_cmp_lg_u32 s14, 1
	s_mov_b64 s[0:1], -1
	s_cselect_b64 s[2:3], -1, 0
.LBB217_51:
	s_andn2_b64 vcc, exec, s[2:3]
	s_cbranch_vccz .LBB217_53
; %bb.52:
	s_andn2_b64 vcc, exec, s[0:1]
	s_cbranch_vccz .LBB217_54
	s_branch .LBB217_59
.LBB217_53:
	v_mul_f32_e32 v3, v1, v0
	s_cbranch_execnz .LBB217_59
.LBB217_54:
	v_mul_f32_e32 v4, 0x3d372713, v1
	v_mul_f32_e32 v3, 0x3f4c422a, v1
	v_fma_f32 v4, v1, v4, 1.0
	v_mul_f32_e32 v3, v3, v4
	s_mov_b32 s0, 0x3f200000
	v_cmp_nlt_f32_e64 s[0:1], |v3|, s0
                                        ; implicit-def: $vgpr4
	s_and_saveexec_b64 s[2:3], s[0:1]
	s_xor_b64 s[0:1], exec, s[2:3]
	s_cbranch_execz .LBB217_56
; %bb.55:
	v_add_f32_e64 v4, |v3|, |v3|
	v_mul_f32_e32 v5, 0x3fb8aa3b, v4
	s_mov_b32 s2, 0x3fb8aa3b
	v_rndne_f32_e32 v6, v5
	v_sub_f32_e32 v7, v5, v6
	v_fma_f32 v5, v4, s2, -v5
	v_fmac_f32_e32 v5, 0x32a5705f, v4
	v_add_f32_e32 v5, v7, v5
	v_exp_f32_e32 v5, v5
	v_cvt_i32_f32_e32 v6, v6
	s_mov_b32 s2, 0xc2ce8ed0
	v_cmp_ngt_f32_e32 vcc, s2, v4
	s_mov_b32 s2, 0x42b17218
	v_ldexp_f32 v5, v5, v6
	v_cndmask_b32_e32 v5, 0, v5, vcc
	v_mov_b32_e32 v6, 0x7f800000
	v_cmp_nlt_f32_e32 vcc, s2, v4
	v_cndmask_b32_e32 v4, v6, v5, vcc
	v_add_f32_e32 v4, 1.0, v4
	v_rcp_f32_e32 v4, v4
	v_fma_f32 v4, v4, -2.0, 1.0
.LBB217_56:
	s_andn2_saveexec_b64 s[0:1], s[0:1]
	s_cbranch_execz .LBB217_58
; %bb.57:
	v_mul_f32_e32 v4, v3, v3
	v_mov_b32_e32 v5, 0x3ca908c9
	v_fmac_f32_e32 v5, 0xbbbac73d, v4
	v_mov_b32_e32 v6, 0xbd5c1c4e
	v_fmac_f32_e32 v6, v4, v5
	;; [unrolled: 2-line block ×4, first 2 shown]
	v_mul_f32_e64 v5, |v3|, v6
	v_fma_f32 v4, v4, v5, |v3|
.LBB217_58:
	s_or_b64 exec, exec, s[0:1]
	s_brev_b32 s0, -2
	v_bfi_b32 v3, s0, v4, v3
	v_mul_f32_e32 v1, 0.5, v1
	v_add_f32_e32 v3, 1.0, v3
	v_mul_f32_e32 v1, v1, v3
	v_mul_f32_e32 v3, v0, v1
.LBB217_59:
	v_mov_b32_e32 v0, v3
.LBB217_60:
	s_load_dwordx2 s[0:1], s[4:5], 0x38
	s_mul_i32 s3, s22, s34
	s_mul_i32 s2, s26, s8
	s_add_i32 s3, s3, s16
	s_add_i32 s2, s3, s2
	s_mov_b32 s3, 0
	s_lshl_b64 s[2:3], s[2:3], 2
	s_waitcnt lgkmcnt(0)
	s_add_u32 s0, s0, s2
	s_addc_u32 s1, s1, s3
	global_store_dword v2, v0, s[0:1]
.LBB217_61:
	s_endpgm
	.section	.rodata,"a",@progbits
	.p2align	6, 0x0
	.amdhsa_kernel _ZL13mul_mat_vec_qIL9ggml_type29ELi1ELb1ELb1EEvPKvS2_PKi31ggml_cuda_mm_fusion_args_devicePfj15HIP_vector_typeIjLj3EEjjjS8_jjjS8_jjjj
		.amdhsa_group_segment_fixed_size 1024
		.amdhsa_private_segment_fixed_size 0
		.amdhsa_kernarg_size 144
		.amdhsa_user_sgpr_count 6
		.amdhsa_user_sgpr_private_segment_buffer 1
		.amdhsa_user_sgpr_dispatch_ptr 0
		.amdhsa_user_sgpr_queue_ptr 0
		.amdhsa_user_sgpr_kernarg_segment_ptr 1
		.amdhsa_user_sgpr_dispatch_id 0
		.amdhsa_user_sgpr_flat_scratch_init 0
		.amdhsa_user_sgpr_private_segment_size 0
		.amdhsa_uses_dynamic_stack 0
		.amdhsa_system_sgpr_private_segment_wavefront_offset 0
		.amdhsa_system_sgpr_workgroup_id_x 1
		.amdhsa_system_sgpr_workgroup_id_y 1
		.amdhsa_system_sgpr_workgroup_id_z 1
		.amdhsa_system_sgpr_workgroup_info 0
		.amdhsa_system_vgpr_workitem_id 1
		.amdhsa_next_free_vgpr 60
		.amdhsa_next_free_sgpr 44
		.amdhsa_reserve_vcc 1
		.amdhsa_reserve_flat_scratch 0
		.amdhsa_float_round_mode_32 0
		.amdhsa_float_round_mode_16_64 0
		.amdhsa_float_denorm_mode_32 3
		.amdhsa_float_denorm_mode_16_64 3
		.amdhsa_dx10_clamp 1
		.amdhsa_ieee_mode 1
		.amdhsa_fp16_overflow 0
		.amdhsa_exception_fp_ieee_invalid_op 0
		.amdhsa_exception_fp_denorm_src 0
		.amdhsa_exception_fp_ieee_div_zero 0
		.amdhsa_exception_fp_ieee_overflow 0
		.amdhsa_exception_fp_ieee_underflow 0
		.amdhsa_exception_fp_ieee_inexact 0
		.amdhsa_exception_int_div_zero 0
	.end_amdhsa_kernel
	.section	.text._ZL13mul_mat_vec_qIL9ggml_type29ELi1ELb1ELb1EEvPKvS2_PKi31ggml_cuda_mm_fusion_args_devicePfj15HIP_vector_typeIjLj3EEjjjS8_jjjS8_jjjj,"axG",@progbits,_ZL13mul_mat_vec_qIL9ggml_type29ELi1ELb1ELb1EEvPKvS2_PKi31ggml_cuda_mm_fusion_args_devicePfj15HIP_vector_typeIjLj3EEjjjS8_jjjS8_jjjj,comdat
.Lfunc_end217:
	.size	_ZL13mul_mat_vec_qIL9ggml_type29ELi1ELb1ELb1EEvPKvS2_PKi31ggml_cuda_mm_fusion_args_devicePfj15HIP_vector_typeIjLj3EEjjjS8_jjjS8_jjjj, .Lfunc_end217-_ZL13mul_mat_vec_qIL9ggml_type29ELi1ELb1ELb1EEvPKvS2_PKi31ggml_cuda_mm_fusion_args_devicePfj15HIP_vector_typeIjLj3EEjjjS8_jjjS8_jjjj
                                        ; -- End function
	.set _ZL13mul_mat_vec_qIL9ggml_type29ELi1ELb1ELb1EEvPKvS2_PKi31ggml_cuda_mm_fusion_args_devicePfj15HIP_vector_typeIjLj3EEjjjS8_jjjS8_jjjj.num_vgpr, 60
	.set _ZL13mul_mat_vec_qIL9ggml_type29ELi1ELb1ELb1EEvPKvS2_PKi31ggml_cuda_mm_fusion_args_devicePfj15HIP_vector_typeIjLj3EEjjjS8_jjjS8_jjjj.num_agpr, 0
	.set _ZL13mul_mat_vec_qIL9ggml_type29ELi1ELb1ELb1EEvPKvS2_PKi31ggml_cuda_mm_fusion_args_devicePfj15HIP_vector_typeIjLj3EEjjjS8_jjjS8_jjjj.numbered_sgpr, 44
	.set _ZL13mul_mat_vec_qIL9ggml_type29ELi1ELb1ELb1EEvPKvS2_PKi31ggml_cuda_mm_fusion_args_devicePfj15HIP_vector_typeIjLj3EEjjjS8_jjjS8_jjjj.num_named_barrier, 0
	.set _ZL13mul_mat_vec_qIL9ggml_type29ELi1ELb1ELb1EEvPKvS2_PKi31ggml_cuda_mm_fusion_args_devicePfj15HIP_vector_typeIjLj3EEjjjS8_jjjS8_jjjj.private_seg_size, 0
	.set _ZL13mul_mat_vec_qIL9ggml_type29ELi1ELb1ELb1EEvPKvS2_PKi31ggml_cuda_mm_fusion_args_devicePfj15HIP_vector_typeIjLj3EEjjjS8_jjjS8_jjjj.uses_vcc, 1
	.set _ZL13mul_mat_vec_qIL9ggml_type29ELi1ELb1ELb1EEvPKvS2_PKi31ggml_cuda_mm_fusion_args_devicePfj15HIP_vector_typeIjLj3EEjjjS8_jjjS8_jjjj.uses_flat_scratch, 0
	.set _ZL13mul_mat_vec_qIL9ggml_type29ELi1ELb1ELb1EEvPKvS2_PKi31ggml_cuda_mm_fusion_args_devicePfj15HIP_vector_typeIjLj3EEjjjS8_jjjS8_jjjj.has_dyn_sized_stack, 0
	.set _ZL13mul_mat_vec_qIL9ggml_type29ELi1ELb1ELb1EEvPKvS2_PKi31ggml_cuda_mm_fusion_args_devicePfj15HIP_vector_typeIjLj3EEjjjS8_jjjS8_jjjj.has_recursion, 0
	.set _ZL13mul_mat_vec_qIL9ggml_type29ELi1ELb1ELb1EEvPKvS2_PKi31ggml_cuda_mm_fusion_args_devicePfj15HIP_vector_typeIjLj3EEjjjS8_jjjS8_jjjj.has_indirect_call, 0
	.section	.AMDGPU.csdata,"",@progbits
; Kernel info:
; codeLenInByte = 5208
; TotalNumSgprs: 48
; NumVgprs: 60
; ScratchSize: 0
; MemoryBound: 0
; FloatMode: 240
; IeeeMode: 1
; LDSByteSize: 1024 bytes/workgroup (compile time only)
; SGPRBlocks: 5
; VGPRBlocks: 14
; NumSGPRsForWavesPerEU: 48
; NumVGPRsForWavesPerEU: 60
; Occupancy: 4
; WaveLimiterHint : 0
; COMPUTE_PGM_RSRC2:SCRATCH_EN: 0
; COMPUTE_PGM_RSRC2:USER_SGPR: 6
; COMPUTE_PGM_RSRC2:TRAP_HANDLER: 0
; COMPUTE_PGM_RSRC2:TGID_X_EN: 1
; COMPUTE_PGM_RSRC2:TGID_Y_EN: 1
; COMPUTE_PGM_RSRC2:TGID_Z_EN: 1
; COMPUTE_PGM_RSRC2:TIDIG_COMP_CNT: 1
	.section	.text._ZL13mul_mat_vec_qIL9ggml_type29ELi1ELb0ELb1EEvPKvS2_PKi31ggml_cuda_mm_fusion_args_devicePfj15HIP_vector_typeIjLj3EEjjjS8_jjjS8_jjjj,"axG",@progbits,_ZL13mul_mat_vec_qIL9ggml_type29ELi1ELb0ELb1EEvPKvS2_PKi31ggml_cuda_mm_fusion_args_devicePfj15HIP_vector_typeIjLj3EEjjjS8_jjjS8_jjjj,comdat
	.globl	_ZL13mul_mat_vec_qIL9ggml_type29ELi1ELb0ELb1EEvPKvS2_PKi31ggml_cuda_mm_fusion_args_devicePfj15HIP_vector_typeIjLj3EEjjjS8_jjjS8_jjjj ; -- Begin function _ZL13mul_mat_vec_qIL9ggml_type29ELi1ELb0ELb1EEvPKvS2_PKi31ggml_cuda_mm_fusion_args_devicePfj15HIP_vector_typeIjLj3EEjjjS8_jjjS8_jjjj
	.p2align	8
	.type	_ZL13mul_mat_vec_qIL9ggml_type29ELi1ELb0ELb1EEvPKvS2_PKi31ggml_cuda_mm_fusion_args_devicePfj15HIP_vector_typeIjLj3EEjjjS8_jjjS8_jjjj,@function
_ZL13mul_mat_vec_qIL9ggml_type29ELi1ELb0ELb1EEvPKvS2_PKi31ggml_cuda_mm_fusion_args_devicePfj15HIP_vector_typeIjLj3EEjjjS8_jjjS8_jjjj: ; @_ZL13mul_mat_vec_qIL9ggml_type29ELi1ELb0ELb1EEvPKvS2_PKi31ggml_cuda_mm_fusion_args_devicePfj15HIP_vector_typeIjLj3EEjjjS8_jjjS8_jjjj
; %bb.0:
	s_load_dwordx2 s[0:1], s[4:5], 0x10
	s_load_dwordx4 s[16:19], s[4:5], 0x40
	s_mov_b32 s10, s7
	s_mov_b64 s[14:15], 0
	s_waitcnt lgkmcnt(0)
	s_cmp_lg_u64 s[0:1], 0
	s_cselect_b64 s[12:13], -1, 0
	s_cmp_eq_u64 s[0:1], 0
	s_cbranch_scc1 .LBB218_5
; %bb.1:
	s_mov_b32 s11, 0
	s_lshl_b64 s[2:3], s[10:11], 2
	s_add_u32 s0, s0, s2
	s_addc_u32 s1, s1, s3
	s_load_dword s21, s[0:1], 0x0
	s_nop 0
	s_load_dwordx4 s[0:3], s[4:5], 0x68
	s_load_dword s20, s[4:5], 0x50
	s_andn2_b64 vcc, exec, s[14:15]
	s_cbranch_vccnz .LBB218_3
.LBB218_2:
	s_load_dwordx2 s[14:15], s[4:5], 0x5c
	s_waitcnt lgkmcnt(0)
	s_mul_hi_u32 s7, s14, s10
	s_add_i32 s7, s10, s7
	s_lshr_b32 s21, s7, s15
.LBB218_3:
	s_load_dword s22, s[4:5], 0x78
	s_andn2_b64 vcc, exec, s[12:13]
	s_cbranch_vccnz .LBB218_6
; %bb.4:
	s_mul_hi_u32 s7, s17, s10
	s_add_i32 s7, s10, s7
	s_lshr_b32 s7, s7, s18
	s_mul_i32 s7, s7, s19
	s_sub_i32 s23, s10, s7
	s_branch .LBB218_7
.LBB218_5:
                                        ; implicit-def: $sgpr21
	s_load_dwordx4 s[0:3], s[4:5], 0x68
	s_load_dword s20, s[4:5], 0x50
	s_branch .LBB218_2
.LBB218_6:
	s_mov_b32 s23, s10
.LBB218_7:
	s_load_dwordx4 s[12:15], s[4:5], 0x80
	v_lshl_add_u32 v2, v1, 6, v0
	s_lshr_b32 s11, s16, 8
	v_lshrrev_b32_e32 v6, 3, v2
	s_lshl_b32 s9, s6, 1
	v_cmp_gt_u32_e32 vcc, s11, v6
	v_mov_b32_e32 v5, 0
	v_mov_b32_e32 v4, 0
	s_and_saveexec_b64 s[6:7], vcc
	s_cbranch_execz .LBB218_11
; %bb.8:
	s_waitcnt lgkmcnt(0)
	s_mul_hi_u32 s3, s3, s8
	s_add_i32 s3, s8, s3
	s_lshr_b32 s3, s3, s22
	s_mul_i32 s0, s21, s0
	s_mul_i32 s3, s3, s12
	;; [unrolled: 1-line block ×3, first 2 shown]
	s_add_i32 s15, s0, s3
	v_and_b32_e32 v3, 1, v0
	s_mul_hi_u32 s0, s1, 36
	s_mul_i32 s1, s1, 36
	v_cmp_eq_u32_e32 vcc, 1, v3
	v_lshrrev_b32_e32 v9, 3, v2
	v_mov_b32_e32 v2, s1
	v_mov_b32_e32 v3, s0
	s_movk_i32 s0, 0x120
	v_mad_u64_u32 v[2:3], s[0:1], v9, s0, v[2:3]
	s_mul_i32 s12, s13, s8
	s_mul_i32 s0, s9, s20
	s_add_i32 s3, s15, s0
	v_mad_u64_u32 v[2:3], s[0:1], s12, 36, v[2:3]
	s_load_dwordx4 s[16:19], s[4:5], 0x0
	v_and_b32_e32 v5, 7, v0
	s_add_i32 s0, s9, 1
	s_mul_i32 s20, s20, s0
	v_mad_u64_u32 v[2:3], s[0:1], v5, 36, v[2:3]
	v_cndmask_b32_e64 v8, 0, 6, vcc
	s_waitcnt lgkmcnt(0)
	v_mov_b32_e32 v9, s19
	v_add_co_u32_e32 v2, vcc, s18, v2
	v_addc_co_u32_e32 v3, vcc, v9, v3, vcc
	v_bfe_u32 v10, v0, 1, 2
	v_add_co_u32_e32 v2, vcc, 32, v2
	v_mov_b32_e32 v4, 0
	v_lshlrev_b32_e32 v7, 1, v5
	s_add_i32 s15, s15, s20
	v_addc_co_u32_e32 v3, vcc, 0, v3, vcc
	s_mov_b64 s[12:13], 0
	s_mov_b32 s18, 0x1010101
	v_lshlrev_b32_e32 v9, 2, v5
	s_movk_i32 s19, 0x700
	s_movk_i32 s20, 0xf000
	v_lshlrev_b32_e32 v10, 1, v10
	s_mov_b32 s21, 0x8000c
	s_mov_b32 s22, 0xffff
	s_mov_b32 s23, 0xf000f0
	s_mov_b32 s24, 0x5040100
	v_mov_b32_e32 v11, 8
	v_mov_b32_e32 v12, 4
	;; [unrolled: 1-line block ×3, first 2 shown]
.LBB218_9:                              ; =>This Inner Loop Header: Depth=1
	v_add_u32_e32 v21, s3, v6
	v_mad_i64_i32 v[21:22], s[26:27], v21, 56, s[16:17]
	v_add_u32_e32 v23, s15, v6
	v_mad_i64_i32 v[23:24], s[26:27], v23, 56, s[16:17]
	v_add_co_u32_e32 v25, vcc, v21, v9
	v_addc_co_u32_e32 v26, vcc, 0, v22, vcc
	v_add_co_u32_e32 v27, vcc, v21, v7
	v_addc_co_u32_e32 v28, vcc, 0, v22, vcc
	;; [unrolled: 2-line block ×5, first 2 shown]
	v_add_co_u32_e32 v35, vcc, v23, v10
	global_load_dwordx4 v[13:16], v[2:3], off offset:-32
	global_load_dwordx4 v[17:20], v[2:3], off offset:-16
	v_addc_co_u32_e32 v36, vcc, 0, v24, vcc
	global_load_dword v37, v[25:26], off
	global_load_ushort v38, v[27:28], off offset:32
	global_load_dword v39, v[29:30], off
                                        ; kill: killed $vgpr29 killed $vgpr30
                                        ; kill: killed $vgpr27 killed $vgpr28
                                        ; kill: killed $vgpr25 killed $vgpr26
	s_nop 0
	global_load_ushort v27, v[31:32], off offset:32
	global_load_ushort v28, v[33:34], off offset:48
	global_load_dwordx2 v[25:26], v[21:22], off offset:48
	global_load_ushort v29, v[35:36], off offset:48
                                        ; kill: killed $vgpr21 killed $vgpr22
                                        ; kill: killed $vgpr35 killed $vgpr36
                                        ; kill: killed $vgpr33 killed $vgpr34
                                        ; kill: killed $vgpr31 killed $vgpr32
	s_nop 0
	global_load_dwordx2 v[21:22], v[23:24], off offset:48
	s_getpc_b64 s[0:1]
	s_add_u32 s0, s0, _ZL13iq1s_grid_gpu@rel32@lo+4
	s_addc_u32 s1, s1, _ZL13iq1s_grid_gpu@rel32@hi+12
	v_add_u32_e32 v6, 16, v6
	s_waitcnt vmcnt(7)
	v_and_b32_e32 v23, 0xff, v37
	s_waitcnt vmcnt(6)
	v_lshlrev_b32_e32 v24, 8, v38
	v_bfe_u32 v30, v37, 8, 8
	v_lshlrev_b32_e32 v31, 4, v38
	v_lshrrev_b32_e32 v32, 24, v37
	v_lshlrev_b32_sdwa v33, v12, v38 dst_sel:DWORD dst_unused:UNUSED_PAD src0_sel:DWORD src1_sel:BYTE_1
	v_and_or_b32 v23, v24, s19, v23
	v_and_or_b32 v30, v31, s19, v30
	s_waitcnt vmcnt(5)
	v_bfe_u32 v31, v39, 8, 8
	v_and_or_b32 v32, v33, s19, v32
	s_waitcnt vmcnt(4)
	v_lshlrev_b32_e32 v33, 4, v27
	v_lshlrev_b32_e32 v23, 2, v23
	v_and_or_b32 v31, v33, s19, v31
	v_lshlrev_b32_e32 v30, 2, v30
	v_lshlrev_b32_e32 v32, 2, v32
	global_load_dword v33, v23, s[0:1]
	global_load_dword v35, v32, s[0:1]
	;; [unrolled: 1-line block ×3, first 2 shown]
	v_and_b32_e32 v34, 0xff, v39
	v_lshlrev_b32_e32 v24, 8, v27
	v_and_or_b32 v24, v24, s19, v34
	v_lshrrev_b32_sdwa v34, v12, v27 dst_sel:DWORD dst_unused:UNUSED_PAD src0_sel:DWORD src1_sel:BYTE_1
	v_lshlrev_b32_e32 v24, 2, v24
	global_load_dword v24, v24, s[0:1]
	v_lshlrev_b32_e32 v31, 2, v31
	s_waitcnt vmcnt(4)
	v_pk_lshrrev_b16 v21, s21, v21
	v_pk_lshrrev_b16 v22, 4, v22
	v_and_b32_e32 v22, 0xf0000f00, v22
	v_cvt_f32_f16_e32 v13, v13
	v_lshrrev_b32_e32 v29, v8, v29
	v_lshrrev_b32_e32 v28, v8, v28
	s_waitcnt vmcnt(3)
	v_and_b32_e32 v23, 0xf0f0f0f, v33
	v_lshrrev_b32_e32 v30, 4, v33
	v_and_b32_e32 v30, 0xf0f0f0f, v30
	v_dot4_i32_i8 v23, v23, v14, 0
	v_dot4_i32_i8 v23, v30, v15, v23
	v_alignbit_b32 v30, v34, v39, 24
	v_and_b32_e32 v30, 0x7ff, v30
	v_lshlrev_b32_e32 v30, 2, v30
	global_load_dword v32, v30, s[0:1]
	global_load_dword v33, v31, s[0:1]
	s_waitcnt vmcnt(2)
	v_and_b32_e32 v30, 0xf0f0f0f, v24
	v_lshrrev_b32_e32 v24, 4, v24
	v_and_b32_e32 v24, 0xf0f0f0f, v24
	v_dot4_i32_i8 v30, v30, v14, 0
	v_dot4_i32_i8 v24, v24, v15, v30
	v_and_b32_e32 v30, 0xf0f0f0f, v36
	v_dot4_i32_i8 v23, v30, v16, v23
	v_dot4_i32_i8 v14, v14, s18, 0
	;; [unrolled: 1-line block ×4, first 2 shown]
	v_cvt_f32_i32_e32 v14, v14
	v_dot4_i32_i8 v15, v17, s18, v15
	v_cvt_f32_i32_e32 v15, v15
	v_bfe_u32 v31, v39, 16, 8
	v_lshrrev_b32_e32 v36, 4, v36
	s_waitcnt vmcnt(0)
	v_and_b32_e32 v30, 0xf0f0f0f, v33
	v_dot4_i32_i8 v24, v30, v16, v24
	v_lshrrev_b16_e32 v16, 12, v25
	v_lshrrev_b32_e32 v25, 24, v25
	v_lshrrev_b16_e32 v30, 4, v26
	v_bfi_b32 v25, s22, v25, v21
	v_perm_b32 v16, v21, v16, s24
	v_and_b32_sdwa v26, v26, s20 dst_sel:DWORD dst_unused:UNUSED_PAD src0_sel:WORD_1 src1_sel:DWORD
	v_and_or_b32 v16, v25, s23, v16
	v_and_b32_e32 v25, 0xf00, v30
	v_perm_b32 v25, v22, v25, s24
	v_bfi_b32 v22, s22, v26, v22
	v_or3_b32 v16, v16, v25, v22
	v_and_b32_e32 v25, 8, v38
	v_mov_b32_e32 v21, 0xbf600000
	v_cvt_f32_ubyte0_e32 v25, v25
	v_fmac_f32_e32 v21, 0xbd000000, v25
	v_and_b32_e32 v25, 8, v27
	v_mov_b32_e32 v26, 0xbf600000
	v_cvt_f32_ubyte0_e32 v25, v25
	v_fmac_f32_e32 v26, 0xbd000000, v25
	v_lshrrev_b32_e32 v25, 4, v38
	v_and_b32_e32 v25, 8, v25
	v_fma_f32 v21, v21, v14, 0
	v_fma_f32 v14, v26, v14, 0
	v_bfe_u32 v26, v27, 4, 4
	v_mov_b32_e32 v22, 0xbf600000
	v_cvt_f32_ubyte0_e32 v25, v25
	v_and_b32_e32 v26, 8, v26
	v_fmac_f32_e32 v22, 0xbd000000, v25
	v_mov_b32_e32 v25, 0xbf600000
	v_cvt_f32_ubyte0_e32 v26, v26
	v_fmac_f32_e32 v25, 0xbd000000, v26
	global_load_dword v26, v[2:3], off
	v_fmac_f32_e32 v14, v25, v15
	v_bfe_u32 v25, v37, 16, 8
	v_lshlrev_b32_sdwa v30, v11, v38 dst_sel:DWORD dst_unused:UNUSED_PAD src0_sel:DWORD src1_sel:BYTE_1
	v_and_or_b32 v25, v30, s19, v25
	v_lshlrev_b32_sdwa v30, v11, v27 dst_sel:DWORD dst_unused:UNUSED_PAD src0_sel:DWORD src1_sel:BYTE_1
	v_and_or_b32 v30, v30, s19, v31
	v_lshlrev_b32_e32 v25, 2, v25
	v_lshlrev_b32_e32 v30, 2, v30
	global_load_dword v37, v25, s[0:1]
	global_load_dword v39, v30, s[0:1]
	v_and_b32_sdwa v27, v27, v11 dst_sel:DWORD dst_unused:UNUSED_PAD src0_sel:BYTE_1 src1_sel:DWORD
	v_and_b32_sdwa v31, v38, v11 dst_sel:DWORD dst_unused:UNUSED_PAD src0_sel:BYTE_1 src1_sel:DWORD
	v_cvt_f32_ubyte0_e32 v25, v27
	v_lshrrev_b32_sdwa v27, v12, v38 dst_sel:DWORD dst_unused:UNUSED_PAD src0_sel:DWORD src1_sel:BYTE_1
	v_fmac_f32_e32 v21, v22, v15
	v_mov_b32_e32 v22, 0xbf600000
	v_cvt_f32_ubyte0_e32 v31, v31
	v_and_b32_e32 v27, 8, v27
	v_fmac_f32_e32 v22, 0xbd000000, v31
	v_mov_b32_e32 v31, 0xbf600000
	v_cvt_f32_ubyte0_e32 v27, v27
	v_fmac_f32_e32 v31, 0xbd000000, v27
	v_dot4_i32_i8 v27, v18, s18, 0
	v_dot4_i32_i8 v27, v19, s18, v27
	v_cvt_f32_i32_e32 v27, v27
	v_mov_b32_e32 v15, 0xbf600000
	v_fmac_f32_e32 v15, 0xbd000000, v25
	v_and_b32_e32 v30, 8, v34
	v_fma_f32 v22, v22, v27, 0
	v_fma_f32 v15, v15, v27, 0
	v_dot4_i32_i8 v27, v20, s18, 0
	v_mov_b32_e32 v25, 0xbf600000
	v_cvt_f32_ubyte0_e32 v30, v30
	v_fmac_f32_e32 v25, 0xbd000000, v30
	v_lshrrev_b32_e32 v33, 4, v33
	v_and_b32_e32 v33, 0xf0f0f0f, v33
	v_lshlrev_b32_e32 v30, 1, v28
	v_lshrrev_b32_e32 v28, 2, v28
	v_and_or_b32 v28, v28, 14, 1
	v_and_or_b32 v30, v30, 14, 1
	v_cvt_f32_ubyte0_e32 v28, v28
	v_cvt_f32_ubyte0_e32 v30, v30
	v_add_co_u32_e32 v2, vcc, 0x1200, v2
	v_cmp_le_u32_e64 s[0:1], s11, v6
	v_addc_co_u32_e32 v3, vcc, 0, v3, vcc
	s_or_b64 s[12:13], s[0:1], s[12:13]
	s_waitcnt vmcnt(2)
	v_dot4_i32_i8 v27, v26, s18, v27
	v_cvt_f32_i32_e32 v27, v27
	v_fmac_f32_e32 v15, v25, v27
	v_cvt_f32_f16_e32 v25, v16
	v_cvt_f32_f16_sdwa v16, v16 dst_sel:DWORD dst_unused:UNUSED_PAD src0_sel:WORD_1
	v_fmac_f32_e32 v22, v31, v27
	v_lshlrev_b32_e32 v31, 1, v29
	v_lshrrev_b32_e32 v29, 2, v29
	v_and_b32_e32 v29, 14, v29
	v_and_b32_e32 v31, 14, v31
	v_or_b32_e32 v29, 1, v29
	v_or_b32_e32 v31, 1, v31
	v_cvt_f32_ubyte0_e32 v27, v29
	v_cvt_f32_ubyte0_e32 v29, v31
	v_mul_f32_e32 v25, v13, v25
	v_mul_f32_e32 v13, v13, v16
	s_waitcnt vmcnt(1)
	v_and_b32_e32 v16, 0xf0f0f0f, v37
	v_lshrrev_b32_e32 v31, 4, v37
	s_waitcnt vmcnt(0)
	v_and_b32_e32 v34, 0xf0f0f0f, v39
	v_lshrrev_b32_e32 v37, 4, v39
	v_and_b32_e32 v31, 0xf0f0f0f, v31
	v_dot4_i32_i8 v16, v16, v18, 0
	v_dot4_i32_i8 v16, v31, v19, v16
	v_and_b32_e32 v31, 0xf0f0f0f, v35
	v_lshrrev_b32_e32 v35, 4, v35
	v_and_b32_e32 v37, 0xf0f0f0f, v37
	v_dot4_i32_i8 v18, v34, v18, 0
	v_dot4_i32_i8 v18, v37, v19, v18
	v_and_b32_e32 v19, 0xf0f0f0f, v32
	v_and_b32_e32 v34, 0xf0f0f0f, v36
	;; [unrolled: 1-line block ×3, first 2 shown]
	v_lshrrev_b32_e32 v32, 4, v32
	v_dot4_i32_i8 v16, v31, v20, v16
	v_and_b32_e32 v32, 0xf0f0f0f, v32
	v_dot4_i32_i8 v18, v19, v20, v18
	v_dot4_i32_i8 v19, v34, v17, v23
	;; [unrolled: 1-line block ×5, first 2 shown]
	v_cvt_f32_i32_e32 v16, v16
	v_cvt_f32_i32_e32 v17, v17
	;; [unrolled: 1-line block ×4, first 2 shown]
	v_add_f32_e32 v16, v22, v16
	v_add_f32_e32 v14, v14, v17
	;; [unrolled: 1-line block ×4, first 2 shown]
	v_mul_f32_e32 v16, v16, v28
	v_mul_f32_e32 v14, v14, v29
	v_fmac_f32_e32 v14, v15, v27
	v_fmac_f32_e32 v16, v19, v30
	;; [unrolled: 1-line block ×4, first 2 shown]
	s_andn2_b64 exec, exec, s[12:13]
	s_cbranch_execnz .LBB218_9
; %bb.10:
	s_or_b64 exec, exec, s[12:13]
.LBB218_11:
	s_or_b64 exec, exec, s[6:7]
	v_cmp_eq_u32_e32 vcc, 0, v1
	s_waitcnt lgkmcnt(0)
	v_cmp_ne_u32_e64 s[0:1], 0, v1
	v_lshlrev_b32_e32 v2, 2, v0
	s_and_saveexec_b64 s[6:7], s[0:1]
; %bb.12:
	v_lshl_or_b32 v1, v1, 9, v2
	v_add_u32_e32 v1, 0xfffffe00, v1
	ds_write2st64_b32 v1, v4, v5 offset1:1
; %bb.13:
	s_or_b64 exec, exec, s[6:7]
	s_waitcnt lgkmcnt(0)
	s_barrier
	s_and_saveexec_b64 s[0:1], vcc
	s_cbranch_execz .LBB218_16
; %bb.14:
	v_mbcnt_lo_u32_b32 v1, -1, 0
	v_mbcnt_hi_u32_b32 v1, -1, v1
	v_and_b32_e32 v3, 64, v1
	v_add_u32_e32 v3, 64, v3
	v_xor_b32_e32 v6, 32, v1
	v_cmp_lt_i32_e32 vcc, v6, v3
	v_cndmask_b32_e32 v6, v1, v6, vcc
	v_lshlrev_b32_e32 v8, 2, v6
	v_xor_b32_e32 v6, 16, v1
	v_cmp_lt_i32_e32 vcc, v6, v3
	v_cndmask_b32_e32 v6, v1, v6, vcc
	v_lshlrev_b32_e32 v9, 2, v6
	ds_read2st64_b32 v[6:7], v2 offset1:1
	v_xor_b32_e32 v10, 8, v1
	v_cmp_lt_i32_e32 vcc, v10, v3
	v_cndmask_b32_e32 v10, v1, v10, vcc
	v_lshlrev_b32_e32 v10, 2, v10
	s_waitcnt lgkmcnt(0)
	v_add_f32_e32 v4, v4, v6
	v_add_f32_e32 v5, v5, v7
	ds_bpermute_b32 v6, v8, v4
	ds_bpermute_b32 v7, v8, v5
	v_xor_b32_e32 v11, 4, v1
	v_cmp_lt_i32_e32 vcc, v11, v3
	v_cndmask_b32_e32 v8, v1, v11, vcc
	s_waitcnt lgkmcnt(1)
	v_add_f32_e32 v4, v4, v6
	s_waitcnt lgkmcnt(0)
	v_add_f32_e32 v5, v5, v7
	ds_bpermute_b32 v6, v9, v4
	ds_bpermute_b32 v7, v9, v5
	v_lshlrev_b32_e32 v8, 2, v8
	v_xor_b32_e32 v9, 2, v1
	v_cmp_lt_i32_e32 vcc, v9, v3
	s_waitcnt lgkmcnt(1)
	v_add_f32_e32 v4, v4, v6
	s_waitcnt lgkmcnt(0)
	v_add_f32_e32 v5, v5, v7
	ds_bpermute_b32 v6, v10, v4
	ds_bpermute_b32 v7, v10, v5
	v_cndmask_b32_e32 v9, v1, v9, vcc
	s_load_dword s0, s[4:5], 0x58
	s_mov_b32 s3, 0
	s_waitcnt lgkmcnt(0)
	v_add_f32_e32 v4, v4, v6
	v_add_f32_e32 v5, v5, v7
	ds_bpermute_b32 v6, v8, v4
	ds_bpermute_b32 v7, v8, v5
	v_lshlrev_b32_e32 v8, 2, v9
	v_xor_b32_e32 v9, 1, v1
	v_cmp_lt_i32_e32 vcc, v9, v3
	s_waitcnt lgkmcnt(1)
	v_add_f32_e32 v4, v4, v6
	s_waitcnt lgkmcnt(0)
	v_add_f32_e32 v5, v5, v7
	ds_bpermute_b32 v6, v8, v4
	ds_bpermute_b32 v7, v8, v5
	v_cndmask_b32_e32 v1, v1, v9, vcc
	v_lshlrev_b32_e32 v8, 2, v1
	s_waitcnt lgkmcnt(1)
	v_add_f32_e32 v1, v4, v6
	s_waitcnt lgkmcnt(0)
	v_add_f32_e32 v4, v5, v7
	ds_bpermute_b32 v3, v8, v1
	ds_bpermute_b32 v5, v8, v4
	v_or_b32_e32 v6, s9, v0
	v_cmp_gt_u32_e32 vcc, s0, v6
	v_cmp_gt_u32_e64 s[0:1], 2, v0
	s_and_b64 s[0:1], s[0:1], vcc
	s_and_b64 exec, exec, s[0:1]
	s_cbranch_execz .LBB218_16
; %bb.15:
	s_load_dwordx2 s[0:1], s[4:5], 0x38
	s_mul_i32 s2, s2, s10
	s_add_i32 s2, s2, s9
	s_mul_i32 s4, s14, s8
	s_add_i32 s2, s2, s4
	s_lshl_b64 s[2:3], s[2:3], 2
	s_waitcnt lgkmcnt(0)
	s_add_u32 s0, s0, s2
	v_add_f32_e32 v4, v4, v5
	v_add_f32_e32 v1, v1, v3
	v_cmp_eq_u32_e32 vcc, 1, v0
	s_addc_u32 s1, s1, s3
	v_cndmask_b32_e32 v0, v1, v4, vcc
	global_store_dword v2, v0, s[0:1]
.LBB218_16:
	s_endpgm
	.section	.rodata,"a",@progbits
	.p2align	6, 0x0
	.amdhsa_kernel _ZL13mul_mat_vec_qIL9ggml_type29ELi1ELb0ELb1EEvPKvS2_PKi31ggml_cuda_mm_fusion_args_devicePfj15HIP_vector_typeIjLj3EEjjjS8_jjjS8_jjjj
		.amdhsa_group_segment_fixed_size 512
		.amdhsa_private_segment_fixed_size 0
		.amdhsa_kernarg_size 144
		.amdhsa_user_sgpr_count 6
		.amdhsa_user_sgpr_private_segment_buffer 1
		.amdhsa_user_sgpr_dispatch_ptr 0
		.amdhsa_user_sgpr_queue_ptr 0
		.amdhsa_user_sgpr_kernarg_segment_ptr 1
		.amdhsa_user_sgpr_dispatch_id 0
		.amdhsa_user_sgpr_flat_scratch_init 0
		.amdhsa_user_sgpr_private_segment_size 0
		.amdhsa_uses_dynamic_stack 0
		.amdhsa_system_sgpr_private_segment_wavefront_offset 0
		.amdhsa_system_sgpr_workgroup_id_x 1
		.amdhsa_system_sgpr_workgroup_id_y 1
		.amdhsa_system_sgpr_workgroup_id_z 1
		.amdhsa_system_sgpr_workgroup_info 0
		.amdhsa_system_vgpr_workitem_id 1
		.amdhsa_next_free_vgpr 40
		.amdhsa_next_free_sgpr 28
		.amdhsa_reserve_vcc 1
		.amdhsa_reserve_flat_scratch 0
		.amdhsa_float_round_mode_32 0
		.amdhsa_float_round_mode_16_64 0
		.amdhsa_float_denorm_mode_32 3
		.amdhsa_float_denorm_mode_16_64 3
		.amdhsa_dx10_clamp 1
		.amdhsa_ieee_mode 1
		.amdhsa_fp16_overflow 0
		.amdhsa_exception_fp_ieee_invalid_op 0
		.amdhsa_exception_fp_denorm_src 0
		.amdhsa_exception_fp_ieee_div_zero 0
		.amdhsa_exception_fp_ieee_overflow 0
		.amdhsa_exception_fp_ieee_underflow 0
		.amdhsa_exception_fp_ieee_inexact 0
		.amdhsa_exception_int_div_zero 0
	.end_amdhsa_kernel
	.section	.text._ZL13mul_mat_vec_qIL9ggml_type29ELi1ELb0ELb1EEvPKvS2_PKi31ggml_cuda_mm_fusion_args_devicePfj15HIP_vector_typeIjLj3EEjjjS8_jjjS8_jjjj,"axG",@progbits,_ZL13mul_mat_vec_qIL9ggml_type29ELi1ELb0ELb1EEvPKvS2_PKi31ggml_cuda_mm_fusion_args_devicePfj15HIP_vector_typeIjLj3EEjjjS8_jjjS8_jjjj,comdat
.Lfunc_end218:
	.size	_ZL13mul_mat_vec_qIL9ggml_type29ELi1ELb0ELb1EEvPKvS2_PKi31ggml_cuda_mm_fusion_args_devicePfj15HIP_vector_typeIjLj3EEjjjS8_jjjS8_jjjj, .Lfunc_end218-_ZL13mul_mat_vec_qIL9ggml_type29ELi1ELb0ELb1EEvPKvS2_PKi31ggml_cuda_mm_fusion_args_devicePfj15HIP_vector_typeIjLj3EEjjjS8_jjjS8_jjjj
                                        ; -- End function
	.set _ZL13mul_mat_vec_qIL9ggml_type29ELi1ELb0ELb1EEvPKvS2_PKi31ggml_cuda_mm_fusion_args_devicePfj15HIP_vector_typeIjLj3EEjjjS8_jjjS8_jjjj.num_vgpr, 40
	.set _ZL13mul_mat_vec_qIL9ggml_type29ELi1ELb0ELb1EEvPKvS2_PKi31ggml_cuda_mm_fusion_args_devicePfj15HIP_vector_typeIjLj3EEjjjS8_jjjS8_jjjj.num_agpr, 0
	.set _ZL13mul_mat_vec_qIL9ggml_type29ELi1ELb0ELb1EEvPKvS2_PKi31ggml_cuda_mm_fusion_args_devicePfj15HIP_vector_typeIjLj3EEjjjS8_jjjS8_jjjj.numbered_sgpr, 28
	.set _ZL13mul_mat_vec_qIL9ggml_type29ELi1ELb0ELb1EEvPKvS2_PKi31ggml_cuda_mm_fusion_args_devicePfj15HIP_vector_typeIjLj3EEjjjS8_jjjS8_jjjj.num_named_barrier, 0
	.set _ZL13mul_mat_vec_qIL9ggml_type29ELi1ELb0ELb1EEvPKvS2_PKi31ggml_cuda_mm_fusion_args_devicePfj15HIP_vector_typeIjLj3EEjjjS8_jjjS8_jjjj.private_seg_size, 0
	.set _ZL13mul_mat_vec_qIL9ggml_type29ELi1ELb0ELb1EEvPKvS2_PKi31ggml_cuda_mm_fusion_args_devicePfj15HIP_vector_typeIjLj3EEjjjS8_jjjS8_jjjj.uses_vcc, 1
	.set _ZL13mul_mat_vec_qIL9ggml_type29ELi1ELb0ELb1EEvPKvS2_PKi31ggml_cuda_mm_fusion_args_devicePfj15HIP_vector_typeIjLj3EEjjjS8_jjjS8_jjjj.uses_flat_scratch, 0
	.set _ZL13mul_mat_vec_qIL9ggml_type29ELi1ELb0ELb1EEvPKvS2_PKi31ggml_cuda_mm_fusion_args_devicePfj15HIP_vector_typeIjLj3EEjjjS8_jjjS8_jjjj.has_dyn_sized_stack, 0
	.set _ZL13mul_mat_vec_qIL9ggml_type29ELi1ELb0ELb1EEvPKvS2_PKi31ggml_cuda_mm_fusion_args_devicePfj15HIP_vector_typeIjLj3EEjjjS8_jjjS8_jjjj.has_recursion, 0
	.set _ZL13mul_mat_vec_qIL9ggml_type29ELi1ELb0ELb1EEvPKvS2_PKi31ggml_cuda_mm_fusion_args_devicePfj15HIP_vector_typeIjLj3EEjjjS8_jjjS8_jjjj.has_indirect_call, 0
	.section	.AMDGPU.csdata,"",@progbits
; Kernel info:
; codeLenInByte = 2396
; TotalNumSgprs: 32
; NumVgprs: 40
; ScratchSize: 0
; MemoryBound: 0
; FloatMode: 240
; IeeeMode: 1
; LDSByteSize: 512 bytes/workgroup (compile time only)
; SGPRBlocks: 3
; VGPRBlocks: 9
; NumSGPRsForWavesPerEU: 32
; NumVGPRsForWavesPerEU: 40
; Occupancy: 6
; WaveLimiterHint : 0
; COMPUTE_PGM_RSRC2:SCRATCH_EN: 0
; COMPUTE_PGM_RSRC2:USER_SGPR: 6
; COMPUTE_PGM_RSRC2:TRAP_HANDLER: 0
; COMPUTE_PGM_RSRC2:TGID_X_EN: 1
; COMPUTE_PGM_RSRC2:TGID_Y_EN: 1
; COMPUTE_PGM_RSRC2:TGID_Z_EN: 1
; COMPUTE_PGM_RSRC2:TIDIG_COMP_CNT: 1
	.section	.text._ZL13mul_mat_vec_qIL9ggml_type29ELi1ELb1ELb0EEvPKvS2_PKi31ggml_cuda_mm_fusion_args_devicePfj15HIP_vector_typeIjLj3EEjjjS8_jjjS8_jjjj,"axG",@progbits,_ZL13mul_mat_vec_qIL9ggml_type29ELi1ELb1ELb0EEvPKvS2_PKi31ggml_cuda_mm_fusion_args_devicePfj15HIP_vector_typeIjLj3EEjjjS8_jjjS8_jjjj,comdat
	.globl	_ZL13mul_mat_vec_qIL9ggml_type29ELi1ELb1ELb0EEvPKvS2_PKi31ggml_cuda_mm_fusion_args_devicePfj15HIP_vector_typeIjLj3EEjjjS8_jjjS8_jjjj ; -- Begin function _ZL13mul_mat_vec_qIL9ggml_type29ELi1ELb1ELb0EEvPKvS2_PKi31ggml_cuda_mm_fusion_args_devicePfj15HIP_vector_typeIjLj3EEjjjS8_jjjS8_jjjj
	.p2align	8
	.type	_ZL13mul_mat_vec_qIL9ggml_type29ELi1ELb1ELb0EEvPKvS2_PKi31ggml_cuda_mm_fusion_args_devicePfj15HIP_vector_typeIjLj3EEjjjS8_jjjS8_jjjj,@function
_ZL13mul_mat_vec_qIL9ggml_type29ELi1ELb1ELb0EEvPKvS2_PKi31ggml_cuda_mm_fusion_args_devicePfj15HIP_vector_typeIjLj3EEjjjS8_jjjS8_jjjj: ; @_ZL13mul_mat_vec_qIL9ggml_type29ELi1ELb1ELb0EEvPKvS2_PKi31ggml_cuda_mm_fusion_args_devicePfj15HIP_vector_typeIjLj3EEjjjS8_jjjS8_jjjj
; %bb.0:
	s_load_dwordx8 s[16:23], s[4:5], 0x0
	s_load_dwordx4 s[28:31], s[4:5], 0x20
	s_load_dwordx4 s[36:39], s[4:5], 0x40
	;; [unrolled: 1-line block ×3, first 2 shown]
	s_mov_b32 s34, s7
	s_waitcnt lgkmcnt(0)
	s_cmp_lg_u64 s[20:21], 0
	s_cselect_b64 s[0:1], -1, 0
	s_cmp_eq_u64 s[20:21], 0
	s_mov_b64 s[2:3], 0
	s_cbranch_scc1 .LBB219_5
; %bb.1:
	s_mov_b32 s35, 0
	s_lshl_b64 s[10:11], s[34:35], 2
	s_add_u32 s10, s20, s10
	s_addc_u32 s11, s21, s11
	s_load_dword s9, s[10:11], 0x0
	s_load_dword s33, s[4:5], 0x50
	s_load_dword s35, s[4:5], 0x78
	s_andn2_b64 vcc, exec, s[2:3]
	s_cbranch_vccnz .LBB219_3
.LBB219_2:
	s_load_dwordx2 s[2:3], s[4:5], 0x5c
	s_waitcnt lgkmcnt(0)
	s_mul_hi_u32 s2, s2, s34
	s_add_i32 s2, s34, s2
	s_lshr_b32 s9, s2, s3
.LBB219_3:
	s_andn2_b64 vcc, exec, s[0:1]
	s_cbranch_vccnz .LBB219_6
; %bb.4:
	s_mul_hi_u32 s0, s37, s34
	s_add_i32 s0, s34, s0
	s_lshr_b32 s0, s0, s38
	s_mul_i32 s0, s0, s39
	s_sub_i32 s37, s34, s0
	s_waitcnt lgkmcnt(0)
	s_mov_b32 s2, s9
	s_branch .LBB219_7
.LBB219_5:
                                        ; implicit-def: $sgpr9
	s_load_dword s33, s[4:5], 0x50
	s_load_dword s35, s[4:5], 0x78
	s_branch .LBB219_2
.LBB219_6:
	s_mov_b32 s2, s34
	s_mov_b32 s37, s34
.LBB219_7:
	s_load_dwordx4 s[24:27], s[4:5], 0x80
	s_cmp_lg_u64 s[22:23], 0
	v_or_b32_e32 v2, v0, v1
	s_cselect_b64 s[0:1], -1, 0
	v_cmp_eq_u32_e32 vcc, 0, v2
	s_mov_b32 s21, 0
	s_and_b64 s[38:39], s[0:1], vcc
	v_mov_b32_e32 v15, 0
	s_mul_i32 s10, s2, s14
	v_lshlrev_b32_e32 v14, 2, v0
	v_mov_b32_e32 v16, 0
	s_and_saveexec_b64 s[2:3], s[38:39]
	s_cbranch_execz .LBB219_9
; %bb.8:
	s_waitcnt lgkmcnt(0)
	s_mul_i32 s20, s26, s8
	s_lshl_b64 s[38:39], s[20:21], 2
	s_add_u32 s7, s22, s38
	s_mov_b32 s11, s21
	s_addc_u32 s22, s23, s39
	s_lshl_b64 s[20:21], s[10:11], 2
	s_add_u32 s11, s7, s20
	s_addc_u32 s22, s22, s21
	s_ashr_i32 s7, s6, 31
	s_lshl_b64 s[20:21], s[6:7], 2
	s_add_u32 s20, s11, s20
	s_addc_u32 s21, s22, s21
	global_load_dword v16, v14, s[20:21]
.LBB219_9:
	s_or_b64 exec, exec, s[2:3]
	s_cmp_lg_u64 s[28:29], 0
	s_cselect_b64 s[20:21], -1, 0
	s_cmp_lg_u64 s[30:31], 0
	s_cselect_b64 s[2:3], -1, 0
	s_and_b64 s[22:23], s[2:3], s[20:21]
	s_and_b64 s[38:39], s[22:23], vcc
	s_and_saveexec_b64 s[22:23], s[38:39]
	s_cbranch_execz .LBB219_11
; %bb.10:
	s_waitcnt lgkmcnt(0)
	s_mul_i32 s38, s26, s8
	s_mov_b32 s39, 0
	s_lshl_b64 s[40:41], s[38:39], 2
	s_add_u32 s7, s30, s40
	s_mov_b32 s11, s39
	s_addc_u32 s27, s31, s41
	s_lshl_b64 s[10:11], s[10:11], 2
	s_add_u32 s30, s7, s10
	s_addc_u32 s27, s27, s11
	s_ashr_i32 s7, s6, 31
	s_lshl_b64 s[10:11], s[6:7], 2
	s_add_u32 s10, s30, s10
	s_addc_u32 s11, s27, s11
	global_load_dword v15, v14, s[10:11]
.LBB219_11:
	s_or_b64 exec, exec, s[22:23]
	v_lshl_add_u32 v2, v1, 6, v0
	s_lshr_b32 s7, s36, 8
	v_lshrrev_b32_e32 v20, 3, v2
	v_cmp_gt_u32_e32 vcc, s7, v20
	v_mov_b32_e32 v18, 0
	v_cndmask_b32_e64 v19, 0, 1, s[20:21]
	v_mov_b32_e32 v17, 0
	s_and_saveexec_b64 s[22:23], vcc
	s_cbranch_execz .LBB219_17
; %bb.12:
	s_mul_hi_u32 s10, s15, s8
	s_add_i32 s10, s8, s10
	s_waitcnt lgkmcnt(0)
	s_lshr_b32 s10, s10, s35
	s_mul_i32 s33, s33, s6
	s_mul_i32 s10, s10, s24
	;; [unrolled: 1-line block ×4, first 2 shown]
	s_add_i32 s10, s10, s33
	s_add_i32 s9, s9, s10
	s_mul_hi_u32 s10, s11, 36
	s_mul_i32 s11, s11, 36
	v_lshrrev_b32_e32 v5, 3, v2
	v_mov_b32_e32 v2, s11
	v_mov_b32_e32 v3, s10
	s_movk_i32 s10, 0x120
	v_mad_u64_u32 v[2:3], s[10:11], v5, s10, v[2:3]
	s_mul_i32 s12, s25, s8
	v_and_b32_e32 v4, 7, v0
	v_mad_u64_u32 v[2:3], s[10:11], s12, 36, v[2:3]
	v_and_b32_e32 v6, 1, v0
	v_cmp_eq_u32_e32 vcc, 1, v6
	v_mad_u64_u32 v[2:3], s[10:11], v4, 36, v[2:3]
	v_cndmask_b32_e64 v22, 0, 6, vcc
	v_mov_b32_e32 v6, s19
	v_add_co_u32_e32 v2, vcc, s18, v2
	v_addc_co_u32_e32 v3, vcc, v6, v3, vcc
	v_bfe_u32 v5, v0, 1, 2
	v_add_co_u32_e32 v10, vcc, 32, v2
	v_mov_b32_e32 v18, 0
	v_lshlrev_b32_e32 v21, 1, v4
	v_addc_co_u32_e32 v11, vcc, 0, v3, vcc
	s_mov_b64 s[18:19], 0
	v_lshlrev_b32_e32 v23, 2, v4
	s_mov_b32 s15, 0x1010101
	s_movk_i32 s24, 0x700
	s_mov_b32 s25, 0x8000c
	s_movk_i32 s27, 0xf0
	v_lshlrev_b32_e32 v24, 1, v5
	v_mov_b32_e32 v25, 4
	v_mov_b32_e32 v26, 8
	v_cmp_ne_u32_e64 s[10:11], 1, v19
	v_mov_b32_e32 v17, 0
	s_branch .LBB219_14
.LBB219_13:                             ;   in Loop: Header=BB219_14 Depth=1
	s_waitcnt vmcnt(4)
	v_pk_lshrrev_b16 v12, s25, v12
	v_and_b32_sdwa v39, v12, s27 dst_sel:DWORD dst_unused:UNUSED_PAD src0_sel:WORD_1 src1_sel:DWORD
	v_or_b32_e32 v12, v39, v12
	s_waitcnt vmcnt(3)
	v_and_b32_e32 v39, 0xf0f0f0f, v38
	v_lshrrev_b32_e32 v38, 4, v38
	v_and_b32_e32 v38, 0xf0f0f0f, v38
	v_dot4_i32_i8 v7, v39, v7, 0
	v_dot4_i32_i8 v7, v38, v8, v7
	s_waitcnt vmcnt(2)
	v_and_b32_e32 v8, 0xf0f0f0f, v37
	v_lshrrev_b32_e32 v37, 4, v37
	v_and_b32_e32 v37, 0xf0f0f0f, v37
	v_dot4_i32_i8 v7, v8, v9, v7
	v_pk_lshrrev_b16 v13, 4, v13
	v_dot4_i32_i8 v2, v37, v2, v7
	s_waitcnt vmcnt(1)
	v_and_b32_e32 v7, 0xf0f0f0f, v36
	v_lshrrev_b32_e32 v8, 4, v36
	v_and_b32_e32 v13, 0xf0000f00, v13
	v_and_b32_e32 v8, 0xf0f0f0f, v8
	v_dot4_i32_i8 v3, v7, v3, 0
	v_or_b32_e32 v12, v12, v13
	v_dot4_i32_i8 v3, v8, v4, v3
	v_and_b32_sdwa v4, v27, v26 dst_sel:DWORD dst_unused:UNUSED_PAD src0_sel:BYTE_1 src1_sel:DWORD
	v_or_b32_sdwa v12, v12, v13 dst_sel:DWORD dst_unused:UNUSED_PAD src0_sel:DWORD src1_sel:WORD_1
	v_and_b32_e32 v7, 8, v27
	v_cvt_f32_ubyte0_e32 v4, v4
	v_mov_b32_e32 v8, 0xbf600000
	v_cvt_f32_f16_e32 v12, v12
	v_cvt_f32_ubyte0_e32 v7, v7
	v_fmac_f32_e32 v8, 0xbd000000, v4
	v_mov_b32_e32 v4, 0xbf600000
	v_bfe_u32 v13, v27, 4, 4
	v_fmac_f32_e32 v4, 0xbd000000, v7
	s_waitcnt vmcnt(0)
	v_and_b32_e32 v7, 0xf0f0f0f, v31
	v_lshrrev_b32_e32 v9, 4, v31
	v_and_b32_e32 v9, 0xf0f0f0f, v9
	v_dot4_i32_i8 v3, v7, v5, v3
	v_and_b32_e32 v7, 8, v13
	v_dot4_i32_i8 v3, v9, v28, v3
	v_and_b32_e32 v5, 8, v29
	v_cvt_f32_ubyte0_e32 v7, v7
	v_mov_b32_e32 v9, 0xbf600000
	v_mul_f32_e32 v6, v6, v12
	v_lshrrev_b32_sdwa v12, v22, v35 dst_sel:DWORD dst_unused:UNUSED_PAD src0_sel:DWORD src1_sel:WORD_0
	v_cvt_f32_ubyte0_e32 v5, v5
	v_fmac_f32_e32 v9, 0xbd000000, v7
	v_mov_b32_e32 v7, 0xbf600000
	v_cvt_f32_i32_e32 v3, v3
	v_lshlrev_b32_e32 v35, 1, v12
	v_lshrrev_b32_e32 v12, 2, v12
	v_fmac_f32_e32 v7, 0xbd000000, v5
	v_fma_f32 v5, v8, v32, 0
	v_cvt_f32_i32_e32 v2, v2
	v_fmac_f32_e32 v5, v7, v33
	v_and_b32_e32 v7, 14, v12
	v_fma_f32 v4, v4, v34, 0
	v_and_b32_e32 v8, 14, v35
	v_or_b32_e32 v7, 1, v7
	v_fmac_f32_e32 v4, v9, v30
	v_or_b32_e32 v8, 1, v8
	v_add_f32_e32 v3, v5, v3
	v_cvt_f32_ubyte0_e32 v5, v7
	v_add_f32_e32 v2, v4, v2
	v_cvt_f32_ubyte0_e32 v4, v8
	v_mul_f32_e32 v3, v3, v5
	v_add_u32_e32 v20, 16, v20
	v_fmac_f32_e32 v3, v2, v4
	v_add_co_u32_e32 v10, vcc, 0x1200, v10
	v_cmp_le_u32_e64 s[12:13], s7, v20
	v_fmac_f32_e32 v18, v6, v3
	s_or_b64 s[18:19], s[12:13], s[18:19]
	v_addc_co_u32_e32 v11, vcc, 0, v11, vcc
	s_andn2_b64 exec, exec, s[18:19]
	s_cbranch_execz .LBB219_16
.LBB219_14:                             ; =>This Inner Loop Header: Depth=1
	v_add_u32_e32 v39, s9, v20
	v_mad_i64_i32 v[29:30], s[12:13], v39, 56, s[16:17]
	s_getpc_b64 s[12:13]
	s_add_u32 s12, s12, _ZL13iq1s_grid_gpu@rel32@lo+4
	s_addc_u32 s13, s13, _ZL13iq1s_grid_gpu@rel32@hi+12
	v_add_co_u32_e32 v2, vcc, v29, v23
	v_addc_co_u32_e32 v3, vcc, 0, v30, vcc
	global_load_dword v33, v[2:3], off
	v_add_co_u32_e32 v2, vcc, v29, v21
	v_addc_co_u32_e32 v3, vcc, 0, v30, vcc
	global_load_ushort v27, v[2:3], off offset:32
	v_add_co_u32_e32 v31, vcc, v29, v24
	v_addc_co_u32_e32 v32, vcc, 0, v30, vcc
	global_load_dwordx4 v[6:9], v[10:11], off offset:-32
	global_load_dwordx4 v[2:5], v[10:11], off offset:-16
	global_load_dword v28, v[10:11], off
	global_load_ushort v35, v[31:32], off offset:48
	global_load_dwordx2 v[12:13], v[29:30], off offset:48
	s_and_b64 vcc, exec, s[10:11]
	s_waitcnt vmcnt(6)
	v_and_b32_e32 v30, 0xff, v33
	v_bfe_u32 v31, v33, 8, 8
	v_bfe_u32 v32, v33, 16, 8
	s_waitcnt vmcnt(5)
	v_lshlrev_b32_e32 v34, 8, v27
	v_lshlrev_b32_e32 v36, 4, v27
	v_lshrrev_b32_sdwa v29, v25, v27 dst_sel:DWORD dst_unused:UNUSED_PAD src0_sel:DWORD src1_sel:BYTE_1
	v_lshlrev_b32_sdwa v37, v26, v27 dst_sel:DWORD dst_unused:UNUSED_PAD src0_sel:DWORD src1_sel:BYTE_1
	v_and_or_b32 v30, v34, s24, v30
	v_and_or_b32 v31, v36, s24, v31
	v_alignbit_b32 v33, v29, v33, 24
	v_and_or_b32 v32, v37, s24, v32
	v_lshlrev_b32_e32 v30, 2, v30
	v_lshlrev_b32_e32 v34, 2, v31
	v_and_b32_e32 v31, 0x7ff, v33
	v_lshlrev_b32_e32 v32, 2, v32
	v_lshlrev_b32_e32 v33, 2, v31
	global_load_dword v38, v30, s[12:13]
	global_load_dword v37, v34, s[12:13]
	;; [unrolled: 1-line block ×4, first 2 shown]
	s_waitcnt vmcnt(8)
	v_dot4_i32_i8 v32, v9, s15, 0
	v_dot4_i32_i8 v30, v7, s15, 0
	s_waitcnt vmcnt(7)
	v_dot4_i32_i8 v40, v2, s15, v32
	v_dot4_i32_i8 v32, v3, s15, 0
	;; [unrolled: 1-line block ×5, first 2 shown]
	s_waitcnt vmcnt(6)
	v_dot4_i32_i8 v33, v28, s15, v33
	v_cvt_f32_i32_e32 v32, v32
	v_cvt_f32_i32_e32 v34, v30
	;; [unrolled: 1-line block ×4, first 2 shown]
	v_cvt_f32_f16_e32 v6, v6
	s_cbranch_vccnz .LBB219_13
; %bb.15:                               ;   in Loop: Header=BB219_14 Depth=1
	v_mad_i64_i32 v[39:40], s[30:31], v39, 56, s[28:29]
	v_mov_b32_e32 v50, 0xbf600000
	v_mov_b32_e32 v51, 0xbf600000
	v_add_co_u32_e32 v41, vcc, v39, v23
	v_addc_co_u32_e32 v42, vcc, 0, v40, vcc
	global_load_dword v45, v[41:42], off
	v_add_co_u32_e32 v41, vcc, v39, v21
	v_addc_co_u32_e32 v42, vcc, 0, v40, vcc
	global_load_ushort v46, v[41:42], off offset:32
	global_load_dwordx2 v[43:44], v[39:40], off offset:48
	v_add_co_u32_e32 v39, vcc, v39, v24
	v_addc_co_u32_e32 v40, vcc, 0, v40, vcc
	global_load_ushort v39, v[39:40], off offset:48
	s_waitcnt vmcnt(3)
	v_and_b32_e32 v40, 0xff, v45
	v_bfe_u32 v41, v45, 8, 8
	v_bfe_u32 v42, v45, 16, 8
	s_waitcnt vmcnt(2)
	v_lshlrev_b32_e32 v47, 8, v46
	v_lshlrev_b32_e32 v48, 4, v46
	v_lshlrev_b32_sdwa v49, v26, v46 dst_sel:DWORD dst_unused:UNUSED_PAD src0_sel:DWORD src1_sel:BYTE_1
	v_and_or_b32 v40, v47, s24, v40
	v_and_or_b32 v41, v48, s24, v41
	;; [unrolled: 1-line block ×3, first 2 shown]
	v_lshrrev_b32_sdwa v47, v25, v46 dst_sel:DWORD dst_unused:UNUSED_PAD src0_sel:DWORD src1_sel:BYTE_1
	v_lshlrev_b32_e32 v40, 2, v40
	v_lshlrev_b32_e32 v41, 2, v41
	;; [unrolled: 1-line block ×3, first 2 shown]
	v_alignbit_b32 v45, v47, v45, 24
	global_load_dword v40, v40, s[12:13]
	v_and_b32_e32 v45, 0x7ff, v45
	global_load_dword v41, v41, s[12:13]
	v_lshlrev_b32_e32 v45, 2, v45
	global_load_dword v42, v42, s[12:13]
	s_waitcnt vmcnt(4)
	v_pk_lshrrev_b16 v43, s25, v43
	global_load_dword v45, v45, s[12:13]
	v_pk_lshrrev_b16 v44, 4, v44
	v_and_b32_sdwa v52, v43, s27 dst_sel:DWORD dst_unused:UNUSED_PAD src0_sel:WORD_1 src1_sel:DWORD
	v_bfe_u32 v53, v46, 4, 4
	v_and_b32_sdwa v54, v46, v26 dst_sel:DWORD dst_unused:UNUSED_PAD src0_sel:BYTE_1 src1_sel:DWORD
	v_and_b32_e32 v46, 8, v46
	v_mov_b32_e32 v49, 0xbf600000
	v_and_b32_e32 v44, 0xf0000f00, v44
	v_or_b32_e32 v43, v52, v43
	v_cvt_f32_ubyte0_e32 v46, v46
	v_and_b32_e32 v47, 8, v47
	v_and_b32_e32 v53, 8, v53
	v_or_b32_e32 v43, v43, v44
	v_fmac_f32_e32 v49, 0xbd000000, v46
	v_cvt_f32_ubyte0_e32 v46, v47
	v_cvt_f32_ubyte0_e32 v47, v53
	v_mov_b32_e32 v48, 0xbf600000
	v_cvt_f32_ubyte0_e32 v54, v54
	v_or_b32_sdwa v43, v43, v44 dst_sel:DWORD dst_unused:UNUSED_PAD src0_sel:DWORD src1_sel:WORD_1
	v_fma_f32 v44, v49, v34, 0
	v_fmac_f32_e32 v50, 0xbd000000, v47
	v_fmac_f32_e32 v48, 0xbd000000, v54
	;; [unrolled: 1-line block ×3, first 2 shown]
	v_fma_f32 v48, v48, v32, 0
	v_fmac_f32_e32 v51, 0xbd000000, v46
	v_fmac_f32_e32 v48, v51, v33
	s_waitcnt vmcnt(4)
	v_lshrrev_b32_e32 v39, v22, v39
	v_lshlrev_b32_e32 v52, 1, v39
	v_lshrrev_b32_e32 v39, 2, v39
	v_and_b32_e32 v39, 14, v39
	v_cvt_f32_f16_e32 v43, v43
	v_and_b32_e32 v52, 14, v52
	v_or_b32_e32 v39, 1, v39
	v_or_b32_e32 v46, 1, v52
	v_cvt_f32_ubyte0_e32 v39, v39
	v_mul_f32_e32 v43, v6, v43
	s_waitcnt vmcnt(3)
	v_and_b32_e32 v47, 0xf0f0f0f, v40
	v_lshrrev_b32_e32 v40, 4, v40
	v_and_b32_e32 v40, 0xf0f0f0f, v40
	v_dot4_i32_i8 v47, v47, v7, 0
	s_waitcnt vmcnt(1)
	v_and_b32_e32 v50, 0xf0f0f0f, v42
	v_lshrrev_b32_e32 v42, 4, v42
	v_and_b32_e32 v42, 0xf0f0f0f, v42
	v_dot4_i32_i8 v50, v50, v3, 0
	v_and_b32_e32 v49, 0xf0f0f0f, v41
	v_lshrrev_b32_e32 v41, 4, v41
	s_waitcnt vmcnt(0)
	v_and_b32_e32 v51, 0xf0f0f0f, v45
	v_lshrrev_b32_e32 v45, 4, v45
	v_dot4_i32_i8 v40, v40, v8, v47
	v_dot4_i32_i8 v42, v42, v4, v50
	v_and_b32_e32 v41, 0xf0f0f0f, v41
	v_and_b32_e32 v45, 0xf0f0f0f, v45
	v_dot4_i32_i8 v40, v49, v9, v40
	v_dot4_i32_i8 v42, v51, v5, v42
	;; [unrolled: 1-line block ×4, first 2 shown]
	v_cvt_f32_i32_e32 v41, v41
	v_cvt_f32_i32_e32 v40, v40
	v_cvt_f32_ubyte0_e32 v42, v46
	v_add_f32_e32 v41, v48, v41
	v_add_f32_e32 v40, v44, v40
	v_mul_f32_e32 v39, v41, v39
	v_fmac_f32_e32 v39, v40, v42
	v_fmac_f32_e32 v17, v43, v39
	s_branch .LBB219_13
.LBB219_16:
	s_or_b64 exec, exec, s[18:19]
.LBB219_17:
	s_or_b64 exec, exec, s[22:23]
	s_load_dword s7, s[4:5], 0x30
	v_cmp_eq_u32_e64 s[10:11], 0, v1
	v_cmp_ne_u32_e32 vcc, 0, v1
	s_and_saveexec_b64 s[12:13], vcc
	s_cbranch_execz .LBB219_21
; %bb.18:
	s_and_b64 vcc, exec, s[20:21]
	s_cbranch_vccz .LBB219_20
; %bb.19:
	v_lshl_add_u32 v2, v1, 8, v14
	ds_write_b32 v2, v17
.LBB219_20:
	v_lshlrev_b32_e32 v1, 8, v1
	s_waitcnt lgkmcnt(0)
	s_movk_i32 s9, 0xff00
	v_add3_u32 v1, v1, v14, s9
	ds_write_b32 v1, v18
.LBB219_21:
	s_or_b64 exec, exec, s[12:13]
	s_waitcnt vmcnt(0) lgkmcnt(0)
	s_barrier
	s_and_saveexec_b64 s[12:13], s[10:11]
	s_cbranch_execz .LBB219_50
; %bb.22:
	ds_read_b32 v2, v14
	v_cmp_ne_u32_e64 s[10:11], 1, v19
	s_and_b64 vcc, exec, s[10:11]
	s_cbranch_vccnz .LBB219_24
; %bb.23:
	ds_read_b32 v1, v14 offset:256
	s_waitcnt lgkmcnt(0)
	v_add_f32_e32 v17, v17, v1
.LBB219_24:
	v_mbcnt_lo_u32_b32 v1, -1, 0
	v_mbcnt_hi_u32_b32 v3, -1, v1
	v_and_b32_e32 v1, 64, v3
	v_add_u32_e32 v4, 64, v1
	v_xor_b32_e32 v1, 32, v3
	v_cmp_lt_i32_e32 vcc, v1, v4
	v_cndmask_b32_e32 v1, v3, v1, vcc
	v_lshlrev_b32_e32 v1, 2, v1
	s_waitcnt lgkmcnt(0)
	v_add_f32_e32 v5, v18, v2
	ds_bpermute_b32 v6, v1, v5
	v_xor_b32_e32 v2, 16, v3
	v_cmp_lt_i32_e32 vcc, v2, v4
	v_cndmask_b32_e32 v2, v3, v2, vcc
	v_lshlrev_b32_e32 v2, 2, v2
	s_waitcnt lgkmcnt(0)
	v_add_f32_e32 v6, v5, v6
	ds_bpermute_b32 v7, v2, v6
	;; [unrolled: 7-line block ×6, first 2 shown]
	s_and_b64 vcc, exec, s[10:11]
	s_cbranch_vccnz .LBB219_26
; %bb.25:
	ds_bpermute_b32 v1, v1, v17
	s_waitcnt lgkmcnt(0)
	v_add_f32_e32 v1, v17, v1
	ds_bpermute_b32 v2, v2, v1
	s_waitcnt lgkmcnt(0)
	v_add_f32_e32 v1, v1, v2
	;; [unrolled: 3-line block ×6, first 2 shown]
.LBB219_26:
	v_cmp_eq_u32_e32 vcc, 0, v0
	s_and_b64 exec, exec, vcc
	s_cbranch_execz .LBB219_50
; %bb.27:
	s_waitcnt lgkmcnt(0)
	v_add_f32_e32 v0, v3, v4
	v_add_f32_e32 v1, v16, v0
	s_and_b64 vcc, exec, s[10:11]
	v_cndmask_b32_e64 v0, v0, v1, s[0:1]
	s_cbranch_vccnz .LBB219_49
; %bb.28:
	v_add_f32_e32 v1, v15, v17
	v_cndmask_b32_e64 v1, v17, v1, s[2:3]
	s_cmp_lt_i32 s7, 2
	s_mov_b64 s[0:1], 0
	s_cbranch_scc1 .LBB219_32
; %bb.29:
	s_cmp_gt_i32 s7, 2
	s_cbranch_scc0 .LBB219_33
; %bb.30:
	s_cmp_eq_u32 s7, 3
	s_cbranch_scc0 .LBB219_34
; %bb.31:
	v_max_f32_e32 v2, v1, v1
	v_min_f32_e32 v2, 0x40e00000, v2
	v_mul_f32_e32 v3, 0xbfd9db23, v2
	s_mov_b32 s2, 0x3fb8aa3b
	v_mul_f32_e32 v4, 0x3fb8aa3b, v3
	v_fma_f32 v5, v3, s2, -v4
	v_rndne_f32_e32 v6, v4
	v_fmac_f32_e32 v5, 0x32a5705f, v3
	v_sub_f32_e32 v4, v4, v6
	v_add_f32_e32 v4, v4, v5
	v_exp_f32_e32 v4, v4
	v_cvt_i32_f32_e32 v5, v6
	s_mov_b32 s2, 0xc2ce8ed0
	v_cmp_ngt_f32_e32 vcc, s2, v3
	s_mov_b32 s2, 0x42b17218
	v_ldexp_f32 v4, v4, v5
	v_cndmask_b32_e32 v4, 0, v4, vcc
	v_mov_b32_e32 v5, 0x7f800000
	v_cmp_nlt_f32_e32 vcc, s2, v3
	v_cndmask_b32_e32 v3, v5, v4, vcc
	v_add_f32_e32 v3, 1.0, v3
	v_div_scale_f32 v4, s[2:3], v3, v3, v2
	v_div_scale_f32 v5, vcc, v2, v3, v2
	s_mov_b64 s[2:3], 0
	v_rcp_f32_e32 v6, v4
	v_fma_f32 v7, -v4, v6, 1.0
	v_fmac_f32_e32 v6, v7, v6
	v_mul_f32_e32 v7, v5, v6
	v_fma_f32 v8, -v4, v7, v5
	v_fmac_f32_e32 v7, v8, v6
	v_fma_f32 v4, -v4, v7, v5
	v_div_fmas_f32 v4, v4, v6, v7
	v_max_f32_e32 v5, v0, v0
	v_min_f32_e32 v5, 0x40e00000, v5
	v_max_f32_e32 v5, 0xc0e00000, v5
	v_add_f32_e32 v5, 1.0, v5
	v_div_fixup_f32 v2, v4, v3, v2
	v_mul_f32_e32 v2, v5, v2
	s_branch .LBB219_35
.LBB219_32:
                                        ; implicit-def: $vgpr2
	s_mov_b64 s[2:3], 0
	s_cbranch_execnz .LBB219_39
	s_branch .LBB219_40
.LBB219_33:
	s_mov_b64 s[10:11], -1
	s_mov_b64 s[2:3], 0
                                        ; implicit-def: $vgpr2
	s_branch .LBB219_36
.LBB219_34:
	s_mov_b64 s[2:3], -1
                                        ; implicit-def: $vgpr2
.LBB219_35:
	s_mov_b64 s[10:11], 0
.LBB219_36:
	s_and_b64 vcc, exec, s[10:11]
	s_cbranch_vccz .LBB219_38
; %bb.37:
	v_mul_f32_e32 v2, 0xbfb8aa3b, v1
	s_mov_b32 s9, 0xbfb8aa3b
	v_rndne_f32_e32 v3, v2
	v_sub_f32_e32 v4, v2, v3
	v_fma_f32 v2, v1, s9, -v2
	v_fmac_f32_e32 v2, 0xb2a5705f, v1
	v_add_f32_e32 v2, v4, v2
	v_exp_f32_e32 v2, v2
	v_cvt_i32_f32_e32 v3, v3
	s_mov_b32 s9, 0x42ce8ed0
	v_cmp_nlt_f32_e32 vcc, s9, v1
	s_mov_b32 s9, 0xc2b17218
	v_ldexp_f32 v2, v2, v3
	v_cndmask_b32_e32 v2, 0, v2, vcc
	v_mov_b32_e32 v3, 0x7f800000
	v_cmp_ngt_f32_e32 vcc, s9, v1
	v_cndmask_b32_e32 v2, v3, v2, vcc
	v_add_f32_e32 v2, 1.0, v2
	v_div_scale_f32 v3, s[10:11], v2, v2, v1
	v_div_scale_f32 v4, vcc, v1, v2, v1
	v_rcp_f32_e32 v5, v3
	v_fma_f32 v6, -v3, v5, 1.0
	v_fmac_f32_e32 v5, v6, v5
	v_mul_f32_e32 v6, v4, v5
	v_fma_f32 v7, -v3, v6, v4
	v_fmac_f32_e32 v6, v7, v5
	v_fma_f32 v3, -v3, v6, v4
	v_div_fmas_f32 v3, v3, v5, v6
	v_div_fixup_f32 v2, v3, v2, v1
	v_mul_f32_e32 v2, v0, v2
.LBB219_38:
	s_branch .LBB219_40
.LBB219_39:
	s_cmp_lg_u32 s7, 1
	s_mov_b64 s[0:1], -1
	s_cselect_b64 s[2:3], -1, 0
.LBB219_40:
	s_andn2_b64 vcc, exec, s[2:3]
	s_cbranch_vccz .LBB219_42
; %bb.41:
	s_andn2_b64 vcc, exec, s[0:1]
	s_cbranch_vccz .LBB219_43
	s_branch .LBB219_48
.LBB219_42:
	v_mul_f32_e32 v2, v1, v0
	s_cbranch_execnz .LBB219_48
.LBB219_43:
	v_mul_f32_e32 v3, 0x3d372713, v1
	v_mul_f32_e32 v2, 0x3f4c422a, v1
	v_fma_f32 v3, v1, v3, 1.0
	v_mul_f32_e32 v2, v2, v3
	s_mov_b32 s0, 0x3f200000
	v_cmp_nlt_f32_e64 s[0:1], |v2|, s0
                                        ; implicit-def: $vgpr3
	s_and_saveexec_b64 s[2:3], s[0:1]
	s_xor_b64 s[0:1], exec, s[2:3]
	s_cbranch_execz .LBB219_45
; %bb.44:
	v_add_f32_e64 v3, |v2|, |v2|
	v_mul_f32_e32 v4, 0x3fb8aa3b, v3
	s_mov_b32 s2, 0x3fb8aa3b
	v_rndne_f32_e32 v5, v4
	v_sub_f32_e32 v6, v4, v5
	v_fma_f32 v4, v3, s2, -v4
	v_fmac_f32_e32 v4, 0x32a5705f, v3
	v_add_f32_e32 v4, v6, v4
	v_exp_f32_e32 v4, v4
	v_cvt_i32_f32_e32 v5, v5
	s_mov_b32 s2, 0xc2ce8ed0
	v_cmp_ngt_f32_e32 vcc, s2, v3
	s_mov_b32 s2, 0x42b17218
	v_ldexp_f32 v4, v4, v5
	v_cndmask_b32_e32 v4, 0, v4, vcc
	v_mov_b32_e32 v5, 0x7f800000
	v_cmp_nlt_f32_e32 vcc, s2, v3
	v_cndmask_b32_e32 v3, v5, v4, vcc
	v_add_f32_e32 v3, 1.0, v3
	v_rcp_f32_e32 v3, v3
	v_fma_f32 v3, v3, -2.0, 1.0
.LBB219_45:
	s_andn2_saveexec_b64 s[0:1], s[0:1]
	s_cbranch_execz .LBB219_47
; %bb.46:
	v_mul_f32_e32 v3, v2, v2
	v_mov_b32_e32 v4, 0x3ca908c9
	v_fmac_f32_e32 v4, 0xbbbac73d, v3
	v_mov_b32_e32 v5, 0xbd5c1c4e
	v_fmac_f32_e32 v5, v3, v4
	;; [unrolled: 2-line block ×4, first 2 shown]
	v_mul_f32_e64 v4, |v2|, v5
	v_fma_f32 v3, v3, v4, |v2|
.LBB219_47:
	s_or_b64 exec, exec, s[0:1]
	s_brev_b32 s0, -2
	v_bfi_b32 v2, s0, v3, v2
	v_mul_f32_e32 v1, 0.5, v1
	v_add_f32_e32 v2, 1.0, v2
	v_mul_f32_e32 v1, v1, v2
	v_mul_f32_e32 v2, v0, v1
.LBB219_48:
	v_mov_b32_e32 v0, v2
.LBB219_49:
	s_load_dwordx2 s[0:1], s[4:5], 0x38
	s_mul_i32 s3, s14, s34
	s_mul_i32 s2, s26, s8
	s_add_i32 s3, s3, s6
	s_add_i32 s2, s3, s2
	s_mov_b32 s3, 0
	s_lshl_b64 s[2:3], s[2:3], 2
	s_waitcnt lgkmcnt(0)
	s_add_u32 s0, s0, s2
	s_addc_u32 s1, s1, s3
	global_store_dword v14, v0, s[0:1]
.LBB219_50:
	s_endpgm
	.section	.rodata,"a",@progbits
	.p2align	6, 0x0
	.amdhsa_kernel _ZL13mul_mat_vec_qIL9ggml_type29ELi1ELb1ELb0EEvPKvS2_PKi31ggml_cuda_mm_fusion_args_devicePfj15HIP_vector_typeIjLj3EEjjjS8_jjjS8_jjjj
		.amdhsa_group_segment_fixed_size 512
		.amdhsa_private_segment_fixed_size 0
		.amdhsa_kernarg_size 144
		.amdhsa_user_sgpr_count 6
		.amdhsa_user_sgpr_private_segment_buffer 1
		.amdhsa_user_sgpr_dispatch_ptr 0
		.amdhsa_user_sgpr_queue_ptr 0
		.amdhsa_user_sgpr_kernarg_segment_ptr 1
		.amdhsa_user_sgpr_dispatch_id 0
		.amdhsa_user_sgpr_flat_scratch_init 0
		.amdhsa_user_sgpr_private_segment_size 0
		.amdhsa_uses_dynamic_stack 0
		.amdhsa_system_sgpr_private_segment_wavefront_offset 0
		.amdhsa_system_sgpr_workgroup_id_x 1
		.amdhsa_system_sgpr_workgroup_id_y 1
		.amdhsa_system_sgpr_workgroup_id_z 1
		.amdhsa_system_sgpr_workgroup_info 0
		.amdhsa_system_vgpr_workitem_id 1
		.amdhsa_next_free_vgpr 55
		.amdhsa_next_free_sgpr 42
		.amdhsa_reserve_vcc 1
		.amdhsa_reserve_flat_scratch 0
		.amdhsa_float_round_mode_32 0
		.amdhsa_float_round_mode_16_64 0
		.amdhsa_float_denorm_mode_32 3
		.amdhsa_float_denorm_mode_16_64 3
		.amdhsa_dx10_clamp 1
		.amdhsa_ieee_mode 1
		.amdhsa_fp16_overflow 0
		.amdhsa_exception_fp_ieee_invalid_op 0
		.amdhsa_exception_fp_denorm_src 0
		.amdhsa_exception_fp_ieee_div_zero 0
		.amdhsa_exception_fp_ieee_overflow 0
		.amdhsa_exception_fp_ieee_underflow 0
		.amdhsa_exception_fp_ieee_inexact 0
		.amdhsa_exception_int_div_zero 0
	.end_amdhsa_kernel
	.section	.text._ZL13mul_mat_vec_qIL9ggml_type29ELi1ELb1ELb0EEvPKvS2_PKi31ggml_cuda_mm_fusion_args_devicePfj15HIP_vector_typeIjLj3EEjjjS8_jjjS8_jjjj,"axG",@progbits,_ZL13mul_mat_vec_qIL9ggml_type29ELi1ELb1ELb0EEvPKvS2_PKi31ggml_cuda_mm_fusion_args_devicePfj15HIP_vector_typeIjLj3EEjjjS8_jjjS8_jjjj,comdat
.Lfunc_end219:
	.size	_ZL13mul_mat_vec_qIL9ggml_type29ELi1ELb1ELb0EEvPKvS2_PKi31ggml_cuda_mm_fusion_args_devicePfj15HIP_vector_typeIjLj3EEjjjS8_jjjS8_jjjj, .Lfunc_end219-_ZL13mul_mat_vec_qIL9ggml_type29ELi1ELb1ELb0EEvPKvS2_PKi31ggml_cuda_mm_fusion_args_devicePfj15HIP_vector_typeIjLj3EEjjjS8_jjjS8_jjjj
                                        ; -- End function
	.set _ZL13mul_mat_vec_qIL9ggml_type29ELi1ELb1ELb0EEvPKvS2_PKi31ggml_cuda_mm_fusion_args_devicePfj15HIP_vector_typeIjLj3EEjjjS8_jjjS8_jjjj.num_vgpr, 55
	.set _ZL13mul_mat_vec_qIL9ggml_type29ELi1ELb1ELb0EEvPKvS2_PKi31ggml_cuda_mm_fusion_args_devicePfj15HIP_vector_typeIjLj3EEjjjS8_jjjS8_jjjj.num_agpr, 0
	.set _ZL13mul_mat_vec_qIL9ggml_type29ELi1ELb1ELb0EEvPKvS2_PKi31ggml_cuda_mm_fusion_args_devicePfj15HIP_vector_typeIjLj3EEjjjS8_jjjS8_jjjj.numbered_sgpr, 42
	.set _ZL13mul_mat_vec_qIL9ggml_type29ELi1ELb1ELb0EEvPKvS2_PKi31ggml_cuda_mm_fusion_args_devicePfj15HIP_vector_typeIjLj3EEjjjS8_jjjS8_jjjj.num_named_barrier, 0
	.set _ZL13mul_mat_vec_qIL9ggml_type29ELi1ELb1ELb0EEvPKvS2_PKi31ggml_cuda_mm_fusion_args_devicePfj15HIP_vector_typeIjLj3EEjjjS8_jjjS8_jjjj.private_seg_size, 0
	.set _ZL13mul_mat_vec_qIL9ggml_type29ELi1ELb1ELb0EEvPKvS2_PKi31ggml_cuda_mm_fusion_args_devicePfj15HIP_vector_typeIjLj3EEjjjS8_jjjS8_jjjj.uses_vcc, 1
	.set _ZL13mul_mat_vec_qIL9ggml_type29ELi1ELb1ELb0EEvPKvS2_PKi31ggml_cuda_mm_fusion_args_devicePfj15HIP_vector_typeIjLj3EEjjjS8_jjjS8_jjjj.uses_flat_scratch, 0
	.set _ZL13mul_mat_vec_qIL9ggml_type29ELi1ELb1ELb0EEvPKvS2_PKi31ggml_cuda_mm_fusion_args_devicePfj15HIP_vector_typeIjLj3EEjjjS8_jjjS8_jjjj.has_dyn_sized_stack, 0
	.set _ZL13mul_mat_vec_qIL9ggml_type29ELi1ELb1ELb0EEvPKvS2_PKi31ggml_cuda_mm_fusion_args_devicePfj15HIP_vector_typeIjLj3EEjjjS8_jjjS8_jjjj.has_recursion, 0
	.set _ZL13mul_mat_vec_qIL9ggml_type29ELi1ELb1ELb0EEvPKvS2_PKi31ggml_cuda_mm_fusion_args_devicePfj15HIP_vector_typeIjLj3EEjjjS8_jjjS8_jjjj.has_indirect_call, 0
	.section	.AMDGPU.csdata,"",@progbits
; Kernel info:
; codeLenInByte = 3512
; TotalNumSgprs: 46
; NumVgprs: 55
; ScratchSize: 0
; MemoryBound: 0
; FloatMode: 240
; IeeeMode: 1
; LDSByteSize: 512 bytes/workgroup (compile time only)
; SGPRBlocks: 5
; VGPRBlocks: 13
; NumSGPRsForWavesPerEU: 46
; NumVGPRsForWavesPerEU: 55
; Occupancy: 4
; WaveLimiterHint : 0
; COMPUTE_PGM_RSRC2:SCRATCH_EN: 0
; COMPUTE_PGM_RSRC2:USER_SGPR: 6
; COMPUTE_PGM_RSRC2:TRAP_HANDLER: 0
; COMPUTE_PGM_RSRC2:TGID_X_EN: 1
; COMPUTE_PGM_RSRC2:TGID_Y_EN: 1
; COMPUTE_PGM_RSRC2:TGID_Z_EN: 1
; COMPUTE_PGM_RSRC2:TIDIG_COMP_CNT: 1
	.section	.text._ZL13mul_mat_vec_qIL9ggml_type29ELi1ELb0ELb0EEvPKvS2_PKi31ggml_cuda_mm_fusion_args_devicePfj15HIP_vector_typeIjLj3EEjjjS8_jjjS8_jjjj,"axG",@progbits,_ZL13mul_mat_vec_qIL9ggml_type29ELi1ELb0ELb0EEvPKvS2_PKi31ggml_cuda_mm_fusion_args_devicePfj15HIP_vector_typeIjLj3EEjjjS8_jjjS8_jjjj,comdat
	.globl	_ZL13mul_mat_vec_qIL9ggml_type29ELi1ELb0ELb0EEvPKvS2_PKi31ggml_cuda_mm_fusion_args_devicePfj15HIP_vector_typeIjLj3EEjjjS8_jjjS8_jjjj ; -- Begin function _ZL13mul_mat_vec_qIL9ggml_type29ELi1ELb0ELb0EEvPKvS2_PKi31ggml_cuda_mm_fusion_args_devicePfj15HIP_vector_typeIjLj3EEjjjS8_jjjS8_jjjj
	.p2align	8
	.type	_ZL13mul_mat_vec_qIL9ggml_type29ELi1ELb0ELb0EEvPKvS2_PKi31ggml_cuda_mm_fusion_args_devicePfj15HIP_vector_typeIjLj3EEjjjS8_jjjS8_jjjj,@function
_ZL13mul_mat_vec_qIL9ggml_type29ELi1ELb0ELb0EEvPKvS2_PKi31ggml_cuda_mm_fusion_args_devicePfj15HIP_vector_typeIjLj3EEjjjS8_jjjS8_jjjj: ; @_ZL13mul_mat_vec_qIL9ggml_type29ELi1ELb0ELb0EEvPKvS2_PKi31ggml_cuda_mm_fusion_args_devicePfj15HIP_vector_typeIjLj3EEjjjS8_jjjS8_jjjj
; %bb.0:
	s_load_dwordx2 s[0:1], s[4:5], 0x10
	s_load_dwordx4 s[16:19], s[4:5], 0x40
	s_mov_b32 s10, s7
	s_mov_b64 s[14:15], 0
	s_waitcnt lgkmcnt(0)
	s_cmp_lg_u64 s[0:1], 0
	s_cselect_b64 s[12:13], -1, 0
	s_cmp_eq_u64 s[0:1], 0
	s_cbranch_scc1 .LBB220_5
; %bb.1:
	s_mov_b32 s11, 0
	s_lshl_b64 s[2:3], s[10:11], 2
	s_add_u32 s0, s0, s2
	s_addc_u32 s1, s1, s3
	s_load_dword s9, s[0:1], 0x0
	s_nop 0
	s_load_dwordx4 s[0:3], s[4:5], 0x68
	s_load_dword s11, s[4:5], 0x50
	s_andn2_b64 vcc, exec, s[14:15]
	s_cbranch_vccnz .LBB220_3
.LBB220_2:
	s_load_dwordx2 s[14:15], s[4:5], 0x5c
	s_waitcnt lgkmcnt(0)
	s_mul_hi_u32 s7, s14, s10
	s_add_i32 s7, s10, s7
	s_lshr_b32 s9, s7, s15
.LBB220_3:
	s_load_dword s22, s[4:5], 0x78
	s_andn2_b64 vcc, exec, s[12:13]
	s_cbranch_vccnz .LBB220_6
; %bb.4:
	s_mul_hi_u32 s7, s17, s10
	s_add_i32 s7, s10, s7
	s_lshr_b32 s7, s7, s18
	s_mul_i32 s7, s7, s19
	s_sub_i32 s23, s10, s7
	s_branch .LBB220_7
.LBB220_5:
                                        ; implicit-def: $sgpr9
	s_load_dwordx4 s[0:3], s[4:5], 0x68
	s_load_dword s11, s[4:5], 0x50
	s_branch .LBB220_2
.LBB220_6:
	s_mov_b32 s23, s10
.LBB220_7:
	s_load_dwordx4 s[12:15], s[4:5], 0x80
	v_lshl_add_u32 v2, v1, 6, v0
	s_lshr_b32 s7, s16, 8
	v_lshrrev_b32_e32 v5, 3, v2
	v_cmp_gt_u32_e32 vcc, s7, v5
	v_mov_b32_e32 v4, 0
	s_and_saveexec_b64 s[20:21], vcc
	s_cbranch_execz .LBB220_11
; %bb.8:
	s_waitcnt lgkmcnt(0)
	s_mul_hi_u32 s3, s3, s8
	s_add_i32 s3, s8, s3
	s_lshr_b32 s3, s3, s22
	s_mul_i32 s11, s11, s6
	s_mul_i32 s3, s3, s12
	;; [unrolled: 1-line block ×4, first 2 shown]
	s_add_i32 s3, s3, s11
	s_add_i32 s3, s0, s3
	s_mul_hi_u32 s0, s1, 36
	s_mul_i32 s1, s1, 36
	v_lshrrev_b32_e32 v4, 3, v2
	v_mov_b32_e32 v2, s1
	v_mov_b32_e32 v3, s0
	s_movk_i32 s0, 0x120
	v_mad_u64_u32 v[2:3], s[0:1], v4, s0, v[2:3]
	s_mul_i32 s9, s13, s8
	s_load_dwordx4 s[16:19], s[4:5], 0x0
	v_mad_u64_u32 v[2:3], s[0:1], s9, 36, v[2:3]
	v_and_b32_e32 v8, 7, v0
	v_and_b32_e32 v7, 1, v0
	v_mad_u64_u32 v[2:3], s[0:1], v8, 36, v[2:3]
	v_cmp_eq_u32_e32 vcc, 1, v7
	v_cndmask_b32_e64 v7, 0, 6, vcc
	s_waitcnt lgkmcnt(0)
	v_mov_b32_e32 v10, s19
	v_add_co_u32_e32 v2, vcc, s18, v2
	v_addc_co_u32_e32 v3, vcc, v10, v3, vcc
	v_bfe_u32 v9, v0, 1, 2
	v_add_co_u32_e32 v2, vcc, 32, v2
	v_mov_b32_e32 v4, 0
	v_lshlrev_b32_e32 v6, 1, v8
	v_addc_co_u32_e32 v3, vcc, 0, v3, vcc
	s_mov_b64 s[12:13], 0
	v_lshlrev_b32_e32 v8, 2, v8
	s_mov_b32 s9, 0x1010101
	s_mov_b32 s11, 0x8000c
	s_movk_i32 s15, 0xf0
	v_lshlrev_b32_e32 v9, 1, v9
	s_movk_i32 s18, 0x700
	v_mov_b32_e32 v10, 4
	v_mov_b32_e32 v11, 8
.LBB220_9:                              ; =>This Inner Loop Header: Depth=1
	v_add_u32_e32 v20, s3, v5
	v_mad_i64_i32 v[20:21], s[22:23], v20, 56, s[16:17]
	global_load_dwordx4 v[12:15], v[2:3], off offset:-32
	global_load_dwordx4 v[16:19], v[2:3], off offset:-16
	s_getpc_b64 s[0:1]
	s_add_u32 s0, s0, _ZL13iq1s_grid_gpu@rel32@lo+4
	s_addc_u32 s1, s1, _ZL13iq1s_grid_gpu@rel32@hi+12
	v_add_co_u32_e32 v22, vcc, v20, v8
	v_addc_co_u32_e32 v23, vcc, 0, v21, vcc
	v_add_co_u32_e32 v24, vcc, v20, v6
	v_addc_co_u32_e32 v25, vcc, 0, v21, vcc
	;; [unrolled: 2-line block ×3, first 2 shown]
	global_load_dword v28, v[22:23], off
	global_load_ushort v29, v[24:25], off offset:32
	global_load_ushort v30, v[26:27], off offset:48
                                        ; kill: killed $vgpr22 killed $vgpr23
                                        ; kill: killed $vgpr26 killed $vgpr27
                                        ; kill: killed $vgpr24 killed $vgpr25
	s_nop 0
	global_load_dwordx2 v[20:21], v[20:21], off offset:48
	v_add_u32_e32 v5, 16, v5
	s_waitcnt vmcnt(5)
	v_cvt_f32_f16_e32 v12, v12
	s_waitcnt vmcnt(3)
	v_and_b32_e32 v22, 0xff, v28
	s_waitcnt vmcnt(2)
	v_lshlrev_b32_e32 v24, 8, v29
	v_lshrrev_b32_sdwa v26, v10, v29 dst_sel:DWORD dst_unused:UNUSED_PAD src0_sel:DWORD src1_sel:BYTE_1
	v_and_or_b32 v22, v24, s18, v22
	v_alignbit_b32 v24, v26, v28, 24
	v_lshlrev_b32_e32 v22, 2, v22
	v_bfe_u32 v23, v28, 8, 8
	v_lshlrev_b32_e32 v25, 4, v29
	v_and_b32_e32 v24, 0x7ff, v24
	global_load_dword v22, v22, s[0:1]
	v_and_or_b32 v23, v25, s18, v23
	v_lshlrev_b32_e32 v24, 2, v24
	v_lshlrev_b32_e32 v23, 2, v23
	global_load_dword v25, v24, s[0:1]
	global_load_dword v27, v23, s[0:1]
	v_and_b32_e32 v24, 8, v26
	v_cvt_f32_ubyte0_e32 v24, v24
	v_dot4_i32_i8 v26, v19, s9, 0
	s_waitcnt vmcnt(3)
	v_pk_lshrrev_b16 v20, s11, v20
	v_pk_lshrrev_b16 v21, 4, v21
	v_and_b32_e32 v21, 0xf0000f00, v21
	s_waitcnt vmcnt(2)
	v_and_b32_e32 v23, 0xf0f0f0f, v22
	v_lshrrev_b32_e32 v22, 4, v22
	v_and_b32_e32 v22, 0xf0f0f0f, v22
	v_dot4_i32_i8 v23, v23, v13, 0
	v_dot4_i32_i8 v22, v22, v14, v23
	s_waitcnt vmcnt(0)
	v_and_b32_e32 v23, 0xf0f0f0f, v27
	v_dot4_i32_i8 v22, v23, v15, v22
	v_dot4_i32_i8 v13, v13, s9, 0
	v_and_b32_sdwa v23, v29, v11 dst_sel:DWORD dst_unused:UNUSED_PAD src0_sel:BYTE_1 src1_sel:DWORD
	v_dot4_i32_i8 v13, v14, s9, v13
	v_dot4_i32_i8 v14, v15, s9, 0
	v_mov_b32_e32 v15, 0xbf600000
	v_cvt_f32_ubyte0_e32 v23, v23
	v_fmac_f32_e32 v15, 0xbd000000, v23
	v_dot4_i32_i8 v23, v17, s9, 0
	v_dot4_i32_i8 v23, v18, s9, v23
	v_cvt_f32_i32_e32 v23, v23
	v_cvt_f32_i32_e32 v13, v13
	v_dot4_i32_i8 v14, v16, s9, v14
	v_cvt_f32_i32_e32 v14, v14
	v_fma_f32 v15, v15, v23, 0
	v_mov_b32_e32 v23, 0xbf600000
	v_fmac_f32_e32 v23, 0xbd000000, v24
	global_load_dword v24, v[2:3], off
	v_lshrrev_b32_e32 v27, 4, v27
	v_add_co_u32_e32 v2, vcc, 0x1200, v2
	v_addc_co_u32_e32 v3, vcc, 0, v3, vcc
	s_waitcnt vmcnt(0)
	v_dot4_i32_i8 v26, v24, s9, v26
	v_cvt_f32_i32_e32 v26, v26
	v_fmac_f32_e32 v15, v23, v26
	v_bfe_u32 v23, v28, 16, 8
	v_lshlrev_b32_sdwa v26, v11, v29 dst_sel:DWORD dst_unused:UNUSED_PAD src0_sel:DWORD src1_sel:BYTE_1
	v_and_or_b32 v23, v26, s18, v23
	v_lshlrev_b32_e32 v23, 2, v23
	global_load_dword v23, v23, s[0:1]
	v_and_b32_e32 v26, 8, v29
	v_cvt_f32_ubyte0_e32 v26, v26
	v_mov_b32_e32 v28, 0xbf600000
	v_fmac_f32_e32 v28, 0xbd000000, v26
	v_fma_f32 v13, v28, v13, 0
	v_bfe_u32 v28, v29, 4, 4
	v_and_b32_sdwa v26, v20, s15 dst_sel:DWORD dst_unused:UNUSED_PAD src0_sel:WORD_1 src1_sel:DWORD
	v_and_b32_e32 v28, 8, v28
	v_or_b32_e32 v20, v26, v20
	v_mov_b32_e32 v26, 0xbf600000
	v_cvt_f32_ubyte0_e32 v28, v28
	v_fmac_f32_e32 v26, 0xbd000000, v28
	v_fmac_f32_e32 v13, v26, v14
	v_or_b32_e32 v20, v20, v21
	v_or_b32_sdwa v14, v20, v21 dst_sel:DWORD dst_unused:UNUSED_PAD src0_sel:DWORD src1_sel:WORD_1
	v_lshrrev_b32_e32 v29, v7, v30
	v_cvt_f32_f16_e32 v14, v14
	v_lshlrev_b32_e32 v28, 1, v29
	v_lshrrev_b32_e32 v29, 2, v29
	v_and_b32_e32 v29, 14, v29
	v_and_b32_e32 v28, 14, v28
	v_or_b32_e32 v29, 1, v29
	v_or_b32_e32 v28, 1, v28
	v_cvt_f32_ubyte0_e32 v21, v29
	v_mul_f32_e32 v12, v12, v14
	v_cvt_f32_ubyte0_e32 v20, v28
	v_cmp_le_u32_e64 s[0:1], s7, v5
	s_or_b64 s[12:13], s[0:1], s[12:13]
	s_waitcnt vmcnt(0)
	v_and_b32_e32 v26, 0xf0f0f0f, v23
	v_lshrrev_b32_e32 v23, 4, v23
	v_and_b32_e32 v23, 0xf0f0f0f, v23
	v_dot4_i32_i8 v17, v26, v17, 0
	v_and_b32_e32 v26, 0xf0f0f0f, v25
	v_lshrrev_b32_e32 v25, 4, v25
	v_dot4_i32_i8 v17, v23, v18, v17
	v_and_b32_e32 v23, 0xf0f0f0f, v25
	v_dot4_i32_i8 v17, v26, v19, v17
	v_and_b32_e32 v18, 0xf0f0f0f, v27
	v_dot4_i32_i8 v17, v23, v24, v17
	v_dot4_i32_i8 v16, v18, v16, v22
	v_cvt_f32_i32_e32 v17, v17
	v_cvt_f32_i32_e32 v16, v16
	v_add_f32_e32 v14, v15, v17
	v_add_f32_e32 v13, v13, v16
	v_mul_f32_e32 v14, v14, v21
	v_fmac_f32_e32 v14, v13, v20
	v_fmac_f32_e32 v4, v12, v14
	s_andn2_b64 exec, exec, s[12:13]
	s_cbranch_execnz .LBB220_9
; %bb.10:
	s_or_b64 exec, exec, s[12:13]
.LBB220_11:
	s_or_b64 exec, exec, s[20:21]
	v_cmp_eq_u32_e32 vcc, 0, v1
	s_waitcnt lgkmcnt(0)
	v_cmp_ne_u32_e64 s[0:1], 0, v1
	v_lshlrev_b32_e32 v2, 2, v0
	s_and_saveexec_b64 s[12:13], s[0:1]
; %bb.12:
	v_lshlrev_b32_e32 v1, 8, v1
	s_movk_i32 s0, 0xff00
	v_add3_u32 v1, v1, v2, s0
	ds_write_b32 v1, v4
; %bb.13:
	s_or_b64 exec, exec, s[12:13]
	s_waitcnt lgkmcnt(0)
	s_barrier
	s_and_saveexec_b64 s[0:1], vcc
	s_cbranch_execz .LBB220_16
; %bb.14:
	ds_read_b32 v1, v2
	v_mbcnt_lo_u32_b32 v2, -1, 0
	v_mbcnt_hi_u32_b32 v2, -1, v2
	v_and_b32_e32 v3, 64, v2
	v_add_u32_e32 v3, 64, v3
	v_xor_b32_e32 v5, 32, v2
	v_cmp_lt_i32_e32 vcc, v5, v3
	v_cndmask_b32_e32 v5, v2, v5, vcc
	v_lshlrev_b32_e32 v5, 2, v5
	s_waitcnt lgkmcnt(0)
	v_add_f32_e32 v1, v4, v1
	ds_bpermute_b32 v4, v5, v1
	v_xor_b32_e32 v5, 16, v2
	v_cmp_lt_i32_e32 vcc, v5, v3
	v_cndmask_b32_e32 v5, v2, v5, vcc
	v_lshlrev_b32_e32 v5, 2, v5
	s_waitcnt lgkmcnt(0)
	v_add_f32_e32 v1, v1, v4
	ds_bpermute_b32 v4, v5, v1
	;; [unrolled: 7-line block ×6, first 2 shown]
	s_mov_b32 s1, 0
	v_cmp_eq_u32_e32 vcc, 0, v0
	s_and_b64 exec, exec, vcc
	s_cbranch_execz .LBB220_16
; %bb.15:
	s_load_dwordx2 s[4:5], s[4:5], 0x38
	s_mul_i32 s0, s2, s10
	s_add_i32 s0, s0, s6
	s_mul_i32 s2, s14, s8
	s_add_i32 s0, s0, s2
	s_lshl_b64 s[0:1], s[0:1], 2
	s_waitcnt lgkmcnt(0)
	s_add_u32 s0, s4, s0
	v_add_f32_e32 v0, v1, v2
	s_addc_u32 s1, s5, s1
	v_mov_b32_e32 v1, 0
	global_store_dword v1, v0, s[0:1]
.LBB220_16:
	s_endpgm
	.section	.rodata,"a",@progbits
	.p2align	6, 0x0
	.amdhsa_kernel _ZL13mul_mat_vec_qIL9ggml_type29ELi1ELb0ELb0EEvPKvS2_PKi31ggml_cuda_mm_fusion_args_devicePfj15HIP_vector_typeIjLj3EEjjjS8_jjjS8_jjjj
		.amdhsa_group_segment_fixed_size 256
		.amdhsa_private_segment_fixed_size 0
		.amdhsa_kernarg_size 144
		.amdhsa_user_sgpr_count 6
		.amdhsa_user_sgpr_private_segment_buffer 1
		.amdhsa_user_sgpr_dispatch_ptr 0
		.amdhsa_user_sgpr_queue_ptr 0
		.amdhsa_user_sgpr_kernarg_segment_ptr 1
		.amdhsa_user_sgpr_dispatch_id 0
		.amdhsa_user_sgpr_flat_scratch_init 0
		.amdhsa_user_sgpr_private_segment_size 0
		.amdhsa_uses_dynamic_stack 0
		.amdhsa_system_sgpr_private_segment_wavefront_offset 0
		.amdhsa_system_sgpr_workgroup_id_x 1
		.amdhsa_system_sgpr_workgroup_id_y 1
		.amdhsa_system_sgpr_workgroup_id_z 1
		.amdhsa_system_sgpr_workgroup_info 0
		.amdhsa_system_vgpr_workitem_id 1
		.amdhsa_next_free_vgpr 31
		.amdhsa_next_free_sgpr 24
		.amdhsa_reserve_vcc 1
		.amdhsa_reserve_flat_scratch 0
		.amdhsa_float_round_mode_32 0
		.amdhsa_float_round_mode_16_64 0
		.amdhsa_float_denorm_mode_32 3
		.amdhsa_float_denorm_mode_16_64 3
		.amdhsa_dx10_clamp 1
		.amdhsa_ieee_mode 1
		.amdhsa_fp16_overflow 0
		.amdhsa_exception_fp_ieee_invalid_op 0
		.amdhsa_exception_fp_denorm_src 0
		.amdhsa_exception_fp_ieee_div_zero 0
		.amdhsa_exception_fp_ieee_overflow 0
		.amdhsa_exception_fp_ieee_underflow 0
		.amdhsa_exception_fp_ieee_inexact 0
		.amdhsa_exception_int_div_zero 0
	.end_amdhsa_kernel
	.section	.text._ZL13mul_mat_vec_qIL9ggml_type29ELi1ELb0ELb0EEvPKvS2_PKi31ggml_cuda_mm_fusion_args_devicePfj15HIP_vector_typeIjLj3EEjjjS8_jjjS8_jjjj,"axG",@progbits,_ZL13mul_mat_vec_qIL9ggml_type29ELi1ELb0ELb0EEvPKvS2_PKi31ggml_cuda_mm_fusion_args_devicePfj15HIP_vector_typeIjLj3EEjjjS8_jjjS8_jjjj,comdat
.Lfunc_end220:
	.size	_ZL13mul_mat_vec_qIL9ggml_type29ELi1ELb0ELb0EEvPKvS2_PKi31ggml_cuda_mm_fusion_args_devicePfj15HIP_vector_typeIjLj3EEjjjS8_jjjS8_jjjj, .Lfunc_end220-_ZL13mul_mat_vec_qIL9ggml_type29ELi1ELb0ELb0EEvPKvS2_PKi31ggml_cuda_mm_fusion_args_devicePfj15HIP_vector_typeIjLj3EEjjjS8_jjjS8_jjjj
                                        ; -- End function
	.set _ZL13mul_mat_vec_qIL9ggml_type29ELi1ELb0ELb0EEvPKvS2_PKi31ggml_cuda_mm_fusion_args_devicePfj15HIP_vector_typeIjLj3EEjjjS8_jjjS8_jjjj.num_vgpr, 31
	.set _ZL13mul_mat_vec_qIL9ggml_type29ELi1ELb0ELb0EEvPKvS2_PKi31ggml_cuda_mm_fusion_args_devicePfj15HIP_vector_typeIjLj3EEjjjS8_jjjS8_jjjj.num_agpr, 0
	.set _ZL13mul_mat_vec_qIL9ggml_type29ELi1ELb0ELb0EEvPKvS2_PKi31ggml_cuda_mm_fusion_args_devicePfj15HIP_vector_typeIjLj3EEjjjS8_jjjS8_jjjj.numbered_sgpr, 24
	.set _ZL13mul_mat_vec_qIL9ggml_type29ELi1ELb0ELb0EEvPKvS2_PKi31ggml_cuda_mm_fusion_args_devicePfj15HIP_vector_typeIjLj3EEjjjS8_jjjS8_jjjj.num_named_barrier, 0
	.set _ZL13mul_mat_vec_qIL9ggml_type29ELi1ELb0ELb0EEvPKvS2_PKi31ggml_cuda_mm_fusion_args_devicePfj15HIP_vector_typeIjLj3EEjjjS8_jjjS8_jjjj.private_seg_size, 0
	.set _ZL13mul_mat_vec_qIL9ggml_type29ELi1ELb0ELb0EEvPKvS2_PKi31ggml_cuda_mm_fusion_args_devicePfj15HIP_vector_typeIjLj3EEjjjS8_jjjS8_jjjj.uses_vcc, 1
	.set _ZL13mul_mat_vec_qIL9ggml_type29ELi1ELb0ELb0EEvPKvS2_PKi31ggml_cuda_mm_fusion_args_devicePfj15HIP_vector_typeIjLj3EEjjjS8_jjjS8_jjjj.uses_flat_scratch, 0
	.set _ZL13mul_mat_vec_qIL9ggml_type29ELi1ELb0ELb0EEvPKvS2_PKi31ggml_cuda_mm_fusion_args_devicePfj15HIP_vector_typeIjLj3EEjjjS8_jjjS8_jjjj.has_dyn_sized_stack, 0
	.set _ZL13mul_mat_vec_qIL9ggml_type29ELi1ELb0ELb0EEvPKvS2_PKi31ggml_cuda_mm_fusion_args_devicePfj15HIP_vector_typeIjLj3EEjjjS8_jjjS8_jjjj.has_recursion, 0
	.set _ZL13mul_mat_vec_qIL9ggml_type29ELi1ELb0ELb0EEvPKvS2_PKi31ggml_cuda_mm_fusion_args_devicePfj15HIP_vector_typeIjLj3EEjjjS8_jjjS8_jjjj.has_indirect_call, 0
	.section	.AMDGPU.csdata,"",@progbits
; Kernel info:
; codeLenInByte = 1604
; TotalNumSgprs: 28
; NumVgprs: 31
; ScratchSize: 0
; MemoryBound: 0
; FloatMode: 240
; IeeeMode: 1
; LDSByteSize: 256 bytes/workgroup (compile time only)
; SGPRBlocks: 3
; VGPRBlocks: 7
; NumSGPRsForWavesPerEU: 28
; NumVGPRsForWavesPerEU: 31
; Occupancy: 8
; WaveLimiterHint : 0
; COMPUTE_PGM_RSRC2:SCRATCH_EN: 0
; COMPUTE_PGM_RSRC2:USER_SGPR: 6
; COMPUTE_PGM_RSRC2:TRAP_HANDLER: 0
; COMPUTE_PGM_RSRC2:TGID_X_EN: 1
; COMPUTE_PGM_RSRC2:TGID_Y_EN: 1
; COMPUTE_PGM_RSRC2:TGID_Z_EN: 1
; COMPUTE_PGM_RSRC2:TIDIG_COMP_CNT: 1
	.section	.text._ZL13mul_mat_vec_qIL9ggml_type29ELi2ELb0ELb0EEvPKvS2_PKi31ggml_cuda_mm_fusion_args_devicePfj15HIP_vector_typeIjLj3EEjjjS8_jjjS8_jjjj,"axG",@progbits,_ZL13mul_mat_vec_qIL9ggml_type29ELi2ELb0ELb0EEvPKvS2_PKi31ggml_cuda_mm_fusion_args_devicePfj15HIP_vector_typeIjLj3EEjjjS8_jjjS8_jjjj,comdat
	.globl	_ZL13mul_mat_vec_qIL9ggml_type29ELi2ELb0ELb0EEvPKvS2_PKi31ggml_cuda_mm_fusion_args_devicePfj15HIP_vector_typeIjLj3EEjjjS8_jjjS8_jjjj ; -- Begin function _ZL13mul_mat_vec_qIL9ggml_type29ELi2ELb0ELb0EEvPKvS2_PKi31ggml_cuda_mm_fusion_args_devicePfj15HIP_vector_typeIjLj3EEjjjS8_jjjS8_jjjj
	.p2align	8
	.type	_ZL13mul_mat_vec_qIL9ggml_type29ELi2ELb0ELb0EEvPKvS2_PKi31ggml_cuda_mm_fusion_args_devicePfj15HIP_vector_typeIjLj3EEjjjS8_jjjS8_jjjj,@function
_ZL13mul_mat_vec_qIL9ggml_type29ELi2ELb0ELb0EEvPKvS2_PKi31ggml_cuda_mm_fusion_args_devicePfj15HIP_vector_typeIjLj3EEjjjS8_jjjS8_jjjj: ; @_ZL13mul_mat_vec_qIL9ggml_type29ELi2ELb0ELb0EEvPKvS2_PKi31ggml_cuda_mm_fusion_args_devicePfj15HIP_vector_typeIjLj3EEjjjS8_jjjS8_jjjj
; %bb.0:
	s_load_dword s9, s[4:5], 0x40
	s_load_dwordx4 s[0:3], s[4:5], 0x50
	s_load_dword s25, s[4:5], 0x60
	s_load_dwordx4 s[12:15], s[4:5], 0x68
	;; [unrolled: 2-line block ×3, first 2 shown]
	v_lshl_add_u32 v2, v1, 6, v0
	s_waitcnt lgkmcnt(0)
	s_lshr_b32 s9, s9, 8
	v_lshrrev_b32_e32 v14, 3, v2
	s_lshl_b32 s6, s6, 1
	v_cmp_gt_u32_e32 vcc, s9, v14
	v_mov_b32_e32 v10, 0
	v_mov_b32_e32 v12, 0
	v_mov_b32_e32 v13, 0
	v_mov_b32_e32 v11, 0
	s_and_saveexec_b64 s[10:11], vcc
	s_cbranch_execz .LBB221_4
; %bb.1:
	s_mul_hi_u32 s3, s3, s7
	s_add_i32 s3, s7, s3
	s_load_dwordx4 s[20:23], s[4:5], 0x0
	s_lshr_b32 s3, s3, s25
	s_mul_i32 s3, s3, s12
	s_mul_hi_u32 s12, s15, s8
	s_add_i32 s12, s8, s12
	s_lshr_b32 s12, s12, s24
	s_mul_i32 s19, s17, s8
	s_mul_i32 s15, s12, s16
	;; [unrolled: 1-line block ×3, first 2 shown]
	s_mul_hi_u32 s12, s19, 36
	s_waitcnt lgkmcnt(0)
	s_add_u32 s16, s22, s16
	s_addc_u32 s17, s23, s12
	s_mul_i32 s12, s13, s7
	s_mul_hi_u32 s13, s12, 36
	s_mul_i32 s12, s12, 36
	v_and_b32_e32 v2, 1, v0
	s_add_u32 s16, s16, s12
	v_cmp_eq_u32_e32 vcc, 1, v2
	s_addc_u32 s17, s17, s13
	v_and_b32_e32 v4, 7, v0
	s_add_i32 s24, s15, s3
	v_cndmask_b32_e64 v2, 0, 6, vcc
	s_mov_b32 s3, 0x5040100
	v_mad_u64_u32 v[6:7], s[16:17], v4, 36, s[16:17]
	v_perm_b32 v16, v2, v2, s3
	v_mov_b32_e32 v2, s12
	s_movk_i32 s16, 0x120
	v_mov_b32_e32 v3, s13
	v_mad_u64_u32 v[2:3], s[12:13], v14, s16, v[2:3]
	v_mov_b32_e32 v8, s23
	s_add_i32 s16, s6, 1
	v_mad_u64_u32 v[2:3], s[12:13], s19, 36, v[2:3]
	v_bfe_u32 v5, v0, 1, 2
	s_mul_i32 s15, s6, s0
	v_mad_u64_u32 v[2:3], s[12:13], v4, 36, v[2:3]
	s_mul_i32 s0, s0, s16
	v_mov_b32_e32 v10, 0
	v_add_co_u32_e32 v2, vcc, s22, v2
	v_addc_co_u32_e32 v3, vcc, v8, v3, vcc
	v_add_co_u32_e32 v8, vcc, 32, v2
	v_lshlrev_b32_e32 v15, 1, v4
	s_add_i32 s15, s24, s15
	s_add_i32 s16, s24, s0
	v_lshl_add_u32 v17, v14, 3, s1
	v_addc_co_u32_e32 v9, vcc, 0, v3, vcc
	s_mov_b64 s[12:13], 0
	s_mov_b32 s17, 0x1010101
	v_lshlrev_b32_e32 v18, 2, v4
	s_movk_i32 s19, 0x700
	v_lshlrev_b32_e32 v19, 1, v5
	s_mov_b32 s22, 0x7060302
	s_mov_b32 s23, 0xf000f0
	v_mov_b32_e32 v20, 8
	v_mov_b32_e32 v21, 4
	;; [unrolled: 1-line block ×6, first 2 shown]
.LBB221_2:                              ; =>This Inner Loop Header: Depth=1
	v_add_u32_e32 v27, s15, v14
	v_mad_i64_i32 v[33:34], s[24:25], v27, 56, s[20:21]
	v_add_u32_e32 v28, s16, v14
	v_mad_i64_i32 v[35:36], s[24:25], v28, 56, s[20:21]
	v_add_co_u32_e32 v37, vcc, v33, v18
	v_addc_co_u32_e32 v38, vcc, 0, v34, vcc
	v_add_co_u32_e32 v39, vcc, v33, v15
	v_addc_co_u32_e32 v40, vcc, 0, v34, vcc
	;; [unrolled: 2-line block ×3, first 2 shown]
	v_add_co_u32_e32 v43, vcc, v35, v15
	v_mad_u64_u32 v[31:32], s[24:25], v17, 36, v[6:7]
	v_addc_co_u32_e32 v44, vcc, 0, v36, vcc
	v_add_co_u32_e32 v45, vcc, v35, v19
	v_addc_co_u32_e32 v46, vcc, 0, v36, vcc
	v_add_co_u32_e32 v47, vcc, v33, v19
	global_load_dwordx4 v[23:26], v[8:9], off offset:-32
	global_load_dwordx4 v[2:5], v[8:9], off offset:-16
	global_load_dwordx4 v[27:30], v[31:32], off
	v_addc_co_u32_e32 v48, vcc, 0, v34, vcc
	global_load_dword v58, v[37:38], off
	global_load_ushort v59, v[39:40], off offset:32
	global_load_ushort v60, v[47:48], off offset:48
	global_load_dwordx2 v[49:50], v[33:34], off offset:48
	global_load_dword v61, v[41:42], off
	global_load_ushort v62, v[43:44], off offset:32
	global_load_ushort v63, v[45:46], off offset:48
	global_load_dwordx2 v[51:52], v[35:36], off offset:48
	s_getpc_b64 s[0:1]
	s_add_u32 s0, s0, _ZL13iq1s_grid_gpu@rel32@lo+4
	s_addc_u32 s1, s1, _ZL13iq1s_grid_gpu@rel32@hi+12
	v_mov_b32_e32 v53, 0xbf600000
	v_mov_b32_e32 v54, 0xbf600000
	;; [unrolled: 1-line block ×5, first 2 shown]
	v_add_u32_e32 v14, 16, v14
	v_add_u32_e32 v17, 0x80, v17
	s_waitcnt vmcnt(7)
	v_bfe_u32 v37, v58, 8, 8
	s_waitcnt vmcnt(6)
	v_lshlrev_b32_e32 v36, 8, v59
	v_cvt_f32_f16_e32 v35, v23
	v_and_b32_e32 v23, 0xff, v58
	v_lshlrev_b32_e32 v38, 4, v59
	v_bfe_u32 v39, v58, 16, 8
	v_lshlrev_b32_sdwa v40, v20, v59 dst_sel:DWORD dst_unused:UNUSED_PAD src0_sel:DWORD src1_sel:BYTE_1
	v_lshrrev_b32_e32 v41, 24, v58
	v_lshlrev_b32_sdwa v42, v21, v59 dst_sel:DWORD dst_unused:UNUSED_PAD src0_sel:DWORD src1_sel:BYTE_1
	s_waitcnt vmcnt(3)
	v_and_b32_e32 v43, 0xff, v61
	s_waitcnt vmcnt(0)
	v_perm_b32 v44, v51, v49, s3
	v_perm_b32 v45, v51, v49, s22
	;; [unrolled: 1-line block ×4, first 2 shown]
	v_lshlrev_b32_e32 v48, 8, v62
	v_bfe_u32 v49, v61, 8, 8
	v_lshlrev_b32_e32 v50, 4, v62
	v_and_or_b32 v23, v36, s19, v23
	v_bfe_u32 v36, v61, 16, 8
	v_and_or_b32 v37, v38, s19, v37
	v_lshlrev_b32_sdwa v38, v20, v62 dst_sel:DWORD dst_unused:UNUSED_PAD src0_sel:DWORD src1_sel:BYTE_1
	v_lshrrev_b32_e32 v51, 24, v61
	v_and_or_b32 v39, v40, s19, v39
	v_lshlrev_b32_sdwa v40, v21, v62 dst_sel:DWORD dst_unused:UNUSED_PAD src0_sel:DWORD src1_sel:BYTE_1
	v_and_or_b32 v41, v42, s19, v41
	v_and_or_b32 v42, v48, s19, v43
	;; [unrolled: 1-line block ×5, first 2 shown]
	v_pk_lshrrev_b16 v40, 12, v44 op_sel_hi:[0,1]
	v_pk_lshrrev_b16 v44, 8, v45 op_sel_hi:[0,1]
	v_lshlrev_b32_e32 v23, 2, v23
	v_lshlrev_b32_e32 v37, 2, v37
	;; [unrolled: 1-line block ×8, first 2 shown]
	v_and_or_b32 v40, v44, s23, v40
	global_load_dword v44, v23, s[0:1]
	global_load_dword v45, v37, s[0:1]
	;; [unrolled: 1-line block ×8, first 2 shown]
	v_dot4_i32_i8 v34, v24, s17, 0
	v_pk_lshrrev_b16 v46, 4, v46 op_sel_hi:[0,1]
	v_and_b32_e32 v47, 0xf000f000, v47
	v_and_b32_e32 v46, 0xf000f00, v46
	v_dot4_i32_i8 v33, v26, s17, 0
	v_dot4_i32_i8 v34, v25, s17, v34
	v_or3_b32 v40, v40, v46, v47
	v_and_b32_e32 v47, 8, v62
	v_cvt_f32_ubyte0_e32 v47, v47
	v_fmac_f32_e32 v53, 0xbd000000, v47
	v_and_b32_e32 v47, 8, v59
	v_cvt_f32_ubyte0_e32 v47, v47
	v_dot4_i32_i8 v46, v28, s17, 0
	v_fmac_f32_e32 v54, 0xbd000000, v47
	v_bfe_u32 v47, v59, 4, 4
	v_dot4_i32_i8 v46, v29, s17, v46
	v_and_b32_e32 v47, 8, v47
	v_cvt_f32_i32_e32 v34, v34
	v_cvt_f32_ubyte0_e32 v47, v47
	v_cvt_f32_i32_e32 v46, v46
	v_fmac_f32_e32 v55, 0xbd000000, v47
	v_bfe_u32 v47, v62, 4, 4
	v_and_b32_e32 v47, 8, v47
	v_cvt_f32_ubyte0_e32 v47, v47
	v_fmac_f32_e32 v56, 0xbd000000, v47
	v_fma_f32 v47, v54, v34, 0
	v_fma_f32 v34, v53, v34, 0
	v_dot4_i32_i8 v33, v2, s17, v33
	v_cvt_f32_i32_e32 v33, v33
	v_lshrrev_b32_sdwa v61, v21, v62 dst_sel:DWORD dst_unused:UNUSED_PAD src0_sel:DWORD src1_sel:BYTE_1
	v_and_b32_e32 v61, 8, v61
	v_cvt_f32_ubyte0_e32 v61, v61
	v_fmac_f32_e32 v34, v56, v33
	v_fmac_f32_e32 v47, v55, v33
	v_dot4_i32_i8 v33, v30, s17, 0
	v_cvt_f32_f16_e32 v27, v27
	v_cmp_le_u32_e64 s[0:1], s9, v14
	s_or_b64 s[12:13], s[0:1], s[12:13]
	s_waitcnt vmcnt(7)
	v_and_b32_e32 v36, 0xf0f0f0f, v44
	v_lshrrev_b32_e32 v23, 4, v44
	s_waitcnt vmcnt(5)
	v_and_b32_e32 v38, 0xf0f0f0f, v48
	v_lshrrev_b32_e32 v39, 4, v48
	v_and_b32_e32 v42, 0xf0f0f0f, v23
	v_and_b32_e32 v39, 0xf0f0f0f, v39
	v_dot4_i32_i8 v23, v36, v24, 0
	v_dot4_i32_i8 v24, v38, v24, 0
	v_and_b32_e32 v37, 0xf0f0f0f, v45
	s_waitcnt vmcnt(4)
	v_and_b32_e32 v41, 0xf0f0f0f, v49
	v_dot4_i32_i8 v23, v42, v25, v23
	v_dot4_i32_i8 v24, v39, v25, v24
	;; [unrolled: 1-line block ×4, first 2 shown]
	global_load_dwordx4 v[23:26], v[31:32], off offset:16
	v_fma_f32 v48, v54, v46, 0
	v_fma_f32 v46, v53, v46, 0
	global_load_dword v53, v[8:9], off
	v_mov_b32_e32 v54, 0xbf600000
	global_load_dword v31, v[31:32], off offset:32
	v_dot4_i32_i8 v32, v3, s17, 0
	v_dot4_i32_i8 v32, v4, s17, v32
	v_cvt_f32_i32_e32 v32, v32
	v_dot4_i32_i8 v36, v36, v28, 0
	v_dot4_i32_i8 v36, v42, v29, v36
	;; [unrolled: 1-line block ×4, first 2 shown]
	s_waitcnt vmcnt(6)
	v_and_b32_e32 v29, 0xf0f0f0f, v50
	v_lshrrev_b32_e32 v38, 4, v50
	v_lshrrev_b32_e32 v39, 4, v49
	v_dot4_i32_i8 v36, v37, v30, v36
	s_waitcnt vmcnt(4)
	v_and_b32_e32 v37, 0xf0f0f0f, v52
	v_lshrrev_b32_e32 v49, 4, v52
	v_dot4_i32_i8 v28, v41, v30, v28
	v_and_b32_e32 v30, 0xf0f0f0f, v51
	v_lshrrev_b32_e32 v50, 4, v51
	s_waitcnt vmcnt(3)
	v_lshrrev_b32_e32 v51, 4, v58
	v_and_b32_e32 v38, 0xf0f0f0f, v38
	v_and_b32_e32 v49, 0xf0f0f0f, v49
	v_dot4_i32_i8 v52, v29, v3, 0
	v_dot4_i32_i8 v3, v37, v3, 0
	v_and_b32_e32 v41, 0xf0f0f0f, v58
	v_dot4_i32_i8 v3, v49, v4, v3
	v_lshrrev_b32_e32 v45, 4, v45
	v_dot4_i32_i8 v3, v41, v5, v3
	v_and_b32_e32 v45, 0xf0f0f0f, v45
	v_and_b32_e32 v39, 0xf0f0f0f, v39
	v_add_co_u32_e32 v8, vcc, 0x1200, v8
	v_addc_co_u32_e32 v9, vcc, 0, v9, vcc
	s_waitcnt vmcnt(2)
	v_dot4_i32_i8 v33, v23, s17, v33
	v_cvt_f32_i32_e32 v33, v33
	v_dot4_i32_i8 v29, v29, v24, 0
	v_fmac_f32_e32 v46, v56, v33
	v_perm_b32 v56, v63, v60, s3
	v_and_b32_sdwa v60, v59, v20 dst_sel:DWORD dst_unused:UNUSED_PAD src0_sel:BYTE_1 src1_sel:DWORD
	v_cvt_f32_ubyte0_e32 v60, v60
	v_fmac_f32_e32 v48, v55, v33
	v_mov_b32_e32 v33, 0xbf600000
	v_fmac_f32_e32 v57, 0xbd000000, v60
	v_and_b32_sdwa v60, v62, v20 dst_sel:DWORD dst_unused:UNUSED_PAD src0_sel:BYTE_1 src1_sel:DWORD
	v_cvt_f32_ubyte0_e32 v60, v60
	v_fmac_f32_e32 v33, 0xbd000000, v61
	v_dot4_i32_i8 v61, v24, s17, 0
	v_fmac_f32_e32 v54, 0xbd000000, v60
	v_dot4_i32_i8 v60, v5, s17, 0
	v_dot4_i32_i8 v61, v25, s17, v61
	s_waitcnt vmcnt(1)
	v_dot4_i32_i8 v60, v53, s17, v60
	v_cvt_f32_i32_e32 v61, v61
	v_cvt_f32_i32_e32 v60, v60
	v_lshrrev_b32_sdwa v59, v21, v59 dst_sel:DWORD dst_unused:UNUSED_PAD src0_sel:DWORD src1_sel:BYTE_1
	v_and_b32_e32 v59, 8, v59
	v_mov_b32_e32 v55, 0xbf600000
	v_cvt_f32_ubyte0_e32 v59, v59
	v_fmac_f32_e32 v55, 0xbd000000, v59
	v_fma_f32 v59, v54, v32, 0
	v_fma_f32 v32, v57, v32, 0
	;; [unrolled: 1-line block ×4, first 2 shown]
	v_dot4_i32_i8 v61, v26, s17, 0
	v_fmac_f32_e32 v32, v55, v60
	v_fmac_f32_e32 v59, v33, v60
	s_waitcnt vmcnt(0)
	v_dot4_i32_i8 v60, v31, s17, v61
	v_cvt_f32_i32_e32 v60, v60
	v_dot4_i32_i8 v24, v37, v24, 0
	v_and_b32_e32 v37, 0xf0f0f0f, v50
	v_and_b32_e32 v50, 0xf0f0f0f, v51
	v_dot4_i32_i8 v51, v38, v4, v52
	v_dot4_i32_i8 v4, v38, v25, v29
	;; [unrolled: 1-line block ×3, first 2 shown]
	v_fmac_f32_e32 v54, v33, v60
	v_cvt_f32_f16_e32 v33, v40
	v_cvt_f32_f16_sdwa v40, v40 dst_sel:DWORD dst_unused:UNUSED_PAD src0_sel:WORD_1
	v_dot4_i32_i8 v25, v30, v5, v51
	v_dot4_i32_i8 v4, v30, v26, v4
	;; [unrolled: 1-line block ×7, first 2 shown]
	v_pk_lshrrev_b16 v56, v16, v56
	v_dot4_i32_i8 v24, v45, v2, v43
	v_dot4_i32_i8 v2, v39, v2, v44
	v_dot4_i32_i8 v26, v45, v23, v36
	v_dot4_i32_i8 v23, v39, v23, v28
	v_cvt_f32_i32_e32 v3, v3
	v_cvt_f32_i32_e32 v5, v5
	;; [unrolled: 1-line block ×4, first 2 shown]
	v_fmac_f32_e32 v57, v55, v60
	v_lshrrev_b32_e32 v55, 18, v56
	v_bfe_u32 v42, v56, 2, 14
	v_cvt_f32_i32_e32 v2, v2
	v_cvt_f32_i32_e32 v23, v23
	;; [unrolled: 1-line block ×4, first 2 shown]
	v_mul_f32_e32 v60, v35, v33
	v_mul_f32_e32 v35, v35, v40
	;; [unrolled: 1-line block ×4, first 2 shown]
	v_lshlrev_b32_sdwa v40, v22, v56 dst_sel:DWORD dst_unused:UNUSED_PAD src0_sel:DWORD src1_sel:WORD_1
	v_lshlrev_b32_sdwa v56, v22, v56 dst_sel:DWORD dst_unused:UNUSED_PAD src0_sel:DWORD src1_sel:WORD_0
	v_and_b32_e32 v55, 14, v55
	v_and_b32_e32 v42, 14, v42
	;; [unrolled: 1-line block ×4, first 2 shown]
	v_or_b32_e32 v55, 1, v55
	v_or_b32_e32 v42, 1, v42
	;; [unrolled: 1-line block ×4, first 2 shown]
	v_cvt_f32_ubyte0_e32 v55, v55
	v_cvt_f32_ubyte0_e32 v42, v42
	v_add_f32_e32 v3, v59, v3
	v_add_f32_e32 v5, v54, v5
	;; [unrolled: 1-line block ×4, first 2 shown]
	v_cvt_f32_ubyte0_e32 v40, v40
	v_cvt_f32_ubyte0_e32 v56, v56
	v_add_f32_e32 v2, v34, v2
	v_add_f32_e32 v23, v46, v23
	;; [unrolled: 1-line block ×4, first 2 shown]
	v_mul_f32_e32 v3, v3, v55
	v_mul_f32_e32 v5, v5, v55
	;; [unrolled: 1-line block ×4, first 2 shown]
	v_fmac_f32_e32 v3, v2, v40
	v_fmac_f32_e32 v5, v23, v40
	;; [unrolled: 1-line block ×8, first 2 shown]
	s_andn2_b64 exec, exec, s[12:13]
	s_cbranch_execnz .LBB221_2
; %bb.3:
	s_or_b64 exec, exec, s[12:13]
.LBB221_4:
	s_or_b64 exec, exec, s[10:11]
	v_cmp_eq_u32_e32 vcc, 0, v1
	v_cmp_ne_u32_e64 s[0:1], 0, v1
	v_lshlrev_b32_e32 v2, 2, v0
	s_and_saveexec_b64 s[10:11], s[0:1]
	s_cbranch_execz .LBB221_6
; %bb.5:
	v_lshl_or_b32 v1, v1, 10, v2
	v_add_u32_e32 v1, 0xfffffc00, v1
	ds_write2st64_b32 v1, v13, v12 offset1:1
	ds_write2st64_b32 v1, v10, v11 offset0:2 offset1:3
.LBB221_6:
	s_or_b64 exec, exec, s[10:11]
	s_waitcnt lgkmcnt(0)
	s_barrier
	s_and_saveexec_b64 s[0:1], vcc
	s_cbranch_execz .LBB221_11
; %bb.7:
	v_mbcnt_lo_u32_b32 v1, -1, 0
	v_mbcnt_hi_u32_b32 v7, -1, v1
	ds_read2st64_b32 v[5:6], v2 offset1:1
	v_and_b32_e32 v1, 64, v7
	v_add_u32_e32 v8, 64, v1
	v_xor_b32_e32 v1, 32, v7
	v_cmp_lt_i32_e32 vcc, v1, v8
	v_cndmask_b32_e32 v1, v7, v1, vcc
	v_lshlrev_b32_e32 v1, 2, v1
	s_waitcnt lgkmcnt(0)
	v_add_f32_e32 v13, v5, v13
	v_add_f32_e32 v6, v6, v12
	ds_bpermute_b32 v14, v1, v13
	ds_bpermute_b32 v12, v1, v6
	v_xor_b32_e32 v3, 16, v7
	v_cmp_lt_i32_e32 vcc, v3, v8
	v_cndmask_b32_e32 v3, v7, v3, vcc
	v_lshlrev_b32_e32 v3, 2, v3
	s_waitcnt lgkmcnt(1)
	v_add_f32_e32 v13, v13, v14
	s_waitcnt lgkmcnt(0)
	v_add_f32_e32 v6, v6, v12
	ds_bpermute_b32 v14, v3, v13
	ds_bpermute_b32 v12, v3, v6
	v_xor_b32_e32 v4, 8, v7
	v_cmp_lt_i32_e32 vcc, v4, v8
	v_cndmask_b32_e32 v4, v7, v4, vcc
	v_lshlrev_b32_e32 v4, 2, v4
	s_waitcnt lgkmcnt(1)
	v_add_f32_e32 v13, v13, v14
	s_waitcnt lgkmcnt(0)
	v_add_f32_e32 v12, v6, v12
	ds_bpermute_b32 v14, v4, v13
	ds_bpermute_b32 v15, v4, v12
	v_xor_b32_e32 v9, 4, v7
	v_cmp_lt_i32_e32 vcc, v9, v8
	v_cndmask_b32_e32 v9, v7, v9, vcc
	v_lshlrev_b32_e32 v5, 2, v9
	s_waitcnt lgkmcnt(1)
	v_add_f32_e32 v13, v13, v14
	s_waitcnt lgkmcnt(0)
	v_add_f32_e32 v12, v12, v15
	ds_bpermute_b32 v14, v5, v13
	ds_bpermute_b32 v15, v5, v12
	v_xor_b32_e32 v9, 2, v7
	v_cmp_lt_i32_e32 vcc, v9, v8
	v_cndmask_b32_e32 v9, v7, v9, vcc
	v_lshlrev_b32_e32 v6, 2, v9
	v_xor_b32_e32 v9, 1, v7
	v_cmp_lt_i32_e32 vcc, v9, v8
	s_waitcnt lgkmcnt(1)
	v_add_f32_e32 v8, v13, v14
	s_waitcnt lgkmcnt(0)
	v_add_f32_e32 v12, v12, v15
	ds_bpermute_b32 v13, v6, v8
	ds_bpermute_b32 v14, v6, v12
	s_load_dwordx2 s[0:1], s[4:5], 0x38
	v_cndmask_b32_e32 v7, v7, v9, vcc
	s_mul_i32 s4, s14, s7
	v_lshlrev_b32_e32 v9, 2, v7
	s_waitcnt lgkmcnt(0)
	v_add_f32_e32 v7, v8, v13
	v_add_f32_e32 v12, v12, v14
	s_mul_i32 s3, s18, s8
	s_add_i32 s4, s4, s6
	ds_bpermute_b32 v8, v9, v7
	ds_bpermute_b32 v13, v9, v12
	s_add_i32 s4, s4, s3
	s_mov_b32 s5, 0
	s_lshl_b64 s[4:5], s[4:5], 2
	s_add_u32 s4, s0, s4
	v_add_u32_e32 v14, s6, v0
	s_addc_u32 s5, s1, s5
	v_cmp_gt_u32_e32 vcc, 2, v0
	v_cmp_gt_u32_e64 s[0:1], s2, v14
	s_and_b64 s[0:1], vcc, s[0:1]
	s_waitcnt lgkmcnt(1)
	v_add_f32_e32 v7, v7, v8
	s_waitcnt lgkmcnt(0)
	v_add_f32_e32 v8, v12, v13
	s_and_saveexec_b64 s[6:7], s[0:1]
	s_cbranch_execz .LBB221_9
; %bb.8:
	v_cmp_eq_u32_e32 vcc, 1, v0
	v_cndmask_b32_e32 v12, v7, v8, vcc
	v_cmp_eq_u32_e32 vcc, 2, v0
	v_cndmask_b32_e32 v12, v12, v10, vcc
	;; [unrolled: 2-line block ×3, first 2 shown]
	global_store_dword v2, v12, s[4:5]
.LBB221_9:
	s_or_b64 exec, exec, s[6:7]
	ds_read2st64_b32 v[12:13], v2 offset0:2 offset1:3
	s_waitcnt lgkmcnt(0)
	v_add_f32_e32 v2, v12, v10
	v_add_f32_e32 v10, v13, v11
	ds_bpermute_b32 v11, v1, v2
	ds_bpermute_b32 v1, v1, v10
	s_waitcnt lgkmcnt(1)
	v_add_f32_e32 v2, v2, v11
	s_waitcnt lgkmcnt(0)
	v_add_f32_e32 v1, v10, v1
	ds_bpermute_b32 v10, v3, v2
	ds_bpermute_b32 v3, v3, v1
	s_waitcnt lgkmcnt(1)
	v_add_f32_e32 v2, v2, v10
	s_waitcnt lgkmcnt(0)
	;; [unrolled: 6-line block ×5, first 2 shown]
	v_add_f32_e32 v2, v3, v4
	ds_bpermute_b32 v3, v9, v1
	ds_bpermute_b32 v4, v9, v2
	s_and_b64 exec, exec, s[0:1]
	s_cbranch_execz .LBB221_11
; %bb.10:
	s_waitcnt lgkmcnt(1)
	v_add_f32_e32 v1, v1, v3
	v_add_u32_e32 v3, 2, v0
	v_cmp_eq_u32_e32 vcc, 1, v3
	s_waitcnt lgkmcnt(0)
	v_add_f32_e32 v2, v2, v4
	v_cndmask_b32_e32 v4, v7, v8, vcc
	v_cmp_eq_u32_e32 vcc, 2, v3
	v_cndmask_b32_e32 v1, v4, v1, vcc
	v_cmp_eq_u32_e32 vcc, 3, v3
	v_cndmask_b32_e32 v2, v1, v2, vcc
	v_add_u32_e32 v0, s2, v0
	v_mov_b32_e32 v1, 0
	v_lshlrev_b64 v[0:1], 2, v[0:1]
	v_mov_b32_e32 v3, s5
	v_add_co_u32_e32 v0, vcc, s4, v0
	v_addc_co_u32_e32 v1, vcc, v3, v1, vcc
	global_store_dword v[0:1], v2, off
.LBB221_11:
	s_endpgm
	.section	.rodata,"a",@progbits
	.p2align	6, 0x0
	.amdhsa_kernel _ZL13mul_mat_vec_qIL9ggml_type29ELi2ELb0ELb0EEvPKvS2_PKi31ggml_cuda_mm_fusion_args_devicePfj15HIP_vector_typeIjLj3EEjjjS8_jjjS8_jjjj
		.amdhsa_group_segment_fixed_size 1024
		.amdhsa_private_segment_fixed_size 0
		.amdhsa_kernarg_size 144
		.amdhsa_user_sgpr_count 6
		.amdhsa_user_sgpr_private_segment_buffer 1
		.amdhsa_user_sgpr_dispatch_ptr 0
		.amdhsa_user_sgpr_queue_ptr 0
		.amdhsa_user_sgpr_kernarg_segment_ptr 1
		.amdhsa_user_sgpr_dispatch_id 0
		.amdhsa_user_sgpr_flat_scratch_init 0
		.amdhsa_user_sgpr_private_segment_size 0
		.amdhsa_uses_dynamic_stack 0
		.amdhsa_system_sgpr_private_segment_wavefront_offset 0
		.amdhsa_system_sgpr_workgroup_id_x 1
		.amdhsa_system_sgpr_workgroup_id_y 1
		.amdhsa_system_sgpr_workgroup_id_z 1
		.amdhsa_system_sgpr_workgroup_info 0
		.amdhsa_system_vgpr_workitem_id 1
		.amdhsa_next_free_vgpr 64
		.amdhsa_next_free_sgpr 26
		.amdhsa_reserve_vcc 1
		.amdhsa_reserve_flat_scratch 0
		.amdhsa_float_round_mode_32 0
		.amdhsa_float_round_mode_16_64 0
		.amdhsa_float_denorm_mode_32 3
		.amdhsa_float_denorm_mode_16_64 3
		.amdhsa_dx10_clamp 1
		.amdhsa_ieee_mode 1
		.amdhsa_fp16_overflow 0
		.amdhsa_exception_fp_ieee_invalid_op 0
		.amdhsa_exception_fp_denorm_src 0
		.amdhsa_exception_fp_ieee_div_zero 0
		.amdhsa_exception_fp_ieee_overflow 0
		.amdhsa_exception_fp_ieee_underflow 0
		.amdhsa_exception_fp_ieee_inexact 0
		.amdhsa_exception_int_div_zero 0
	.end_amdhsa_kernel
	.section	.text._ZL13mul_mat_vec_qIL9ggml_type29ELi2ELb0ELb0EEvPKvS2_PKi31ggml_cuda_mm_fusion_args_devicePfj15HIP_vector_typeIjLj3EEjjjS8_jjjS8_jjjj,"axG",@progbits,_ZL13mul_mat_vec_qIL9ggml_type29ELi2ELb0ELb0EEvPKvS2_PKi31ggml_cuda_mm_fusion_args_devicePfj15HIP_vector_typeIjLj3EEjjjS8_jjjS8_jjjj,comdat
.Lfunc_end221:
	.size	_ZL13mul_mat_vec_qIL9ggml_type29ELi2ELb0ELb0EEvPKvS2_PKi31ggml_cuda_mm_fusion_args_devicePfj15HIP_vector_typeIjLj3EEjjjS8_jjjS8_jjjj, .Lfunc_end221-_ZL13mul_mat_vec_qIL9ggml_type29ELi2ELb0ELb0EEvPKvS2_PKi31ggml_cuda_mm_fusion_args_devicePfj15HIP_vector_typeIjLj3EEjjjS8_jjjS8_jjjj
                                        ; -- End function
	.set _ZL13mul_mat_vec_qIL9ggml_type29ELi2ELb0ELb0EEvPKvS2_PKi31ggml_cuda_mm_fusion_args_devicePfj15HIP_vector_typeIjLj3EEjjjS8_jjjS8_jjjj.num_vgpr, 64
	.set _ZL13mul_mat_vec_qIL9ggml_type29ELi2ELb0ELb0EEvPKvS2_PKi31ggml_cuda_mm_fusion_args_devicePfj15HIP_vector_typeIjLj3EEjjjS8_jjjS8_jjjj.num_agpr, 0
	.set _ZL13mul_mat_vec_qIL9ggml_type29ELi2ELb0ELb0EEvPKvS2_PKi31ggml_cuda_mm_fusion_args_devicePfj15HIP_vector_typeIjLj3EEjjjS8_jjjS8_jjjj.numbered_sgpr, 26
	.set _ZL13mul_mat_vec_qIL9ggml_type29ELi2ELb0ELb0EEvPKvS2_PKi31ggml_cuda_mm_fusion_args_devicePfj15HIP_vector_typeIjLj3EEjjjS8_jjjS8_jjjj.num_named_barrier, 0
	.set _ZL13mul_mat_vec_qIL9ggml_type29ELi2ELb0ELb0EEvPKvS2_PKi31ggml_cuda_mm_fusion_args_devicePfj15HIP_vector_typeIjLj3EEjjjS8_jjjS8_jjjj.private_seg_size, 0
	.set _ZL13mul_mat_vec_qIL9ggml_type29ELi2ELb0ELb0EEvPKvS2_PKi31ggml_cuda_mm_fusion_args_devicePfj15HIP_vector_typeIjLj3EEjjjS8_jjjS8_jjjj.uses_vcc, 1
	.set _ZL13mul_mat_vec_qIL9ggml_type29ELi2ELb0ELb0EEvPKvS2_PKi31ggml_cuda_mm_fusion_args_devicePfj15HIP_vector_typeIjLj3EEjjjS8_jjjS8_jjjj.uses_flat_scratch, 0
	.set _ZL13mul_mat_vec_qIL9ggml_type29ELi2ELb0ELb0EEvPKvS2_PKi31ggml_cuda_mm_fusion_args_devicePfj15HIP_vector_typeIjLj3EEjjjS8_jjjS8_jjjj.has_dyn_sized_stack, 0
	.set _ZL13mul_mat_vec_qIL9ggml_type29ELi2ELb0ELb0EEvPKvS2_PKi31ggml_cuda_mm_fusion_args_devicePfj15HIP_vector_typeIjLj3EEjjjS8_jjjS8_jjjj.has_recursion, 0
	.set _ZL13mul_mat_vec_qIL9ggml_type29ELi2ELb0ELb0EEvPKvS2_PKi31ggml_cuda_mm_fusion_args_devicePfj15HIP_vector_typeIjLj3EEjjjS8_jjjS8_jjjj.has_indirect_call, 0
	.section	.AMDGPU.csdata,"",@progbits
; Kernel info:
; codeLenInByte = 3004
; TotalNumSgprs: 30
; NumVgprs: 64
; ScratchSize: 0
; MemoryBound: 0
; FloatMode: 240
; IeeeMode: 1
; LDSByteSize: 1024 bytes/workgroup (compile time only)
; SGPRBlocks: 3
; VGPRBlocks: 15
; NumSGPRsForWavesPerEU: 30
; NumVGPRsForWavesPerEU: 64
; Occupancy: 4
; WaveLimiterHint : 0
; COMPUTE_PGM_RSRC2:SCRATCH_EN: 0
; COMPUTE_PGM_RSRC2:USER_SGPR: 6
; COMPUTE_PGM_RSRC2:TRAP_HANDLER: 0
; COMPUTE_PGM_RSRC2:TGID_X_EN: 1
; COMPUTE_PGM_RSRC2:TGID_Y_EN: 1
; COMPUTE_PGM_RSRC2:TGID_Z_EN: 1
; COMPUTE_PGM_RSRC2:TIDIG_COMP_CNT: 1
	.section	.text._ZL13mul_mat_vec_qIL9ggml_type29ELi3ELb0ELb0EEvPKvS2_PKi31ggml_cuda_mm_fusion_args_devicePfj15HIP_vector_typeIjLj3EEjjjS8_jjjS8_jjjj,"axG",@progbits,_ZL13mul_mat_vec_qIL9ggml_type29ELi3ELb0ELb0EEvPKvS2_PKi31ggml_cuda_mm_fusion_args_devicePfj15HIP_vector_typeIjLj3EEjjjS8_jjjS8_jjjj,comdat
	.globl	_ZL13mul_mat_vec_qIL9ggml_type29ELi3ELb0ELb0EEvPKvS2_PKi31ggml_cuda_mm_fusion_args_devicePfj15HIP_vector_typeIjLj3EEjjjS8_jjjS8_jjjj ; -- Begin function _ZL13mul_mat_vec_qIL9ggml_type29ELi3ELb0ELb0EEvPKvS2_PKi31ggml_cuda_mm_fusion_args_devicePfj15HIP_vector_typeIjLj3EEjjjS8_jjjS8_jjjj
	.p2align	8
	.type	_ZL13mul_mat_vec_qIL9ggml_type29ELi3ELb0ELb0EEvPKvS2_PKi31ggml_cuda_mm_fusion_args_devicePfj15HIP_vector_typeIjLj3EEjjjS8_jjjS8_jjjj,@function
_ZL13mul_mat_vec_qIL9ggml_type29ELi3ELb0ELb0EEvPKvS2_PKi31ggml_cuda_mm_fusion_args_devicePfj15HIP_vector_typeIjLj3EEjjjS8_jjjS8_jjjj: ; @_ZL13mul_mat_vec_qIL9ggml_type29ELi3ELb0ELb0EEvPKvS2_PKi31ggml_cuda_mm_fusion_args_devicePfj15HIP_vector_typeIjLj3EEjjjS8_jjjS8_jjjj
; %bb.0:
	s_load_dword s9, s[4:5], 0x40
	s_load_dwordx4 s[0:3], s[4:5], 0x50
	s_load_dword s25, s[4:5], 0x60
	s_load_dwordx4 s[12:15], s[4:5], 0x68
	;; [unrolled: 2-line block ×3, first 2 shown]
	v_lshl_add_u32 v2, v1, 6, v0
	s_waitcnt lgkmcnt(0)
	s_lshr_b32 s9, s9, 8
	v_lshrrev_b32_e32 v20, 3, v2
	v_mov_b32_e32 v14, 0
	s_lshl_b32 s6, s6, 1
	v_cmp_gt_u32_e32 vcc, s9, v20
	v_mov_b32_e32 v16, v14
	v_mov_b32_e32 v17, v14
	;; [unrolled: 1-line block ×5, first 2 shown]
	s_and_saveexec_b64 s[10:11], vcc
	s_cbranch_execz .LBB222_4
; %bb.1:
	s_mul_hi_u32 s3, s3, s7
	s_add_i32 s3, s7, s3
	s_load_dwordx4 s[20:23], s[4:5], 0x0
	s_lshr_b32 s3, s3, s25
	s_mul_i32 s3, s3, s12
	s_mul_hi_u32 s12, s15, s8
	s_add_i32 s12, s8, s12
	s_lshr_b32 s12, s12, s24
	s_mul_i32 s24, s17, s8
	s_mul_i32 s15, s12, s16
	;; [unrolled: 1-line block ×3, first 2 shown]
	s_mul_hi_u32 s12, s24, 36
	s_waitcnt lgkmcnt(0)
	s_add_u32 s16, s22, s16
	s_addc_u32 s17, s23, s12
	s_mul_i32 s12, s13, s7
	s_mul_hi_u32 s13, s12, 36
	s_mul_i32 s12, s12, 36
	v_and_b32_e32 v2, 1, v0
	s_add_u32 s16, s16, s12
	v_cmp_eq_u32_e32 vcc, 1, v2
	s_addc_u32 s17, s17, s13
	v_and_b32_e32 v4, 7, v0
	s_add_i32 s19, s15, s3
	v_cndmask_b32_e64 v2, 0, 6, vcc
	s_mov_b32 s3, 0x5040100
	v_mad_u64_u32 v[10:11], s[16:17], v4, 36, s[16:17]
	v_perm_b32 v22, v2, v2, s3
	v_mov_b32_e32 v2, s12
	s_movk_i32 s17, 0x120
	v_mov_b32_e32 v3, s13
	v_mad_u64_u32 v[2:3], s[12:13], v20, s17, v[2:3]
	v_lshlrev_b32_e32 v6, 3, v20
	v_add_u32_e32 v23, s1, v6
	v_mad_u64_u32 v[2:3], s[12:13], s24, 36, v[2:3]
	v_lshl_add_u32 v24, s1, 1, v6
	v_mov_b32_e32 v6, s23
	v_mad_u64_u32 v[2:3], s[12:13], v4, 36, v[2:3]
	s_add_i32 s16, s6, 1
	v_mov_b32_e32 v14, 0
	v_add_co_u32_e32 v2, vcc, s22, v2
	v_addc_co_u32_e32 v3, vcc, v6, v3, vcc
	v_bfe_u32 v5, v0, 1, 2
	s_mul_i32 s15, s6, s0
	s_mul_i32 s0, s0, s16
	v_add_co_u32_e32 v12, vcc, 32, v2
	v_lshlrev_b32_e32 v21, 1, v4
	s_add_i32 s15, s19, s15
	s_add_i32 s19, s19, s0
	v_addc_co_u32_e32 v13, vcc, 0, v3, vcc
	s_mov_b64 s[12:13], 0
	s_mov_b32 s22, 0x1010101
	v_lshlrev_b32_e32 v25, 2, v4
	s_movk_i32 s23, 0x700
	v_lshlrev_b32_e32 v26, 1, v5
	s_mov_b32 s24, 0x7060302
	s_mov_b32 s25, 0xf000f0
	v_mov_b32_e32 v27, 8
	v_mov_b32_e32 v28, 4
	;; [unrolled: 1-line block ×8, first 2 shown]
.LBB222_2:                              ; =>This Inner Loop Header: Depth=1
	v_add_u32_e32 v30, s15, v20
	v_mad_u64_u32 v[46:47], s[0:1], v23, 36, v[10:11]
	v_mad_i64_i32 v[50:51], s[0:1], v30, 56, s[20:21]
	global_load_dwordx4 v[6:9], v[12:13], off offset:-32
	global_load_dwordx4 v[2:5], v[12:13], off offset:-16
	v_mad_u64_u32 v[48:49], s[0:1], v24, 36, v[10:11]
	global_load_dword v74, v[12:13], off
	v_add_co_u32_e32 v12, vcc, 0x1200, v12
	v_add_u32_e32 v31, s19, v20
	v_addc_co_u32_e32 v13, vcc, 0, v13, vcc
	v_mad_i64_i32 v[52:53], s[0:1], v31, 56, s[20:21]
	global_load_dwordx4 v[30:33], v[46:47], off
	global_load_dwordx4 v[34:37], v[46:47], off offset:16
	global_load_dwordx4 v[38:41], v[48:49], off
	global_load_dword v75, v[46:47], off offset:32
	global_load_dwordx4 v[42:45], v[48:49], off offset:16
	global_load_dword v76, v[48:49], off offset:32
	v_add_co_u32_e32 v46, vcc, v50, v25
	v_addc_co_u32_e32 v47, vcc, 0, v51, vcc
	v_add_co_u32_e32 v48, vcc, v50, v21
	v_addc_co_u32_e32 v49, vcc, 0, v51, vcc
	;; [unrolled: 2-line block ×6, first 2 shown]
	global_load_dword v77, v[46:47], off
	global_load_ushort v78, v[48:49], off offset:32
	global_load_dword v79, v[54:55], off
	global_load_ushort v80, v[56:57], off offset:32
	global_load_ushort v81, v[60:61], off offset:48
	global_load_dwordx2 v[62:63], v[50:51], off offset:48
	global_load_ushort v82, v[58:59], off offset:48
	global_load_dwordx2 v[64:65], v[52:53], off offset:48
	s_getpc_b64 s[16:17]
	s_add_u32 s16, s16, _ZL13iq1s_grid_gpu@rel32@lo+4
	s_addc_u32 s17, s17, _ZL13iq1s_grid_gpu@rel32@hi+12
	v_mov_b32_e32 v66, 0xbf600000
	v_mov_b32_e32 v67, 0xbf600000
	;; [unrolled: 1-line block ×8, first 2 shown]
	v_add_u32_e32 v20, 16, v20
	v_cmp_le_u32_e64 s[0:1], s9, v20
	v_add_u32_e32 v23, 0x80, v23
	v_add_u32_e32 v24, 0x80, v24
	s_or_b64 s[12:13], s[0:1], s[12:13]
	s_waitcnt vmcnt(16)
	v_dot4_i32_i8 v48, v7, s22, 0
	v_dot4_i32_i8 v46, v9, s22, 0
	;; [unrolled: 1-line block ×3, first 2 shown]
	s_waitcnt vmcnt(15)
	v_dot4_i32_i8 v46, v2, s22, v46
	v_cvt_f32_i32_e32 v48, v48
	v_cvt_f32_i32_e32 v46, v46
	v_dot4_i32_i8 v47, v3, s22, 0
	v_dot4_i32_i8 v47, v4, s22, v47
	v_cvt_f32_i32_e32 v47, v47
	v_cvt_f32_f16_e32 v6, v6
	s_waitcnt vmcnt(13)
	v_cvt_f32_f16_e32 v30, v30
	s_waitcnt vmcnt(11)
	;; [unrolled: 2-line block ×3, first 2 shown]
	v_and_b32_e32 v49, 0xff, v77
	s_waitcnt vmcnt(6)
	v_lshlrev_b32_e32 v50, 8, v78
	v_bfe_u32 v51, v77, 8, 8
	v_lshlrev_b32_e32 v52, 4, v78
	v_bfe_u32 v53, v77, 16, 8
	v_lshlrev_b32_sdwa v54, v27, v78 dst_sel:DWORD dst_unused:UNUSED_PAD src0_sel:DWORD src1_sel:BYTE_1
	v_lshrrev_b32_e32 v55, 24, v77
	v_lshlrev_b32_sdwa v56, v28, v78 dst_sel:DWORD dst_unused:UNUSED_PAD src0_sel:DWORD src1_sel:BYTE_1
	s_waitcnt vmcnt(5)
	v_and_b32_e32 v57, 0xff, v79
	s_waitcnt vmcnt(4)
	v_lshlrev_b32_e32 v58, 8, v80
	v_bfe_u32 v59, v79, 8, 8
	v_lshlrev_b32_e32 v60, 4, v80
	v_bfe_u32 v61, v79, 16, 8
	v_and_or_b32 v49, v50, s23, v49
	v_lshlrev_b32_sdwa v50, v27, v80 dst_sel:DWORD dst_unused:UNUSED_PAD src0_sel:DWORD src1_sel:BYTE_1
	v_lshrrev_b32_e32 v77, 24, v79
	v_and_or_b32 v51, v52, s23, v51
	v_lshlrev_b32_sdwa v52, v28, v80 dst_sel:DWORD dst_unused:UNUSED_PAD src0_sel:DWORD src1_sel:BYTE_1
	v_and_or_b32 v53, v54, s23, v53
	v_and_or_b32 v54, v56, s23, v55
	;; [unrolled: 1-line block ×6, first 2 shown]
	v_lshlrev_b32_e32 v49, 2, v49
	v_lshlrev_b32_e32 v51, 2, v51
	;; [unrolled: 1-line block ×8, first 2 shown]
	global_load_dword v57, v49, s[16:17]
	global_load_dword v58, v51, s[16:17]
	;; [unrolled: 1-line block ×8, first 2 shown]
	s_waitcnt vmcnt(8)
	v_perm_b32 v56, v65, v63, s3
	v_pk_lshrrev_b16 v56, 4, v56 op_sel_hi:[0,1]
	v_and_b32_e32 v56, 0xf000f00, v56
	s_waitcnt vmcnt(7)
	v_and_b32_e32 v49, 0xf0f0f0f, v57
	v_lshrrev_b32_e32 v50, 4, v57
	s_waitcnt vmcnt(5)
	v_and_b32_e32 v52, 0xf0f0f0f, v59
	v_lshrrev_b32_e32 v53, 4, v59
	v_and_b32_e32 v50, 0xf0f0f0f, v50
	v_and_b32_e32 v53, 0xf0f0f0f, v53
	v_dot4_i32_i8 v55, v49, v7, 0
	v_dot4_i32_i8 v7, v52, v7, 0
	v_and_b32_e32 v51, 0xf0f0f0f, v58
	s_waitcnt vmcnt(4)
	v_and_b32_e32 v54, 0xf0f0f0f, v60
	v_dot4_i32_i8 v55, v50, v8, v55
	v_dot4_i32_i8 v7, v53, v8, v7
	;; [unrolled: 1-line block ×4, first 2 shown]
	v_perm_b32 v9, v64, v62, s3
	v_perm_b32 v55, v64, v62, s24
	v_and_b32_e32 v64, 8, v80
	v_cvt_f32_ubyte0_e32 v64, v64
	v_fmac_f32_e32 v66, 0xbd000000, v64
	v_and_b32_e32 v64, 8, v78
	v_cvt_f32_ubyte0_e32 v64, v64
	v_fmac_f32_e32 v67, 0xbd000000, v64
	v_and_b32_sdwa v64, v78, v27 dst_sel:DWORD dst_unused:UNUSED_PAD src0_sel:BYTE_1 src1_sel:DWORD
	v_cvt_f32_ubyte0_e32 v64, v64
	v_fmac_f32_e32 v70, 0xbd000000, v64
	v_and_b32_sdwa v64, v80, v27 dst_sel:DWORD dst_unused:UNUSED_PAD src0_sel:BYTE_1 src1_sel:DWORD
	v_cvt_f32_ubyte0_e32 v64, v64
	v_fmac_f32_e32 v71, 0xbd000000, v64
	v_bfe_u32 v64, v78, 4, 4
	v_and_b32_e32 v64, 8, v64
	v_cvt_f32_ubyte0_e32 v64, v64
	v_fmac_f32_e32 v68, 0xbd000000, v64
	v_bfe_u32 v64, v80, 4, 4
	v_perm_b32 v57, v65, v63, s24
	v_pk_lshrrev_b16 v9, 12, v9 op_sel_hi:[0,1]
	v_pk_lshrrev_b16 v55, 8, v55 op_sel_hi:[0,1]
	v_and_b32_e32 v64, 8, v64
	v_and_or_b32 v9, v55, s25, v9
	v_and_b32_e32 v57, 0xf000f000, v57
	v_cvt_f32_ubyte0_e32 v64, v64
	v_or3_b32 v9, v9, v56, v57
	v_dot4_i32_i8 v56, v31, s22, 0
	v_fmac_f32_e32 v69, 0xbd000000, v64
	v_dot4_i32_i8 v64, v39, s22, 0
	v_dot4_i32_i8 v56, v32, s22, v56
	;; [unrolled: 1-line block ×3, first 2 shown]
	v_cvt_f32_i32_e32 v56, v56
	v_cvt_f32_i32_e32 v64, v64
	v_lshrrev_b32_sdwa v65, v28, v80 dst_sel:DWORD dst_unused:UNUSED_PAD src0_sel:DWORD src1_sel:BYTE_1
	v_dot4_i32_i8 v62, v33, s22, 0
	v_lshrrev_b32_sdwa v78, v28, v78 dst_sel:DWORD dst_unused:UNUSED_PAD src0_sel:DWORD src1_sel:BYTE_1
	v_and_b32_e32 v65, 8, v65
	v_and_b32_e32 v78, 8, v78
	v_cvt_f32_ubyte0_e32 v65, v65
	v_dot4_i32_i8 v62, v34, s22, v62
	v_cvt_f32_ubyte0_e32 v78, v78
	v_fmac_f32_e32 v72, 0xbd000000, v65
	v_fma_f32 v65, v67, v48, 0
	v_fma_f32 v48, v66, v48, 0
	v_cvt_f32_i32_e32 v62, v62
	v_dot4_i32_i8 v63, v35, s22, 0
	v_fmac_f32_e32 v73, 0xbd000000, v78
	v_fma_f32 v78, v67, v56, 0
	v_fma_f32 v56, v66, v56, 0
	;; [unrolled: 1-line block ×4, first 2 shown]
	v_dot4_i32_i8 v66, v41, s22, 0
	v_fmac_f32_e32 v48, v69, v46
	v_fmac_f32_e32 v65, v68, v46
	v_dot4_i32_i8 v46, v43, s22, 0
	v_dot4_i32_i8 v66, v42, s22, v66
	;; [unrolled: 1-line block ×4, first 2 shown]
	v_cvt_f32_i32_e32 v66, v66
	v_cvt_f32_i32_e32 v63, v63
	;; [unrolled: 1-line block ×3, first 2 shown]
	v_fmac_f32_e32 v56, v69, v62
	v_fmac_f32_e32 v78, v68, v62
	v_dot4_i32_i8 v62, v45, s22, 0
	v_perm_b32 v57, v82, v81, s3
	v_dot4_i32_i8 v62, v76, s22, v62
	v_dot4_i32_i8 v59, v5, s22, 0
	;; [unrolled: 1-line block ×3, first 2 shown]
	v_cvt_f32_i32_e32 v62, v62
	v_pk_lshrrev_b16 v57, v22, v57
	v_dot4_i32_i8 v59, v74, s22, v59
	v_fmac_f32_e32 v64, v69, v66
	v_dot4_i32_i8 v55, v75, s22, v55
	v_fmac_f32_e32 v67, v68, v66
	v_fma_f32 v66, v71, v47, 0
	v_fma_f32 v47, v70, v47, 0
	;; [unrolled: 1-line block ×6, first 2 shown]
	v_lshrrev_b32_e32 v70, 18, v57
	v_cvt_f32_i32_e32 v59, v59
	v_cvt_f32_i32_e32 v55, v55
	v_and_b32_e32 v70, 14, v70
	v_cvt_f32_f16_e32 v71, v9
	v_cvt_f32_f16_sdwa v9, v9 dst_sel:DWORD dst_unused:UNUSED_PAD src0_sel:WORD_1
	v_or_b32_e32 v70, 1, v70
	v_fmac_f32_e32 v46, v73, v62
	v_fmac_f32_e32 v69, v72, v62
	v_cvt_f32_ubyte0_e32 v62, v70
	v_dot4_i32_i8 v70, v49, v31, 0
	v_dot4_i32_i8 v31, v52, v31, 0
	;; [unrolled: 1-line block ×4, first 2 shown]
	v_fmac_f32_e32 v47, v73, v59
	v_fmac_f32_e32 v66, v72, v59
	;; [unrolled: 1-line block ×4, first 2 shown]
	v_dot4_i32_i8 v32, v51, v33, v70
	v_dot4_i32_i8 v31, v54, v33, v31
	v_mul_f32_e32 v33, v6, v71
	v_mul_f32_e32 v6, v6, v9
	;; [unrolled: 1-line block ×6, first 2 shown]
	v_lshrrev_b32_e32 v38, 4, v58
	s_waitcnt vmcnt(3)
	v_and_b32_e32 v58, 0xf0f0f0f, v61
	v_lshrrev_b32_e32 v61, 4, v61
	s_waitcnt vmcnt(1)
	v_and_b32_e32 v72, 0xf0f0f0f, v79
	v_lshrrev_b32_e32 v73, 4, v79
	v_dot4_i32_i8 v49, v49, v39, 0
	v_dot4_i32_i8 v39, v52, v39, 0
	v_and_b32_e32 v61, 0xf0f0f0f, v61
	v_and_b32_e32 v73, 0xf0f0f0f, v73
	v_dot4_i32_i8 v79, v58, v3, 0
	v_dot4_i32_i8 v49, v50, v40, v49
	;; [unrolled: 1-line block ×8, first 2 shown]
	v_lshrrev_b32_e32 v60, 4, v60
	v_dot4_i32_i8 v79, v61, v4, v79
	v_dot4_i32_i8 v50, v61, v36, v50
	;; [unrolled: 1-line block ×6, first 2 shown]
	v_and_b32_e32 v36, 0xf0f0f0f, v77
	v_dot4_i32_i8 v40, v51, v41, v49
	s_waitcnt vmcnt(0)
	v_and_b32_e32 v43, 0xf0f0f0f, v83
	v_lshrrev_b32_e32 v44, 4, v77
	v_lshrrev_b32_e32 v49, 4, v83
	v_and_b32_e32 v38, 0xf0f0f0f, v38
	v_and_b32_e32 v51, 0xf0f0f0f, v60
	;; [unrolled: 1-line block ×4, first 2 shown]
	v_dot4_i32_i8 v52, v36, v5, v79
	v_dot4_i32_i8 v3, v43, v5, v3
	;; [unrolled: 1-line block ×19, first 2 shown]
	v_cvt_f32_i32_e32 v3, v3
	v_cvt_f32_i32_e32 v4, v4
	;; [unrolled: 1-line block ×6, first 2 shown]
	v_bfe_u32 v55, v57, 2, 14
	v_cvt_f32_i32_e32 v2, v2
	v_cvt_f32_i32_e32 v31, v31
	;; [unrolled: 1-line block ×6, first 2 shown]
	v_lshlrev_b32_sdwa v59, v29, v57 dst_sel:DWORD dst_unused:UNUSED_PAD src0_sel:DWORD src1_sel:WORD_1
	v_lshlrev_b32_sdwa v57, v29, v57 dst_sel:DWORD dst_unused:UNUSED_PAD src0_sel:DWORD src1_sel:WORD_0
	v_and_b32_e32 v55, 14, v55
	v_and_b32_e32 v59, 14, v59
	;; [unrolled: 1-line block ×3, first 2 shown]
	v_or_b32_e32 v55, 1, v55
	v_or_b32_e32 v59, 1, v59
	;; [unrolled: 1-line block ×3, first 2 shown]
	v_cvt_f32_ubyte0_e32 v55, v55
	v_add_f32_e32 v3, v66, v3
	v_add_f32_e32 v4, v68, v4
	;; [unrolled: 1-line block ×6, first 2 shown]
	v_cvt_f32_ubyte0_e32 v59, v59
	v_cvt_f32_ubyte0_e32 v57, v57
	v_add_f32_e32 v2, v48, v2
	v_add_f32_e32 v31, v56, v31
	;; [unrolled: 1-line block ×6, first 2 shown]
	v_mul_f32_e32 v3, v3, v62
	v_mul_f32_e32 v4, v4, v62
	;; [unrolled: 1-line block ×6, first 2 shown]
	v_fmac_f32_e32 v3, v2, v59
	v_fmac_f32_e32 v4, v31, v59
	;; [unrolled: 1-line block ×12, first 2 shown]
	s_andn2_b64 exec, exec, s[12:13]
	s_cbranch_execnz .LBB222_2
; %bb.3:
	s_or_b64 exec, exec, s[12:13]
.LBB222_4:
	s_or_b64 exec, exec, s[10:11]
	v_cmp_eq_u32_e32 vcc, 0, v1
	v_cmp_ne_u32_e64 s[0:1], 0, v1
	s_and_saveexec_b64 s[10:11], s[0:1]
	s_cbranch_execz .LBB222_6
; %bb.5:
	v_mul_u32_u24_e32 v1, 0x600, v1
	v_lshl_or_b32 v1, v0, 2, v1
	v_add_u32_e32 v1, 0xfffffa00, v1
	ds_write2st64_b32 v1, v19, v18 offset1:1
	ds_write2st64_b32 v1, v17, v16 offset0:2 offset1:3
	ds_write2st64_b32 v1, v14, v15 offset0:4 offset1:5
.LBB222_6:
	s_or_b64 exec, exec, s[10:11]
	s_waitcnt lgkmcnt(0)
	s_barrier
	s_and_saveexec_b64 s[0:1], vcc
	s_cbranch_execz .LBB222_13
; %bb.7:
	v_lshlrev_b32_e32 v3, 2, v0
	v_mbcnt_lo_u32_b32 v1, -1, 0
	v_mbcnt_hi_u32_b32 v7, -1, v1
	ds_read2st64_b32 v[5:6], v3 offset1:1
	v_and_b32_e32 v1, 64, v7
	v_add_u32_e32 v8, 64, v1
	v_xor_b32_e32 v1, 32, v7
	v_cmp_lt_i32_e32 vcc, v1, v8
	v_cndmask_b32_e32 v1, v7, v1, vcc
	v_lshlrev_b32_e32 v1, 2, v1
	s_waitcnt lgkmcnt(0)
	v_add_f32_e32 v10, v5, v19
	v_add_f32_e32 v6, v6, v18
	ds_bpermute_b32 v11, v1, v10
	ds_bpermute_b32 v12, v1, v6
	v_xor_b32_e32 v2, 16, v7
	v_cmp_lt_i32_e32 vcc, v2, v8
	v_cndmask_b32_e32 v2, v7, v2, vcc
	v_lshlrev_b32_e32 v2, 2, v2
	s_waitcnt lgkmcnt(1)
	v_add_f32_e32 v10, v10, v11
	s_waitcnt lgkmcnt(0)
	v_add_f32_e32 v6, v6, v12
	ds_bpermute_b32 v11, v2, v10
	ds_bpermute_b32 v12, v2, v6
	v_xor_b32_e32 v4, 8, v7
	v_cmp_lt_i32_e32 vcc, v4, v8
	v_cndmask_b32_e32 v4, v7, v4, vcc
	v_lshlrev_b32_e32 v4, 2, v4
	s_waitcnt lgkmcnt(1)
	v_add_f32_e32 v10, v10, v11
	s_waitcnt lgkmcnt(0)
	;; [unrolled: 10-line block ×3, first 2 shown]
	v_add_f32_e32 v12, v12, v13
	ds_bpermute_b32 v11, v5, v10
	ds_bpermute_b32 v13, v5, v12
	v_xor_b32_e32 v9, 2, v7
	v_cmp_lt_i32_e32 vcc, v9, v8
	v_cndmask_b32_e32 v9, v7, v9, vcc
	v_lshlrev_b32_e32 v6, 2, v9
	v_xor_b32_e32 v9, 1, v7
	v_cmp_lt_i32_e32 vcc, v9, v8
	s_waitcnt lgkmcnt(1)
	v_add_f32_e32 v8, v10, v11
	s_waitcnt lgkmcnt(0)
	v_add_f32_e32 v11, v12, v13
	ds_bpermute_b32 v10, v6, v8
	ds_bpermute_b32 v12, v6, v11
	s_load_dwordx2 s[0:1], s[4:5], 0x38
	v_cndmask_b32_e32 v7, v7, v9, vcc
	s_mul_i32 s4, s14, s7
	v_lshlrev_b32_e32 v9, 2, v7
	s_waitcnt lgkmcnt(0)
	v_add_f32_e32 v7, v8, v10
	v_add_f32_e32 v10, v11, v12
	s_mul_i32 s3, s18, s8
	s_add_i32 s4, s4, s6
	ds_bpermute_b32 v8, v9, v7
	ds_bpermute_b32 v11, v9, v10
	s_add_i32 s4, s4, s3
	s_mov_b32 s5, 0
	s_lshl_b64 s[4:5], s[4:5], 2
	s_add_u32 s4, s0, s4
	v_add_u32_e32 v12, s6, v0
	s_addc_u32 s5, s1, s5
	v_cmp_gt_u32_e32 vcc, 2, v0
	v_cmp_gt_u32_e64 s[0:1], s2, v12
	s_and_b64 s[0:1], vcc, s[0:1]
	s_waitcnt lgkmcnt(1)
	v_add_f32_e32 v7, v7, v8
	s_waitcnt lgkmcnt(0)
	v_add_f32_e32 v8, v10, v11
	s_and_saveexec_b64 s[6:7], s[0:1]
	s_cbranch_execz .LBB222_9
; %bb.8:
	v_cmp_eq_u32_e32 vcc, 1, v0
	v_cndmask_b32_e32 v10, v7, v8, vcc
	v_cmp_eq_u32_e32 vcc, 2, v0
	v_cndmask_b32_e32 v10, v10, v17, vcc
	;; [unrolled: 2-line block ×5, first 2 shown]
	global_store_dword v3, v10, s[4:5]
.LBB222_9:
	s_or_b64 exec, exec, s[6:7]
	ds_read2st64_b32 v[10:11], v3 offset0:2 offset1:3
	s_waitcnt lgkmcnt(0)
	v_add_f32_e32 v10, v10, v17
	v_add_f32_e32 v11, v11, v16
	ds_bpermute_b32 v12, v1, v10
	ds_bpermute_b32 v13, v1, v11
	s_waitcnt lgkmcnt(1)
	v_add_f32_e32 v10, v10, v12
	s_waitcnt lgkmcnt(0)
	v_add_f32_e32 v11, v11, v13
	ds_bpermute_b32 v12, v2, v10
	ds_bpermute_b32 v13, v2, v11
	s_waitcnt lgkmcnt(1)
	v_add_f32_e32 v10, v10, v12
	s_waitcnt lgkmcnt(0)
	v_add_f32_e32 v11, v11, v13
	ds_bpermute_b32 v12, v4, v10
	ds_bpermute_b32 v13, v4, v11
	s_waitcnt lgkmcnt(1)
	v_add_f32_e32 v10, v10, v12
	s_waitcnt lgkmcnt(0)
	v_add_f32_e32 v11, v11, v13
	ds_bpermute_b32 v12, v5, v10
	ds_bpermute_b32 v13, v5, v11
	s_waitcnt lgkmcnt(1)
	v_add_f32_e32 v10, v10, v12
	s_waitcnt lgkmcnt(0)
	v_add_f32_e32 v11, v11, v13
	ds_bpermute_b32 v12, v6, v10
	ds_bpermute_b32 v13, v6, v11
	s_waitcnt lgkmcnt(1)
	v_add_f32_e32 v10, v10, v12
	s_waitcnt lgkmcnt(0)
	v_add_f32_e32 v12, v11, v13
	ds_bpermute_b32 v11, v9, v10
	ds_bpermute_b32 v13, v9, v12
	s_waitcnt lgkmcnt(1)
	v_add_f32_e32 v11, v10, v11
	s_waitcnt lgkmcnt(0)
	v_add_f32_e32 v10, v12, v13
	s_and_saveexec_b64 s[6:7], s[0:1]
	s_cbranch_execz .LBB222_11
; %bb.10:
	v_add_u32_e32 v12, 2, v0
	v_cmp_eq_u32_e32 vcc, 1, v12
	v_cndmask_b32_e32 v13, v7, v8, vcc
	v_cmp_eq_u32_e32 vcc, 2, v12
	v_cndmask_b32_e32 v13, v13, v11, vcc
	;; [unrolled: 2-line block ×5, first 2 shown]
	v_add_u32_e32 v12, s2, v0
	v_mov_b32_e32 v13, 0
	v_lshlrev_b64 v[12:13], 2, v[12:13]
	v_mov_b32_e32 v17, s5
	v_add_co_u32_e32 v12, vcc, s4, v12
	v_addc_co_u32_e32 v13, vcc, v17, v13, vcc
	global_store_dword v[12:13], v16, off
.LBB222_11:
	s_or_b64 exec, exec, s[6:7]
	ds_read2st64_b32 v[12:13], v3 offset0:4 offset1:5
	s_waitcnt lgkmcnt(0)
	v_add_f32_e32 v3, v12, v14
	v_add_f32_e32 v12, v13, v15
	ds_bpermute_b32 v13, v1, v3
	ds_bpermute_b32 v1, v1, v12
	s_waitcnt lgkmcnt(1)
	v_add_f32_e32 v3, v3, v13
	s_waitcnt lgkmcnt(0)
	v_add_f32_e32 v1, v12, v1
	ds_bpermute_b32 v12, v2, v3
	ds_bpermute_b32 v2, v2, v1
	s_waitcnt lgkmcnt(1)
	v_add_f32_e32 v3, v3, v12
	s_waitcnt lgkmcnt(0)
	;; [unrolled: 6-line block ×5, first 2 shown]
	v_add_f32_e32 v2, v3, v4
	ds_bpermute_b32 v3, v9, v1
	ds_bpermute_b32 v4, v9, v2
	s_and_b64 exec, exec, s[0:1]
	s_cbranch_execz .LBB222_13
; %bb.12:
	s_waitcnt lgkmcnt(1)
	v_add_f32_e32 v1, v1, v3
	v_add_u32_e32 v3, 4, v0
	v_cmp_eq_u32_e32 vcc, 1, v3
	s_waitcnt lgkmcnt(0)
	v_add_f32_e32 v2, v2, v4
	v_cndmask_b32_e32 v4, v7, v8, vcc
	v_cmp_eq_u32_e32 vcc, 2, v3
	v_cndmask_b32_e32 v4, v4, v11, vcc
	v_cmp_eq_u32_e32 vcc, 3, v3
	;; [unrolled: 2-line block ×4, first 2 shown]
	v_cndmask_b32_e32 v2, v1, v2, vcc
	v_lshl_or_b32 v0, s2, 1, v0
	v_mov_b32_e32 v1, 0
	v_lshlrev_b64 v[0:1], 2, v[0:1]
	v_mov_b32_e32 v3, s5
	v_add_co_u32_e32 v0, vcc, s4, v0
	v_addc_co_u32_e32 v1, vcc, v3, v1, vcc
	global_store_dword v[0:1], v2, off
.LBB222_13:
	s_endpgm
	.section	.rodata,"a",@progbits
	.p2align	6, 0x0
	.amdhsa_kernel _ZL13mul_mat_vec_qIL9ggml_type29ELi3ELb0ELb0EEvPKvS2_PKi31ggml_cuda_mm_fusion_args_devicePfj15HIP_vector_typeIjLj3EEjjjS8_jjjS8_jjjj
		.amdhsa_group_segment_fixed_size 1536
		.amdhsa_private_segment_fixed_size 0
		.amdhsa_kernarg_size 144
		.amdhsa_user_sgpr_count 6
		.amdhsa_user_sgpr_private_segment_buffer 1
		.amdhsa_user_sgpr_dispatch_ptr 0
		.amdhsa_user_sgpr_queue_ptr 0
		.amdhsa_user_sgpr_kernarg_segment_ptr 1
		.amdhsa_user_sgpr_dispatch_id 0
		.amdhsa_user_sgpr_flat_scratch_init 0
		.amdhsa_user_sgpr_private_segment_size 0
		.amdhsa_uses_dynamic_stack 0
		.amdhsa_system_sgpr_private_segment_wavefront_offset 0
		.amdhsa_system_sgpr_workgroup_id_x 1
		.amdhsa_system_sgpr_workgroup_id_y 1
		.amdhsa_system_sgpr_workgroup_id_z 1
		.amdhsa_system_sgpr_workgroup_info 0
		.amdhsa_system_vgpr_workitem_id 1
		.amdhsa_next_free_vgpr 84
		.amdhsa_next_free_sgpr 26
		.amdhsa_reserve_vcc 1
		.amdhsa_reserve_flat_scratch 0
		.amdhsa_float_round_mode_32 0
		.amdhsa_float_round_mode_16_64 0
		.amdhsa_float_denorm_mode_32 3
		.amdhsa_float_denorm_mode_16_64 3
		.amdhsa_dx10_clamp 1
		.amdhsa_ieee_mode 1
		.amdhsa_fp16_overflow 0
		.amdhsa_exception_fp_ieee_invalid_op 0
		.amdhsa_exception_fp_denorm_src 0
		.amdhsa_exception_fp_ieee_div_zero 0
		.amdhsa_exception_fp_ieee_overflow 0
		.amdhsa_exception_fp_ieee_underflow 0
		.amdhsa_exception_fp_ieee_inexact 0
		.amdhsa_exception_int_div_zero 0
	.end_amdhsa_kernel
	.section	.text._ZL13mul_mat_vec_qIL9ggml_type29ELi3ELb0ELb0EEvPKvS2_PKi31ggml_cuda_mm_fusion_args_devicePfj15HIP_vector_typeIjLj3EEjjjS8_jjjS8_jjjj,"axG",@progbits,_ZL13mul_mat_vec_qIL9ggml_type29ELi3ELb0ELb0EEvPKvS2_PKi31ggml_cuda_mm_fusion_args_devicePfj15HIP_vector_typeIjLj3EEjjjS8_jjjS8_jjjj,comdat
.Lfunc_end222:
	.size	_ZL13mul_mat_vec_qIL9ggml_type29ELi3ELb0ELb0EEvPKvS2_PKi31ggml_cuda_mm_fusion_args_devicePfj15HIP_vector_typeIjLj3EEjjjS8_jjjS8_jjjj, .Lfunc_end222-_ZL13mul_mat_vec_qIL9ggml_type29ELi3ELb0ELb0EEvPKvS2_PKi31ggml_cuda_mm_fusion_args_devicePfj15HIP_vector_typeIjLj3EEjjjS8_jjjS8_jjjj
                                        ; -- End function
	.set _ZL13mul_mat_vec_qIL9ggml_type29ELi3ELb0ELb0EEvPKvS2_PKi31ggml_cuda_mm_fusion_args_devicePfj15HIP_vector_typeIjLj3EEjjjS8_jjjS8_jjjj.num_vgpr, 84
	.set _ZL13mul_mat_vec_qIL9ggml_type29ELi3ELb0ELb0EEvPKvS2_PKi31ggml_cuda_mm_fusion_args_devicePfj15HIP_vector_typeIjLj3EEjjjS8_jjjS8_jjjj.num_agpr, 0
	.set _ZL13mul_mat_vec_qIL9ggml_type29ELi3ELb0ELb0EEvPKvS2_PKi31ggml_cuda_mm_fusion_args_devicePfj15HIP_vector_typeIjLj3EEjjjS8_jjjS8_jjjj.numbered_sgpr, 26
	.set _ZL13mul_mat_vec_qIL9ggml_type29ELi3ELb0ELb0EEvPKvS2_PKi31ggml_cuda_mm_fusion_args_devicePfj15HIP_vector_typeIjLj3EEjjjS8_jjjS8_jjjj.num_named_barrier, 0
	.set _ZL13mul_mat_vec_qIL9ggml_type29ELi3ELb0ELb0EEvPKvS2_PKi31ggml_cuda_mm_fusion_args_devicePfj15HIP_vector_typeIjLj3EEjjjS8_jjjS8_jjjj.private_seg_size, 0
	.set _ZL13mul_mat_vec_qIL9ggml_type29ELi3ELb0ELb0EEvPKvS2_PKi31ggml_cuda_mm_fusion_args_devicePfj15HIP_vector_typeIjLj3EEjjjS8_jjjS8_jjjj.uses_vcc, 1
	.set _ZL13mul_mat_vec_qIL9ggml_type29ELi3ELb0ELb0EEvPKvS2_PKi31ggml_cuda_mm_fusion_args_devicePfj15HIP_vector_typeIjLj3EEjjjS8_jjjS8_jjjj.uses_flat_scratch, 0
	.set _ZL13mul_mat_vec_qIL9ggml_type29ELi3ELb0ELb0EEvPKvS2_PKi31ggml_cuda_mm_fusion_args_devicePfj15HIP_vector_typeIjLj3EEjjjS8_jjjS8_jjjj.has_dyn_sized_stack, 0
	.set _ZL13mul_mat_vec_qIL9ggml_type29ELi3ELb0ELb0EEvPKvS2_PKi31ggml_cuda_mm_fusion_args_devicePfj15HIP_vector_typeIjLj3EEjjjS8_jjjS8_jjjj.has_recursion, 0
	.set _ZL13mul_mat_vec_qIL9ggml_type29ELi3ELb0ELb0EEvPKvS2_PKi31ggml_cuda_mm_fusion_args_devicePfj15HIP_vector_typeIjLj3EEjjjS8_jjjS8_jjjj.has_indirect_call, 0
	.section	.AMDGPU.csdata,"",@progbits
; Kernel info:
; codeLenInByte = 3756
; TotalNumSgprs: 30
; NumVgprs: 84
; ScratchSize: 0
; MemoryBound: 0
; FloatMode: 240
; IeeeMode: 1
; LDSByteSize: 1536 bytes/workgroup (compile time only)
; SGPRBlocks: 3
; VGPRBlocks: 20
; NumSGPRsForWavesPerEU: 30
; NumVGPRsForWavesPerEU: 84
; Occupancy: 3
; WaveLimiterHint : 0
; COMPUTE_PGM_RSRC2:SCRATCH_EN: 0
; COMPUTE_PGM_RSRC2:USER_SGPR: 6
; COMPUTE_PGM_RSRC2:TRAP_HANDLER: 0
; COMPUTE_PGM_RSRC2:TGID_X_EN: 1
; COMPUTE_PGM_RSRC2:TGID_Y_EN: 1
; COMPUTE_PGM_RSRC2:TGID_Z_EN: 1
; COMPUTE_PGM_RSRC2:TIDIG_COMP_CNT: 1
	.section	.text._ZL13mul_mat_vec_qIL9ggml_type29ELi4ELb0ELb0EEvPKvS2_PKi31ggml_cuda_mm_fusion_args_devicePfj15HIP_vector_typeIjLj3EEjjjS8_jjjS8_jjjj,"axG",@progbits,_ZL13mul_mat_vec_qIL9ggml_type29ELi4ELb0ELb0EEvPKvS2_PKi31ggml_cuda_mm_fusion_args_devicePfj15HIP_vector_typeIjLj3EEjjjS8_jjjS8_jjjj,comdat
	.globl	_ZL13mul_mat_vec_qIL9ggml_type29ELi4ELb0ELb0EEvPKvS2_PKi31ggml_cuda_mm_fusion_args_devicePfj15HIP_vector_typeIjLj3EEjjjS8_jjjS8_jjjj ; -- Begin function _ZL13mul_mat_vec_qIL9ggml_type29ELi4ELb0ELb0EEvPKvS2_PKi31ggml_cuda_mm_fusion_args_devicePfj15HIP_vector_typeIjLj3EEjjjS8_jjjS8_jjjj
	.p2align	8
	.type	_ZL13mul_mat_vec_qIL9ggml_type29ELi4ELb0ELb0EEvPKvS2_PKi31ggml_cuda_mm_fusion_args_devicePfj15HIP_vector_typeIjLj3EEjjjS8_jjjS8_jjjj,@function
_ZL13mul_mat_vec_qIL9ggml_type29ELi4ELb0ELb0EEvPKvS2_PKi31ggml_cuda_mm_fusion_args_devicePfj15HIP_vector_typeIjLj3EEjjjS8_jjjS8_jjjj: ; @_ZL13mul_mat_vec_qIL9ggml_type29ELi4ELb0ELb0EEvPKvS2_PKi31ggml_cuda_mm_fusion_args_devicePfj15HIP_vector_typeIjLj3EEjjjS8_jjjS8_jjjj
; %bb.0:
	s_load_dword s9, s[4:5], 0x40
	s_load_dwordx4 s[0:3], s[4:5], 0x50
	s_load_dword s25, s[4:5], 0x60
	s_load_dwordx4 s[12:15], s[4:5], 0x68
	;; [unrolled: 2-line block ×3, first 2 shown]
	v_lshl_add_u32 v2, v1, 6, v0
	s_waitcnt lgkmcnt(0)
	s_lshr_b32 s9, s9, 8
	v_lshrrev_b32_e32 v15, 3, v2
	v_mov_b32_e32 v7, 0
	s_lshl_b32 s6, s6, 1
	v_cmp_gt_u32_e32 vcc, s9, v15
	v_mov_b32_e32 v9, v7
	v_mov_b32_e32 v10, v7
	;; [unrolled: 1-line block ×7, first 2 shown]
	s_and_saveexec_b64 s[10:11], vcc
	s_cbranch_execz .LBB223_4
; %bb.1:
	s_mul_hi_u32 s3, s3, s7
	s_add_i32 s3, s7, s3
	s_load_dwordx4 s[20:23], s[4:5], 0x0
	s_lshr_b32 s3, s3, s25
	s_mul_i32 s3, s3, s12
	s_mul_hi_u32 s12, s15, s8
	s_add_i32 s12, s8, s12
	s_lshr_b32 s12, s12, s24
	s_mul_i32 s19, s17, s8
	s_mul_i32 s15, s12, s16
	;; [unrolled: 1-line block ×3, first 2 shown]
	s_mul_hi_u32 s12, s19, 36
	s_waitcnt lgkmcnt(0)
	s_add_u32 s16, s22, s16
	s_addc_u32 s17, s23, s12
	s_mul_i32 s12, s13, s7
	s_mul_hi_u32 s13, s12, 36
	s_mul_i32 s12, s12, 36
	s_add_u32 s16, s16, s12
	s_addc_u32 s17, s17, s13
	v_and_b32_e32 v10, 7, v0
	v_and_b32_e32 v4, 1, v0
	v_mad_u64_u32 v[2:3], s[16:17], v10, 36, s[16:17]
	v_cmp_eq_u32_e32 vcc, 1, v4
	s_add_i32 s24, s15, s3
	v_cndmask_b32_e64 v4, 0, 6, vcc
	s_mov_b32 s3, 0x5040100
	s_add_i32 s16, s6, 1
	s_mul_i32 s15, s6, s0
	v_perm_b32 v17, v4, v4, s3
	s_mul_i32 s0, s0, s16
	v_mov_b32_e32 v4, s12
	s_add_i32 s16, s24, s0
	s_movk_i32 s0, 0x120
	v_mov_b32_e32 v5, s13
	v_mad_u64_u32 v[4:5], s[12:13], v15, s0, v[4:5]
	v_mov_b32_e32 v7, 0
	v_lshlrev_b32_e32 v6, 3, v15
	v_mad_u64_u32 v[8:9], s[12:13], s19, 36, v[4:5]
	v_mad_u64_u32 v[4:5], s[12:13], s1, 3, v[6:7]
	;; [unrolled: 1-line block ×3, first 2 shown]
	v_add_u32_e32 v18, s1, v6
	v_lshl_add_u32 v19, s1, 1, v6
	v_mov_b32_e32 v5, s23
	v_add_co_u32_e32 v6, vcc, s22, v8
	v_addc_co_u32_e32 v8, vcc, v5, v9, vcc
	v_bfe_u32 v11, v0, 1, 2
	v_add_co_u32_e32 v5, vcc, 16, v6
	v_lshlrev_b32_e32 v16, 1, v10
	s_add_i32 s15, s24, s15
	v_addc_co_u32_e32 v6, vcc, 0, v8, vcc
	s_mov_b64 s[0:1], 0
	s_mov_b32 s17, 0x1010101
	v_lshlrev_b32_e32 v20, 2, v10
	s_movk_i32 s19, 0x700
	v_lshlrev_b32_e32 v21, 1, v11
	s_mov_b32 s22, 0x7060302
	s_mov_b32 s23, 0xf000f0
	v_mov_b32_e32 v22, 8
	v_mov_b32_e32 v23, 4
	;; [unrolled: 1-line block ×10, first 2 shown]
.LBB223_2:                              ; =>This Inner Loop Header: Depth=1
	global_load_dwordx4 v[25:28], v[5:6], off offset:-16
	global_load_dword v45, v[5:6], off offset:16
	global_load_dwordx4 v[29:32], v[5:6], off
	v_add_u32_e32 v33, s15, v15
	s_waitcnt vmcnt(2)
	v_dot4_i32_i8 v34, v26, s17, 0
	v_dot4_i32_i8 v34, v27, s17, v34
	v_cvt_f32_i32_e32 v57, v34
	v_dot4_i32_i8 v34, v28, s17, 0
	s_waitcnt vmcnt(0)
	v_dot4_i32_i8 v34, v29, s17, v34
	v_cvt_f32_i32_e32 v58, v34
	v_dot4_i32_i8 v34, v30, s17, 0
	v_dot4_i32_i8 v34, v31, s17, v34
	v_cvt_f32_i32_e32 v59, v34
	v_dot4_i32_i8 v34, v32, s17, 0
	v_dot4_i32_i8 v34, v45, s17, v34
	v_cvt_f32_i32_e32 v60, v34
	v_mad_i64_i32 v[33:34], s[12:13], v33, 56, s[20:21]
	v_cvt_f32_f16_e32 v61, v25
	s_getpc_b64 s[12:13]
	s_add_u32 s12, s12, _ZL13iq1s_grid_gpu@rel32@lo+4
	s_addc_u32 s13, s13, _ZL13iq1s_grid_gpu@rel32@hi+12
	v_add_co_u32_e32 v35, vcc, v33, v20
	v_addc_co_u32_e32 v36, vcc, 0, v34, vcc
	global_load_dword v25, v[35:36], off
	v_add_co_u32_e32 v35, vcc, v33, v16
	v_addc_co_u32_e32 v36, vcc, 0, v34, vcc
	global_load_ushort v40, v[35:36], off offset:32
	s_waitcnt vmcnt(1)
	v_and_b32_e32 v35, 0xff, v25
	v_lshrrev_b32_e32 v39, 24, v25
	s_waitcnt vmcnt(0)
	v_lshlrev_b32_e32 v36, 8, v40
	v_and_or_b32 v35, v36, s19, v35
	v_lshlrev_b32_e32 v35, 2, v35
	global_load_dword v36, v35, s[12:13]
	v_lshlrev_b32_e32 v38, 4, v40
	v_and_b32_e32 v46, 8, v40
	v_bfe_u32 v62, v40, 4, 4
	v_and_b32_sdwa v64, v40, v22 dst_sel:DWORD dst_unused:UNUSED_PAD src0_sel:BYTE_1 src1_sel:DWORD
	v_lshrrev_b32_sdwa v65, v23, v40 dst_sel:DWORD dst_unused:UNUSED_PAD src0_sel:DWORD src1_sel:BYTE_1
	s_waitcnt vmcnt(0)
	v_and_b32_e32 v35, 0xf0f0f0f, v36
	v_lshrrev_b32_e32 v36, 4, v36
	v_and_b32_e32 v36, 0xf0f0f0f, v36
	v_dot4_i32_i8 v37, v35, v26, 0
	v_dot4_i32_i8 v41, v36, v27, v37
	v_bfe_u32 v37, v25, 8, 8
	v_and_or_b32 v37, v38, s19, v37
	v_lshlrev_b32_e32 v37, 2, v37
	global_load_dword v38, v37, s[12:13]
	v_bfe_u32 v25, v25, 16, 8
	s_waitcnt vmcnt(0)
	v_and_b32_e32 v37, 0xf0f0f0f, v38
	v_lshrrev_b32_e32 v38, 4, v38
	v_and_b32_e32 v38, 0xf0f0f0f, v38
	v_dot4_i32_i8 v41, v37, v28, v41
	v_dot4_i32_i8 v63, v38, v29, v41
	v_lshlrev_b32_sdwa v41, v22, v40 dst_sel:DWORD dst_unused:UNUSED_PAD src0_sel:DWORD src1_sel:BYTE_1
	v_and_or_b32 v25, v41, s19, v25
	v_lshlrev_b32_e32 v25, 2, v25
	v_lshlrev_b32_sdwa v40, v23, v40 dst_sel:DWORD dst_unused:UNUSED_PAD src0_sel:DWORD src1_sel:BYTE_1
	global_load_dword v25, v25, s[12:13]
	v_and_or_b32 v39, v40, s19, v39
	v_lshlrev_b32_e32 v39, 2, v39
	global_load_dword v39, v39, s[12:13]
	s_waitcnt vmcnt(1)
	v_and_b32_e32 v41, 0xf0f0f0f, v25
	v_lshrrev_b32_e32 v25, 4, v25
	v_and_b32_e32 v42, 0xf0f0f0f, v25
	v_dot4_i32_i8 v25, v41, v30, 0
	v_dot4_i32_i8 v25, v42, v31, v25
	s_waitcnt vmcnt(0)
	v_and_b32_e32 v43, 0xf0f0f0f, v39
	v_lshrrev_b32_e32 v39, 4, v39
	v_and_b32_e32 v44, 0xf0f0f0f, v39
	v_dot4_i32_i8 v25, v43, v32, v25
	v_dot4_i32_i8 v66, v44, v45, v25
	v_add_u32_e32 v25, s16, v15
	v_mad_i64_i32 v[55:56], s[24:25], v25, 56, s[20:21]
	v_add_co_u32_e32 v39, vcc, v33, v21
	v_addc_co_u32_e32 v40, vcc, 0, v34, vcc
	global_load_ushort v67, v[39:40], off offset:48
	v_add_co_u32_e32 v39, vcc, v55, v20
	v_addc_co_u32_e32 v40, vcc, 0, v56, vcc
	global_load_dword v25, v[39:40], off
	v_add_co_u32_e32 v39, vcc, v55, v16
	v_addc_co_u32_e32 v40, vcc, 0, v56, vcc
	global_load_ushort v39, v[39:40], off offset:32
	v_add_u32_e32 v15, 16, v15
	s_waitcnt vmcnt(1)
	v_and_b32_e32 v40, 0xff, v25
	v_lshrrev_b32_e32 v53, 24, v25
	s_waitcnt vmcnt(0)
	v_lshlrev_b32_e32 v47, 8, v39
	v_and_or_b32 v40, v47, s19, v40
	v_lshlrev_b32_e32 v40, 2, v40
	global_load_dword v40, v40, s[12:13]
	v_lshlrev_b32_e32 v49, 4, v39
	v_bfe_u32 v68, v39, 4, 4
	s_waitcnt vmcnt(0)
	v_and_b32_e32 v47, 0xf0f0f0f, v40
	v_lshrrev_b32_e32 v40, 4, v40
	v_and_b32_e32 v48, 0xf0f0f0f, v40
	v_dot4_i32_i8 v26, v47, v26, 0
	v_dot4_i32_i8 v26, v48, v27, v26
	v_bfe_u32 v27, v25, 8, 8
	v_and_or_b32 v27, v49, s19, v27
	v_lshlrev_b32_e32 v27, 2, v27
	global_load_dword v27, v27, s[12:13]
	v_bfe_u32 v25, v25, 16, 8
	v_and_b32_e32 v40, 8, v39
	s_waitcnt vmcnt(0)
	v_and_b32_e32 v49, 0xf0f0f0f, v27
	v_lshrrev_b32_e32 v27, 4, v27
	v_and_b32_e32 v50, 0xf0f0f0f, v27
	v_dot4_i32_i8 v26, v49, v28, v26
	v_dot4_i32_i8 v69, v50, v29, v26
	v_lshlrev_b32_sdwa v26, v22, v39 dst_sel:DWORD dst_unused:UNUSED_PAD src0_sel:DWORD src1_sel:BYTE_1
	v_and_or_b32 v25, v26, s19, v25
	v_lshlrev_b32_e32 v25, 2, v25
	v_lshlrev_b32_sdwa v26, v23, v39 dst_sel:DWORD dst_unused:UNUSED_PAD src0_sel:DWORD src1_sel:BYTE_1
	global_load_dword v25, v25, s[12:13]
	v_and_or_b32 v26, v26, s19, v53
	v_lshlrev_b32_e32 v26, 2, v26
	global_load_dword v26, v26, s[12:13]
	v_and_b32_sdwa v29, v39, v22 dst_sel:DWORD dst_unused:UNUSED_PAD src0_sel:BYTE_1 src1_sel:DWORD
	s_waitcnt vmcnt(1)
	v_and_b32_e32 v51, 0xf0f0f0f, v25
	v_lshrrev_b32_e32 v25, 4, v25
	v_and_b32_e32 v52, 0xf0f0f0f, v25
	v_dot4_i32_i8 v25, v51, v30, 0
	v_dot4_i32_i8 v25, v52, v31, v25
	s_waitcnt vmcnt(0)
	v_and_b32_e32 v53, 0xf0f0f0f, v26
	v_lshrrev_b32_e32 v26, 4, v26
	v_and_b32_e32 v54, 0xf0f0f0f, v26
	v_dot4_i32_i8 v25, v53, v32, v25
	v_dot4_i32_i8 v32, v54, v45, v25
	v_add_co_u32_e32 v25, vcc, v55, v21
	v_addc_co_u32_e32 v26, vcc, 0, v56, vcc
	global_load_ushort v70, v[25:26], off offset:48
	global_load_dwordx2 v[27:28], v[33:34], off offset:48
	v_cvt_f32_ubyte0_e32 v25, v46
	v_cvt_f32_ubyte0_e32 v26, v40
	v_mov_b32_e32 v45, 0xbf600000
	v_mov_b32_e32 v46, 0xbf600000
	v_fmac_f32_e32 v45, 0xbd000000, v26
	v_fmac_f32_e32 v46, 0xbd000000, v25
	v_and_b32_e32 v25, 8, v68
	v_and_b32_e32 v26, 8, v62
	v_lshrrev_b32_sdwa v30, v23, v39 dst_sel:DWORD dst_unused:UNUSED_PAD src0_sel:DWORD src1_sel:BYTE_1
	v_cvt_f32_ubyte0_e32 v25, v25
	v_cvt_f32_ubyte0_e32 v26, v26
	v_mov_b32_e32 v39, 0xbf600000
	v_mov_b32_e32 v40, 0xbf600000
	v_fmac_f32_e32 v39, 0xbd000000, v26
	v_fmac_f32_e32 v40, 0xbd000000, v25
	v_cvt_f32_ubyte0_e32 v25, v29
	v_cvt_f32_ubyte0_e32 v26, v64
	v_mov_b32_e32 v33, 0xbf600000
	v_mov_b32_e32 v34, 0xbf600000
	v_fmac_f32_e32 v33, 0xbd000000, v26
	v_fmac_f32_e32 v34, 0xbd000000, v25
	v_and_b32_e32 v25, 8, v30
	v_and_b32_e32 v26, 8, v65
	v_cvt_f32_ubyte0_e32 v26, v26
	v_cvt_f32_ubyte0_e32 v25, v25
	v_mov_b32_e32 v29, 0xbf600000
	v_mov_b32_e32 v31, 0xbf600000
	v_fmac_f32_e32 v29, 0xbd000000, v25
	v_fmac_f32_e32 v31, 0xbd000000, v26
	global_load_dwordx2 v[25:26], v[55:56], off offset:48
	v_fma_f32 v71, v46, v57, 0
	v_fma_f32 v57, v45, v57, 0
	v_fmac_f32_e32 v57, v40, v58
	v_fmac_f32_e32 v71, v39, v58
	v_fma_f32 v58, v34, v59, 0
	v_fma_f32 v59, v33, v59, 0
	v_fmac_f32_e32 v59, v31, v60
	v_fmac_f32_e32 v58, v29, v60
	v_cvt_f32_i32_e32 v32, v32
	v_cvt_f32_i32_e32 v62, v63
	v_mad_u64_u32 v[63:64], s[12:13], v18, 36, v[2:3]
	v_add_f32_e32 v58, v58, v32
	v_add_f32_e32 v62, v71, v62
	v_add_co_u32_e32 v5, vcc, 0x1200, v5
	v_addc_co_u32_e32 v6, vcc, 0, v6, vcc
	v_cmp_le_u32_e32 vcc, s9, v15
	v_add_u32_e32 v18, 0x80, v18
	s_or_b64 s[0:1], vcc, s[0:1]
	s_waitcnt vmcnt(0)
	v_perm_b32 v30, v25, v27, s3
	v_perm_b32 v25, v25, v27, s22
	;; [unrolled: 1-line block ×3, first 2 shown]
	v_pk_lshrrev_b16 v30, 12, v30 op_sel_hi:[0,1]
	v_pk_lshrrev_b16 v25, 8, v25 op_sel_hi:[0,1]
	;; [unrolled: 1-line block ×3, first 2 shown]
	v_perm_b32 v26, v26, v28, s22
	v_and_or_b32 v25, v25, s23, v30
	v_and_b32_e32 v27, 0xf000f00, v27
	v_and_b32_e32 v26, 0xf000f000, v26
	v_or3_b32 v26, v25, v27, v26
	v_cvt_f32_f16_e32 v25, v26
	v_cvt_f32_f16_sdwa v26, v26 dst_sel:DWORD dst_unused:UNUSED_PAD src0_sel:WORD_1
	v_perm_b32 v27, v70, v67, s3
	v_pk_lshrrev_b16 v27, v17, v27
	v_lshlrev_b32_sdwa v28, v24, v27 dst_sel:DWORD dst_unused:UNUSED_PAD src0_sel:DWORD src1_sel:WORD_1
	v_lshlrev_b32_sdwa v30, v24, v27 dst_sel:DWORD dst_unused:UNUSED_PAD src0_sel:DWORD src1_sel:WORD_0
	v_lshrrev_b32_e32 v60, 18, v27
	v_bfe_u32 v27, v27, 2, 14
	v_and_b32_e32 v27, 14, v27
	v_mul_f32_e32 v55, v61, v26
	v_mul_f32_e32 v56, v61, v25
	v_or_b32_e32 v61, 1, v27
	v_cvt_f32_i32_e32 v27, v69
	v_and_b32_e32 v30, 14, v30
	v_or_b32_e32 v30, 1, v30
	v_and_b32_e32 v60, 14, v60
	v_add_f32_e32 v57, v57, v27
	v_cvt_f32_ubyte0_e32 v27, v30
	v_cvt_f32_i32_e32 v30, v66
	v_and_b32_e32 v28, 14, v28
	v_or_b32_e32 v60, 1, v60
	v_or_b32_e32 v28, 1, v28
	v_add_f32_e32 v59, v59, v30
	v_cvt_f32_ubyte0_e32 v30, v60
	v_cvt_f32_ubyte0_e32 v32, v61
	;; [unrolled: 1-line block ×3, first 2 shown]
	v_mul_f32_e32 v59, v59, v32
	v_mul_f32_e32 v58, v58, v30
	v_fmac_f32_e32 v58, v57, v28
	v_fmac_f32_e32 v59, v62, v27
	;; [unrolled: 1-line block ×4, first 2 shown]
	global_load_dwordx4 v[55:58], v[63:64], off
	global_load_dword v65, v[63:64], off offset:32
	global_load_dwordx4 v[59:62], v[63:64], off offset:16
	s_waitcnt vmcnt(2)
	v_dot4_i32_i8 v63, v56, s17, 0
	v_dot4_i32_i8 v68, v35, v56, 0
	;; [unrolled: 1-line block ×6, first 2 shown]
	v_cvt_f32_i32_e32 v63, v63
	s_waitcnt vmcnt(0)
	v_dot4_i32_i8 v64, v59, s17, v64
	v_dot4_i32_i8 v56, v49, v58, v56
	v_cvt_f32_i32_e32 v64, v64
	v_dot4_i32_i8 v56, v50, v59, v56
	v_dot4_i32_i8 v66, v60, s17, 0
	v_dot4_i32_i8 v68, v36, v57, v68
	v_dot4_i32_i8 v69, v41, v60, 0
	v_dot4_i32_i8 v57, v51, v60, 0
	v_cvt_f32_i32_e32 v56, v56
	v_dot4_i32_i8 v66, v61, s17, v66
	v_dot4_i32_i8 v67, v62, s17, 0
	v_dot4_i32_i8 v68, v37, v58, v68
	;; [unrolled: 6-line block ×3, first 2 shown]
	v_dot4_i32_i8 v57, v53, v62, v57
	v_fma_f32 v59, v45, v63, 0
	v_cvt_f32_i32_e32 v67, v67
	v_dot4_i32_i8 v69, v44, v65, v69
	v_dot4_i32_i8 v57, v54, v65, v57
	v_fma_f32 v58, v46, v63, 0
	v_fmac_f32_e32 v59, v40, v64
	v_cvt_f32_i32_e32 v63, v68
	v_add_f32_e32 v56, v59, v56
	v_cvt_f32_i32_e32 v59, v69
	v_cvt_f32_i32_e32 v57, v57
	v_cvt_f32_f16_e32 v55, v55
	v_fmac_f32_e32 v58, v39, v64
	v_fma_f32 v60, v34, v66, 0
	v_fma_f32 v61, v33, v66, 0
	v_fmac_f32_e32 v61, v31, v67
	v_fmac_f32_e32 v60, v29, v67
	v_add_f32_e32 v58, v58, v63
	v_mad_u64_u32 v[63:64], s[12:13], v19, 36, v[2:3]
	v_add_f32_e32 v57, v60, v57
	v_add_f32_e32 v59, v61, v59
	v_mul_f32_e32 v59, v59, v32
	v_mul_f32_e32 v57, v57, v30
	;; [unrolled: 1-line block ×4, first 2 shown]
	v_fmac_f32_e32 v57, v56, v28
	v_fmac_f32_e32 v59, v58, v27
	;; [unrolled: 1-line block ×4, first 2 shown]
	global_load_dwordx4 v[55:58], v[63:64], off
	global_load_dword v65, v[63:64], off offset:32
	global_load_dwordx4 v[59:62], v[63:64], off offset:16
	v_add_u32_e32 v19, 0x80, v19
	s_waitcnt vmcnt(2)
	v_dot4_i32_i8 v63, v56, s17, 0
	v_dot4_i32_i8 v68, v35, v56, 0
	v_dot4_i32_i8 v56, v47, v56, 0
	v_dot4_i32_i8 v63, v57, s17, v63
	v_dot4_i32_i8 v64, v58, s17, 0
	v_dot4_i32_i8 v56, v48, v57, v56
	v_cvt_f32_i32_e32 v63, v63
	s_waitcnt vmcnt(0)
	v_dot4_i32_i8 v64, v59, s17, v64
	v_dot4_i32_i8 v56, v49, v58, v56
	v_cvt_f32_i32_e32 v64, v64
	v_dot4_i32_i8 v56, v50, v59, v56
	v_dot4_i32_i8 v66, v60, s17, 0
	v_dot4_i32_i8 v68, v36, v57, v68
	v_dot4_i32_i8 v69, v41, v60, 0
	v_dot4_i32_i8 v57, v51, v60, 0
	v_cvt_f32_i32_e32 v56, v56
	v_dot4_i32_i8 v66, v61, s17, v66
	v_dot4_i32_i8 v67, v62, s17, 0
	v_dot4_i32_i8 v68, v37, v58, v68
	;; [unrolled: 6-line block ×3, first 2 shown]
	v_dot4_i32_i8 v57, v53, v62, v57
	v_fma_f32 v59, v45, v63, 0
	v_cvt_f32_i32_e32 v67, v67
	v_dot4_i32_i8 v69, v44, v65, v69
	v_dot4_i32_i8 v57, v54, v65, v57
	v_fma_f32 v58, v46, v63, 0
	v_fmac_f32_e32 v59, v40, v64
	v_cvt_f32_i32_e32 v63, v68
	v_add_f32_e32 v56, v59, v56
	v_cvt_f32_i32_e32 v59, v69
	v_cvt_f32_i32_e32 v57, v57
	v_cvt_f32_f16_e32 v55, v55
	v_fmac_f32_e32 v58, v39, v64
	v_fma_f32 v60, v34, v66, 0
	v_fma_f32 v61, v33, v66, 0
	v_fmac_f32_e32 v61, v31, v67
	v_fmac_f32_e32 v60, v29, v67
	v_add_f32_e32 v58, v58, v63
	v_mad_u64_u32 v[63:64], s[12:13], v4, 36, v[2:3]
	v_add_f32_e32 v57, v60, v57
	v_add_f32_e32 v59, v61, v59
	v_mul_f32_e32 v59, v59, v32
	v_mul_f32_e32 v57, v57, v30
	;; [unrolled: 1-line block ×4, first 2 shown]
	v_fmac_f32_e32 v57, v56, v28
	v_fmac_f32_e32 v59, v58, v27
	v_fmac_f32_e32 v10, v55, v59
	v_fmac_f32_e32 v9, v62, v57
	global_load_dwordx4 v[55:58], v[63:64], off
	global_load_dword v65, v[63:64], off offset:32
	global_load_dwordx4 v[59:62], v[63:64], off offset:16
	v_add_u32_e32 v4, 0x80, v4
	s_waitcnt vmcnt(2)
	v_dot4_i32_i8 v35, v35, v56, 0
	v_dot4_i32_i8 v35, v36, v57, v35
	s_waitcnt vmcnt(0)
	v_dot4_i32_i8 v66, v60, s17, 0
	v_dot4_i32_i8 v66, v61, s17, v66
	;; [unrolled: 1-line block ×3, first 2 shown]
	v_cvt_f32_i32_e32 v66, v66
	v_dot4_i32_i8 v67, v65, s17, v67
	v_dot4_i32_i8 v35, v37, v58, v35
	v_cvt_f32_i32_e32 v67, v67
	v_dot4_i32_i8 v35, v38, v59, v35
	v_dot4_i32_i8 v36, v41, v60, 0
	;; [unrolled: 1-line block ×12, first 2 shown]
	v_cvt_f32_i32_e32 v63, v63
	v_dot4_i32_i8 v64, v59, s17, v64
	v_dot4_i32_i8 v36, v44, v65, v36
	;; [unrolled: 1-line block ×4, first 2 shown]
	v_fma_f32 v33, v33, v66, 0
	v_cvt_f32_i32_e32 v64, v64
	v_dot4_i32_i8 v37, v50, v59, v37
	v_fma_f32 v34, v34, v66, 0
	v_fmac_f32_e32 v33, v31, v67
	v_cvt_f32_i32_e32 v31, v35
	v_cvt_f32_i32_e32 v35, v36
	;; [unrolled: 1-line block ×3, first 2 shown]
	v_fmac_f32_e32 v34, v29, v67
	v_cvt_f32_i32_e32 v29, v37
	v_cvt_f32_f16_e32 v55, v55
	v_fma_f32 v41, v46, v63, 0
	v_fma_f32 v42, v45, v63, 0
	v_fmac_f32_e32 v42, v40, v64
	v_fmac_f32_e32 v41, v39, v64
	v_add_f32_e32 v34, v34, v36
	v_add_f32_e32 v33, v33, v35
	v_add_f32_e32 v31, v41, v31
	v_add_f32_e32 v29, v42, v29
	v_mul_f32_e32 v32, v33, v32
	v_mul_f32_e32 v30, v34, v30
	;; [unrolled: 1-line block ×4, first 2 shown]
	v_fmac_f32_e32 v30, v29, v28
	v_fmac_f32_e32 v32, v31, v27
	;; [unrolled: 1-line block ×4, first 2 shown]
	s_andn2_b64 exec, exec, s[0:1]
	s_cbranch_execnz .LBB223_2
; %bb.3:
	s_or_b64 exec, exec, s[0:1]
.LBB223_4:
	s_or_b64 exec, exec, s[10:11]
	v_cmp_eq_u32_e32 vcc, 0, v1
	v_cmp_ne_u32_e64 s[0:1], 0, v1
	v_lshlrev_b32_e32 v2, 2, v0
	s_and_saveexec_b64 s[10:11], s[0:1]
	s_cbranch_execz .LBB223_6
; %bb.5:
	v_lshl_or_b32 v1, v1, 11, v2
	v_add_u32_e32 v1, 0xfffff800, v1
	ds_write2st64_b32 v1, v14, v13 offset1:1
	ds_write2st64_b32 v1, v12, v11 offset0:2 offset1:3
	ds_write2st64_b32 v1, v10, v9 offset0:4 offset1:5
	;; [unrolled: 1-line block ×3, first 2 shown]
.LBB223_6:
	s_or_b64 exec, exec, s[10:11]
	s_waitcnt lgkmcnt(0)
	s_barrier
	s_and_saveexec_b64 s[0:1], vcc
	s_cbranch_execz .LBB223_15
; %bb.7:
	v_mbcnt_lo_u32_b32 v1, -1, 0
	v_mbcnt_hi_u32_b32 v15, -1, v1
	ds_read2st64_b32 v[5:6], v2 offset1:1
	v_and_b32_e32 v1, 64, v15
	v_add_u32_e32 v16, 64, v1
	v_xor_b32_e32 v1, 32, v15
	v_cmp_lt_i32_e32 vcc, v1, v16
	v_cndmask_b32_e32 v1, v15, v1, vcc
	v_lshlrev_b32_e32 v1, 2, v1
	s_waitcnt lgkmcnt(0)
	v_add_f32_e32 v14, v5, v14
	v_add_f32_e32 v6, v6, v13
	ds_bpermute_b32 v18, v1, v14
	ds_bpermute_b32 v13, v1, v6
	v_xor_b32_e32 v3, 16, v15
	v_cmp_lt_i32_e32 vcc, v3, v16
	v_cndmask_b32_e32 v3, v15, v3, vcc
	v_lshlrev_b32_e32 v3, 2, v3
	s_waitcnt lgkmcnt(1)
	v_add_f32_e32 v14, v14, v18
	s_waitcnt lgkmcnt(0)
	v_add_f32_e32 v6, v6, v13
	ds_bpermute_b32 v18, v3, v14
	ds_bpermute_b32 v13, v3, v6
	v_xor_b32_e32 v4, 8, v15
	v_cmp_lt_i32_e32 vcc, v4, v16
	v_cndmask_b32_e32 v4, v15, v4, vcc
	v_lshlrev_b32_e32 v4, 2, v4
	s_waitcnt lgkmcnt(1)
	v_add_f32_e32 v14, v14, v18
	s_waitcnt lgkmcnt(0)
	;; [unrolled: 10-line block ×3, first 2 shown]
	v_add_f32_e32 v13, v13, v19
	ds_bpermute_b32 v18, v5, v14
	ds_bpermute_b32 v19, v5, v13
	v_xor_b32_e32 v17, 2, v15
	v_cmp_lt_i32_e32 vcc, v17, v16
	v_cndmask_b32_e32 v17, v15, v17, vcc
	v_lshlrev_b32_e32 v6, 2, v17
	v_xor_b32_e32 v17, 1, v15
	v_cmp_lt_i32_e32 vcc, v17, v16
	s_waitcnt lgkmcnt(1)
	v_add_f32_e32 v14, v14, v18
	s_waitcnt lgkmcnt(0)
	v_add_f32_e32 v13, v13, v19
	v_cndmask_b32_e32 v15, v15, v17, vcc
	ds_bpermute_b32 v16, v6, v14
	ds_bpermute_b32 v17, v6, v13
	s_load_dwordx2 s[0:1], s[4:5], 0x38
	s_mul_i32 s4, s14, s7
	v_lshlrev_b32_e32 v15, 2, v15
	s_waitcnt lgkmcnt(0)
	v_add_f32_e32 v14, v14, v16
	v_add_f32_e32 v17, v13, v17
	s_mul_i32 s3, s18, s8
	s_add_i32 s4, s4, s6
	ds_bpermute_b32 v16, v15, v14
	ds_bpermute_b32 v18, v15, v17
	s_add_i32 s4, s4, s3
	s_mov_b32 s5, 0
	s_lshl_b64 s[4:5], s[4:5], 2
	s_add_u32 s4, s0, s4
	v_add_u32_e32 v13, s6, v0
	s_addc_u32 s5, s1, s5
	v_cmp_gt_u32_e32 vcc, 2, v0
	v_cmp_gt_u32_e64 s[0:1], s2, v13
	s_and_b64 s[0:1], vcc, s[0:1]
	s_waitcnt lgkmcnt(1)
	v_add_f32_e32 v13, v14, v16
	s_waitcnt lgkmcnt(0)
	v_add_f32_e32 v14, v17, v18
	s_and_saveexec_b64 s[6:7], s[0:1]
	s_cbranch_execz .LBB223_9
; %bb.8:
	v_cmp_eq_u32_e32 vcc, 1, v0
	v_cndmask_b32_e32 v16, v13, v14, vcc
	v_cmp_eq_u32_e32 vcc, 2, v0
	v_cndmask_b32_e32 v16, v16, v12, vcc
	;; [unrolled: 2-line block ×7, first 2 shown]
	global_store_dword v2, v16, s[4:5]
.LBB223_9:
	s_or_b64 exec, exec, s[6:7]
	ds_read2st64_b32 v[16:17], v2 offset0:2 offset1:3
	s_waitcnt lgkmcnt(0)
	v_add_f32_e32 v12, v16, v12
	v_add_f32_e32 v11, v17, v11
	ds_bpermute_b32 v16, v1, v12
	ds_bpermute_b32 v17, v1, v11
	s_waitcnt lgkmcnt(1)
	v_add_f32_e32 v12, v12, v16
	s_waitcnt lgkmcnt(0)
	v_add_f32_e32 v11, v11, v17
	ds_bpermute_b32 v16, v3, v12
	ds_bpermute_b32 v17, v3, v11
	s_waitcnt lgkmcnt(1)
	v_add_f32_e32 v12, v12, v16
	s_waitcnt lgkmcnt(0)
	;; [unrolled: 6-line block ×6, first 2 shown]
	v_add_f32_e32 v11, v11, v17
	s_and_saveexec_b64 s[6:7], s[0:1]
	s_cbranch_execz .LBB223_11
; %bb.10:
	v_add_u32_e32 v16, 2, v0
	v_cmp_eq_u32_e32 vcc, 1, v16
	v_cndmask_b32_e32 v17, v13, v14, vcc
	v_cmp_eq_u32_e32 vcc, 2, v16
	v_cndmask_b32_e32 v17, v17, v12, vcc
	;; [unrolled: 2-line block ×7, first 2 shown]
	v_add_u32_e32 v16, s2, v0
	v_mov_b32_e32 v17, 0
	v_lshlrev_b64 v[16:17], 2, v[16:17]
	v_mov_b32_e32 v19, s5
	v_add_co_u32_e32 v16, vcc, s4, v16
	v_addc_co_u32_e32 v17, vcc, v19, v17, vcc
	global_store_dword v[16:17], v18, off
.LBB223_11:
	s_or_b64 exec, exec, s[6:7]
	ds_read2st64_b32 v[16:17], v2 offset0:4 offset1:5
	s_waitcnt lgkmcnt(0)
	v_add_f32_e32 v10, v16, v10
	v_add_f32_e32 v9, v17, v9
	ds_bpermute_b32 v16, v1, v10
	ds_bpermute_b32 v17, v1, v9
	s_waitcnt lgkmcnt(1)
	v_add_f32_e32 v10, v10, v16
	s_waitcnt lgkmcnt(0)
	v_add_f32_e32 v9, v9, v17
	ds_bpermute_b32 v16, v3, v10
	ds_bpermute_b32 v17, v3, v9
	s_waitcnt lgkmcnt(1)
	v_add_f32_e32 v10, v10, v16
	s_waitcnt lgkmcnt(0)
	;; [unrolled: 6-line block ×6, first 2 shown]
	v_add_f32_e32 v9, v9, v17
	s_and_saveexec_b64 s[6:7], s[0:1]
	s_cbranch_execz .LBB223_13
; %bb.12:
	v_add_u32_e32 v16, 4, v0
	v_cmp_eq_u32_e32 vcc, 1, v16
	v_cndmask_b32_e32 v17, v13, v14, vcc
	v_cmp_eq_u32_e32 vcc, 2, v16
	v_cndmask_b32_e32 v17, v17, v12, vcc
	;; [unrolled: 2-line block ×7, first 2 shown]
	v_lshl_or_b32 v16, s2, 1, v0
	v_mov_b32_e32 v17, 0
	v_lshlrev_b64 v[16:17], 2, v[16:17]
	v_mov_b32_e32 v19, s5
	v_add_co_u32_e32 v16, vcc, s4, v16
	v_addc_co_u32_e32 v17, vcc, v19, v17, vcc
	global_store_dword v[16:17], v18, off
.LBB223_13:
	s_or_b64 exec, exec, s[6:7]
	ds_read2st64_b32 v[16:17], v2 offset0:6 offset1:7
	s_waitcnt lgkmcnt(0)
	v_add_f32_e32 v2, v16, v7
	v_add_f32_e32 v7, v17, v8
	ds_bpermute_b32 v8, v1, v2
	ds_bpermute_b32 v1, v1, v7
	s_waitcnt lgkmcnt(1)
	v_add_f32_e32 v2, v2, v8
	s_waitcnt lgkmcnt(0)
	v_add_f32_e32 v1, v7, v1
	ds_bpermute_b32 v7, v3, v2
	ds_bpermute_b32 v3, v3, v1
	s_waitcnt lgkmcnt(1)
	v_add_f32_e32 v2, v2, v7
	s_waitcnt lgkmcnt(0)
	;; [unrolled: 6-line block ×5, first 2 shown]
	v_add_f32_e32 v2, v3, v4
	ds_bpermute_b32 v3, v15, v1
	ds_bpermute_b32 v4, v15, v2
	s_and_b64 exec, exec, s[0:1]
	s_cbranch_execz .LBB223_15
; %bb.14:
	s_waitcnt lgkmcnt(1)
	v_add_f32_e32 v1, v1, v3
	v_add_u32_e32 v3, 6, v0
	v_cmp_eq_u32_e32 vcc, 1, v3
	s_waitcnt lgkmcnt(0)
	v_add_f32_e32 v2, v2, v4
	v_cndmask_b32_e32 v4, v13, v14, vcc
	v_cmp_eq_u32_e32 vcc, 2, v3
	v_cndmask_b32_e32 v4, v4, v12, vcc
	v_cmp_eq_u32_e32 vcc, 3, v3
	;; [unrolled: 2-line block ×5, first 2 shown]
	v_cndmask_b32_e32 v4, v4, v1, vcc
	v_mad_u64_u32 v[0:1], s[0:1], s2, 3, v[0:1]
	v_mov_b32_e32 v1, 0
	v_cmp_eq_u32_e32 vcc, 7, v3
	v_lshlrev_b64 v[0:1], 2, v[0:1]
	v_cndmask_b32_e32 v2, v4, v2, vcc
	v_mov_b32_e32 v3, s5
	v_add_co_u32_e32 v0, vcc, s4, v0
	v_addc_co_u32_e32 v1, vcc, v3, v1, vcc
	global_store_dword v[0:1], v2, off
.LBB223_15:
	s_endpgm
	.section	.rodata,"a",@progbits
	.p2align	6, 0x0
	.amdhsa_kernel _ZL13mul_mat_vec_qIL9ggml_type29ELi4ELb0ELb0EEvPKvS2_PKi31ggml_cuda_mm_fusion_args_devicePfj15HIP_vector_typeIjLj3EEjjjS8_jjjS8_jjjj
		.amdhsa_group_segment_fixed_size 2048
		.amdhsa_private_segment_fixed_size 0
		.amdhsa_kernarg_size 144
		.amdhsa_user_sgpr_count 6
		.amdhsa_user_sgpr_private_segment_buffer 1
		.amdhsa_user_sgpr_dispatch_ptr 0
		.amdhsa_user_sgpr_queue_ptr 0
		.amdhsa_user_sgpr_kernarg_segment_ptr 1
		.amdhsa_user_sgpr_dispatch_id 0
		.amdhsa_user_sgpr_flat_scratch_init 0
		.amdhsa_user_sgpr_private_segment_size 0
		.amdhsa_uses_dynamic_stack 0
		.amdhsa_system_sgpr_private_segment_wavefront_offset 0
		.amdhsa_system_sgpr_workgroup_id_x 1
		.amdhsa_system_sgpr_workgroup_id_y 1
		.amdhsa_system_sgpr_workgroup_id_z 1
		.amdhsa_system_sgpr_workgroup_info 0
		.amdhsa_system_vgpr_workitem_id 1
		.amdhsa_next_free_vgpr 72
		.amdhsa_next_free_sgpr 61
		.amdhsa_reserve_vcc 1
		.amdhsa_reserve_flat_scratch 0
		.amdhsa_float_round_mode_32 0
		.amdhsa_float_round_mode_16_64 0
		.amdhsa_float_denorm_mode_32 3
		.amdhsa_float_denorm_mode_16_64 3
		.amdhsa_dx10_clamp 1
		.amdhsa_ieee_mode 1
		.amdhsa_fp16_overflow 0
		.amdhsa_exception_fp_ieee_invalid_op 0
		.amdhsa_exception_fp_denorm_src 0
		.amdhsa_exception_fp_ieee_div_zero 0
		.amdhsa_exception_fp_ieee_overflow 0
		.amdhsa_exception_fp_ieee_underflow 0
		.amdhsa_exception_fp_ieee_inexact 0
		.amdhsa_exception_int_div_zero 0
	.end_amdhsa_kernel
	.section	.text._ZL13mul_mat_vec_qIL9ggml_type29ELi4ELb0ELb0EEvPKvS2_PKi31ggml_cuda_mm_fusion_args_devicePfj15HIP_vector_typeIjLj3EEjjjS8_jjjS8_jjjj,"axG",@progbits,_ZL13mul_mat_vec_qIL9ggml_type29ELi4ELb0ELb0EEvPKvS2_PKi31ggml_cuda_mm_fusion_args_devicePfj15HIP_vector_typeIjLj3EEjjjS8_jjjS8_jjjj,comdat
.Lfunc_end223:
	.size	_ZL13mul_mat_vec_qIL9ggml_type29ELi4ELb0ELb0EEvPKvS2_PKi31ggml_cuda_mm_fusion_args_devicePfj15HIP_vector_typeIjLj3EEjjjS8_jjjS8_jjjj, .Lfunc_end223-_ZL13mul_mat_vec_qIL9ggml_type29ELi4ELb0ELb0EEvPKvS2_PKi31ggml_cuda_mm_fusion_args_devicePfj15HIP_vector_typeIjLj3EEjjjS8_jjjS8_jjjj
                                        ; -- End function
	.set _ZL13mul_mat_vec_qIL9ggml_type29ELi4ELb0ELb0EEvPKvS2_PKi31ggml_cuda_mm_fusion_args_devicePfj15HIP_vector_typeIjLj3EEjjjS8_jjjS8_jjjj.num_vgpr, 72
	.set _ZL13mul_mat_vec_qIL9ggml_type29ELi4ELb0ELb0EEvPKvS2_PKi31ggml_cuda_mm_fusion_args_devicePfj15HIP_vector_typeIjLj3EEjjjS8_jjjS8_jjjj.num_agpr, 0
	.set _ZL13mul_mat_vec_qIL9ggml_type29ELi4ELb0ELb0EEvPKvS2_PKi31ggml_cuda_mm_fusion_args_devicePfj15HIP_vector_typeIjLj3EEjjjS8_jjjS8_jjjj.numbered_sgpr, 26
	.set _ZL13mul_mat_vec_qIL9ggml_type29ELi4ELb0ELb0EEvPKvS2_PKi31ggml_cuda_mm_fusion_args_devicePfj15HIP_vector_typeIjLj3EEjjjS8_jjjS8_jjjj.num_named_barrier, 0
	.set _ZL13mul_mat_vec_qIL9ggml_type29ELi4ELb0ELb0EEvPKvS2_PKi31ggml_cuda_mm_fusion_args_devicePfj15HIP_vector_typeIjLj3EEjjjS8_jjjS8_jjjj.private_seg_size, 0
	.set _ZL13mul_mat_vec_qIL9ggml_type29ELi4ELb0ELb0EEvPKvS2_PKi31ggml_cuda_mm_fusion_args_devicePfj15HIP_vector_typeIjLj3EEjjjS8_jjjS8_jjjj.uses_vcc, 1
	.set _ZL13mul_mat_vec_qIL9ggml_type29ELi4ELb0ELb0EEvPKvS2_PKi31ggml_cuda_mm_fusion_args_devicePfj15HIP_vector_typeIjLj3EEjjjS8_jjjS8_jjjj.uses_flat_scratch, 0
	.set _ZL13mul_mat_vec_qIL9ggml_type29ELi4ELb0ELb0EEvPKvS2_PKi31ggml_cuda_mm_fusion_args_devicePfj15HIP_vector_typeIjLj3EEjjjS8_jjjS8_jjjj.has_dyn_sized_stack, 0
	.set _ZL13mul_mat_vec_qIL9ggml_type29ELi4ELb0ELb0EEvPKvS2_PKi31ggml_cuda_mm_fusion_args_devicePfj15HIP_vector_typeIjLj3EEjjjS8_jjjS8_jjjj.has_recursion, 0
	.set _ZL13mul_mat_vec_qIL9ggml_type29ELi4ELb0ELb0EEvPKvS2_PKi31ggml_cuda_mm_fusion_args_devicePfj15HIP_vector_typeIjLj3EEjjjS8_jjjS8_jjjj.has_indirect_call, 0
	.section	.AMDGPU.csdata,"",@progbits
; Kernel info:
; codeLenInByte = 4536
; TotalNumSgprs: 30
; NumVgprs: 72
; ScratchSize: 0
; MemoryBound: 0
; FloatMode: 240
; IeeeMode: 1
; LDSByteSize: 2048 bytes/workgroup (compile time only)
; SGPRBlocks: 8
; VGPRBlocks: 17
; NumSGPRsForWavesPerEU: 65
; NumVGPRsForWavesPerEU: 72
; Occupancy: 3
; WaveLimiterHint : 0
; COMPUTE_PGM_RSRC2:SCRATCH_EN: 0
; COMPUTE_PGM_RSRC2:USER_SGPR: 6
; COMPUTE_PGM_RSRC2:TRAP_HANDLER: 0
; COMPUTE_PGM_RSRC2:TGID_X_EN: 1
; COMPUTE_PGM_RSRC2:TGID_Y_EN: 1
; COMPUTE_PGM_RSRC2:TGID_Z_EN: 1
; COMPUTE_PGM_RSRC2:TIDIG_COMP_CNT: 1
	.section	.text._ZL13mul_mat_vec_qIL9ggml_type29ELi5ELb0ELb0EEvPKvS2_PKi31ggml_cuda_mm_fusion_args_devicePfj15HIP_vector_typeIjLj3EEjjjS8_jjjS8_jjjj,"axG",@progbits,_ZL13mul_mat_vec_qIL9ggml_type29ELi5ELb0ELb0EEvPKvS2_PKi31ggml_cuda_mm_fusion_args_devicePfj15HIP_vector_typeIjLj3EEjjjS8_jjjS8_jjjj,comdat
	.globl	_ZL13mul_mat_vec_qIL9ggml_type29ELi5ELb0ELb0EEvPKvS2_PKi31ggml_cuda_mm_fusion_args_devicePfj15HIP_vector_typeIjLj3EEjjjS8_jjjS8_jjjj ; -- Begin function _ZL13mul_mat_vec_qIL9ggml_type29ELi5ELb0ELb0EEvPKvS2_PKi31ggml_cuda_mm_fusion_args_devicePfj15HIP_vector_typeIjLj3EEjjjS8_jjjS8_jjjj
	.p2align	8
	.type	_ZL13mul_mat_vec_qIL9ggml_type29ELi5ELb0ELb0EEvPKvS2_PKi31ggml_cuda_mm_fusion_args_devicePfj15HIP_vector_typeIjLj3EEjjjS8_jjjS8_jjjj,@function
_ZL13mul_mat_vec_qIL9ggml_type29ELi5ELb0ELb0EEvPKvS2_PKi31ggml_cuda_mm_fusion_args_devicePfj15HIP_vector_typeIjLj3EEjjjS8_jjjS8_jjjj: ; @_ZL13mul_mat_vec_qIL9ggml_type29ELi5ELb0ELb0EEvPKvS2_PKi31ggml_cuda_mm_fusion_args_devicePfj15HIP_vector_typeIjLj3EEjjjS8_jjjS8_jjjj
; %bb.0:
	s_load_dword s9, s[4:5], 0x40
	s_load_dwordx4 s[0:3], s[4:5], 0x50
	s_load_dword s25, s[4:5], 0x60
	s_load_dwordx4 s[12:15], s[4:5], 0x68
	;; [unrolled: 2-line block ×3, first 2 shown]
	v_lshl_or_b32 v2, v1, 6, v0
	s_waitcnt lgkmcnt(0)
	s_lshr_b32 s9, s9, 8
	v_lshrrev_b32_e32 v14, 3, v2
	v_mov_b32_e32 v7, 0
	s_lshl_b32 s6, s6, 1
	v_cmp_gt_u32_e32 vcc, s9, v14
	v_mov_b32_e32 v6, v7
	v_mov_b32_e32 v8, v7
	;; [unrolled: 1-line block ×9, first 2 shown]
	s_and_saveexec_b64 s[10:11], vcc
	s_cbranch_execz .LBB224_4
; %bb.1:
	s_mul_hi_u32 s3, s3, s7
	s_add_i32 s3, s7, s3
	s_load_dwordx4 s[20:23], s[4:5], 0x0
	s_lshr_b32 s3, s3, s25
	s_mul_i32 s3, s3, s12
	s_mul_hi_u32 s12, s15, s8
	s_add_i32 s12, s8, s12
	s_lshr_b32 s12, s12, s24
	s_mul_i32 s19, s17, s8
	s_mul_i32 s15, s12, s16
	;; [unrolled: 1-line block ×3, first 2 shown]
	s_mul_hi_u32 s12, s19, 36
	s_waitcnt lgkmcnt(0)
	s_add_u32 s16, s22, s16
	s_addc_u32 s17, s23, s12
	s_mul_i32 s12, s13, s7
	s_mul_hi_u32 s13, s12, 36
	s_mul_i32 s12, s12, 36
	s_add_u32 s16, s16, s12
	v_and_b32_e32 v4, 1, v0
	s_addc_u32 s17, s17, s13
	v_and_b32_e32 v7, 7, v0
	v_cmp_eq_u32_e32 vcc, 1, v4
	s_add_i32 s24, s15, s3
	v_mad_u64_u32 v[2:3], s[16:17], v7, 36, s[16:17]
	v_cndmask_b32_e64 v4, 0, 6, vcc
	s_mov_b32 s3, 0x5040100
	v_perm_b32 v18, v4, v4, s3
	s_add_i32 s16, s6, 1
	v_mov_b32_e32 v4, s12
	s_mul_i32 s15, s6, s0
	s_mul_i32 s0, s0, s16
	s_movk_i32 s16, 0x120
	v_mov_b32_e32 v5, s13
	v_mad_u64_u32 v[4:5], s[12:13], v14, s16, v[4:5]
	v_mov_b32_e32 v9, s23
	v_mov_b32_e32 v6, 0
	v_mad_u64_u32 v[4:5], s[12:13], s19, 36, v[4:5]
	v_bfe_u32 v8, v0, 1, 2
	v_lshlrev_b32_e32 v17, 1, v7
	v_mad_u64_u32 v[4:5], s[12:13], v7, 36, v[4:5]
	s_add_i32 s15, s24, s15
	s_add_i32 s0, s24, s0
	v_add_co_u32_e32 v4, vcc, s22, v4
	v_addc_co_u32_e32 v5, vcc, v9, v5, vcc
	v_add_co_u32_e32 v4, vcc, 16, v4
	v_lshlrev_b32_e32 v19, 3, v14
	s_lshl_b32 s19, s1, 2
	s_mul_i32 s24, s1, 3
	s_lshl_b32 s25, s1, 1
	v_addc_co_u32_e32 v5, vcc, 0, v5, vcc
	s_mov_b64 s[12:13], 0
	s_mov_b32 s22, 0x1010101
	v_lshlrev_b32_e32 v20, 2, v7
	s_movk_i32 s23, 0x700
	v_lshlrev_b32_e32 v21, 1, v8
	s_mov_b32 s26, 0x7060302
	s_mov_b32 s27, 0xf000f0
	v_mov_b32_e32 v22, 8
	v_mov_b32_e32 v23, 4
	;; [unrolled: 1-line block ×12, first 2 shown]
.LBB224_2:                              ; =>This Inner Loop Header: Depth=1
	global_load_dwordx4 v[25:28], v[4:5], off offset:-16
	global_load_dword v45, v[4:5], off offset:16
	global_load_dwordx4 v[29:32], v[4:5], off
	v_add_u32_e32 v33, s15, v14
	s_waitcnt vmcnt(2)
	v_dot4_i32_i8 v34, v26, s22, 0
	v_dot4_i32_i8 v34, v27, s22, v34
	v_cvt_f32_i32_e32 v57, v34
	v_dot4_i32_i8 v34, v28, s22, 0
	s_waitcnt vmcnt(0)
	v_dot4_i32_i8 v34, v29, s22, v34
	v_cvt_f32_i32_e32 v58, v34
	v_dot4_i32_i8 v34, v30, s22, 0
	v_dot4_i32_i8 v34, v31, s22, v34
	v_cvt_f32_i32_e32 v59, v34
	v_dot4_i32_i8 v34, v32, s22, 0
	v_dot4_i32_i8 v34, v45, s22, v34
	v_cvt_f32_i32_e32 v60, v34
	v_mad_i64_i32 v[33:34], s[16:17], v33, 56, s[20:21]
	v_cvt_f32_f16_e32 v61, v25
	s_getpc_b64 s[16:17]
	s_add_u32 s16, s16, _ZL13iq1s_grid_gpu@rel32@lo+4
	s_addc_u32 s17, s17, _ZL13iq1s_grid_gpu@rel32@hi+12
	v_add_co_u32_e32 v35, vcc, v33, v20
	v_addc_co_u32_e32 v36, vcc, 0, v34, vcc
	global_load_dword v25, v[35:36], off
	v_add_co_u32_e32 v35, vcc, v33, v17
	v_addc_co_u32_e32 v36, vcc, 0, v34, vcc
	global_load_ushort v35, v[35:36], off offset:32
	s_waitcnt vmcnt(1)
	v_and_b32_e32 v36, 0xff, v25
	v_bfe_u32 v39, v25, 8, 8
	v_lshrrev_b32_e32 v43, 24, v25
	v_bfe_u32 v25, v25, 16, 8
	s_waitcnt vmcnt(0)
	v_lshlrev_b32_e32 v37, 8, v35
	v_and_or_b32 v36, v37, s23, v36
	v_lshlrev_b32_e32 v36, 2, v36
	v_lshlrev_b32_e32 v40, 4, v35
	global_load_dword v36, v36, s[16:17]
	v_and_or_b32 v39, v40, s23, v39
	v_lshlrev_b32_e32 v39, 2, v39
	global_load_dword v39, v39, s[16:17]
	v_and_b32_e32 v46, 8, v35
	v_bfe_u32 v62, v35, 4, 4
	v_and_b32_sdwa v64, v35, v22 dst_sel:DWORD dst_unused:UNUSED_PAD src0_sel:BYTE_1 src1_sel:DWORD
	v_lshrrev_b32_sdwa v65, v23, v35 dst_sel:DWORD dst_unused:UNUSED_PAD src0_sel:DWORD src1_sel:BYTE_1
	s_waitcnt vmcnt(1)
	v_and_b32_e32 v37, 0xf0f0f0f, v36
	v_lshrrev_b32_e32 v36, 4, v36
	v_and_b32_e32 v38, 0xf0f0f0f, v36
	v_dot4_i32_i8 v36, v37, v26, 0
	v_dot4_i32_i8 v36, v38, v27, v36
	s_waitcnt vmcnt(0)
	v_and_b32_e32 v40, 0xf0f0f0f, v39
	v_lshrrev_b32_e32 v39, 4, v39
	v_and_b32_e32 v42, 0xf0f0f0f, v39
	v_dot4_i32_i8 v36, v40, v28, v36
	v_dot4_i32_i8 v63, v42, v29, v36
	v_lshlrev_b32_sdwa v36, v22, v35 dst_sel:DWORD dst_unused:UNUSED_PAD src0_sel:DWORD src1_sel:BYTE_1
	v_and_or_b32 v25, v36, s23, v25
	v_lshlrev_b32_e32 v25, 2, v25
	v_lshlrev_b32_sdwa v35, v23, v35 dst_sel:DWORD dst_unused:UNUSED_PAD src0_sel:DWORD src1_sel:BYTE_1
	global_load_dword v25, v25, s[16:17]
	v_and_or_b32 v35, v35, s23, v43
	v_lshlrev_b32_e32 v35, 2, v35
	global_load_dword v35, v35, s[16:17]
	s_waitcnt vmcnt(1)
	v_and_b32_e32 v39, 0xf0f0f0f, v25
	v_lshrrev_b32_e32 v25, 4, v25
	v_and_b32_e32 v41, 0xf0f0f0f, v25
	v_dot4_i32_i8 v25, v39, v30, 0
	v_dot4_i32_i8 v25, v41, v31, v25
	s_waitcnt vmcnt(0)
	v_and_b32_e32 v43, 0xf0f0f0f, v35
	v_lshrrev_b32_e32 v35, 4, v35
	v_and_b32_e32 v44, 0xf0f0f0f, v35
	v_dot4_i32_i8 v25, v43, v32, v25
	v_dot4_i32_i8 v66, v44, v45, v25
	v_add_u32_e32 v25, s0, v14
	v_mad_i64_i32 v[55:56], s[28:29], v25, 56, s[20:21]
	v_add_co_u32_e32 v35, vcc, v33, v21
	v_addc_co_u32_e32 v36, vcc, 0, v34, vcc
	global_load_ushort v67, v[35:36], off offset:48
	v_add_co_u32_e32 v35, vcc, v55, v20
	v_addc_co_u32_e32 v36, vcc, 0, v56, vcc
	global_load_dword v25, v[35:36], off
	v_add_co_u32_e32 v35, vcc, v55, v17
	v_addc_co_u32_e32 v36, vcc, 0, v56, vcc
	global_load_ushort v35, v[35:36], off offset:32
	v_add_u32_e32 v14, 8, v14
	s_waitcnt vmcnt(1)
	v_and_b32_e32 v36, 0xff, v25
	v_lshrrev_b32_e32 v52, 24, v25
	s_waitcnt vmcnt(0)
	v_lshlrev_b32_e32 v47, 8, v35
	v_and_or_b32 v36, v47, s23, v36
	v_lshlrev_b32_e32 v36, 2, v36
	global_load_dword v36, v36, s[16:17]
	v_lshlrev_b32_e32 v49, 4, v35
	v_bfe_u32 v68, v35, 4, 4
	s_waitcnt vmcnt(0)
	v_and_b32_e32 v47, 0xf0f0f0f, v36
	v_lshrrev_b32_e32 v36, 4, v36
	v_and_b32_e32 v48, 0xf0f0f0f, v36
	v_dot4_i32_i8 v26, v47, v26, 0
	v_dot4_i32_i8 v26, v48, v27, v26
	v_bfe_u32 v27, v25, 8, 8
	v_and_or_b32 v27, v49, s23, v27
	v_lshlrev_b32_e32 v27, 2, v27
	global_load_dword v27, v27, s[16:17]
	v_bfe_u32 v25, v25, 16, 8
	v_and_b32_e32 v36, 8, v35
	s_waitcnt vmcnt(0)
	v_and_b32_e32 v49, 0xf0f0f0f, v27
	v_lshrrev_b32_e32 v27, 4, v27
	v_and_b32_e32 v50, 0xf0f0f0f, v27
	v_dot4_i32_i8 v26, v49, v28, v26
	v_dot4_i32_i8 v29, v50, v29, v26
	v_lshlrev_b32_sdwa v26, v22, v35 dst_sel:DWORD dst_unused:UNUSED_PAD src0_sel:DWORD src1_sel:BYTE_1
	v_and_or_b32 v25, v26, s23, v25
	v_lshlrev_b32_e32 v25, 2, v25
	v_lshlrev_b32_sdwa v26, v23, v35 dst_sel:DWORD dst_unused:UNUSED_PAD src0_sel:DWORD src1_sel:BYTE_1
	global_load_dword v25, v25, s[16:17]
	v_and_or_b32 v26, v26, s23, v52
	v_lshlrev_b32_e32 v26, 2, v26
	global_load_dword v26, v26, s[16:17]
	s_waitcnt vmcnt(1)
	v_and_b32_e32 v51, 0xf0f0f0f, v25
	v_lshrrev_b32_e32 v25, 4, v25
	v_and_b32_e32 v53, 0xf0f0f0f, v25
	v_dot4_i32_i8 v25, v51, v30, 0
	v_dot4_i32_i8 v25, v53, v31, v25
	s_waitcnt vmcnt(0)
	v_and_b32_e32 v52, 0xf0f0f0f, v26
	v_lshrrev_b32_e32 v26, 4, v26
	v_and_b32_e32 v54, 0xf0f0f0f, v26
	v_dot4_i32_i8 v25, v52, v32, v25
	v_dot4_i32_i8 v69, v54, v45, v25
	v_add_co_u32_e32 v25, vcc, v55, v21
	v_addc_co_u32_e32 v26, vcc, 0, v56, vcc
	global_load_ushort v70, v[25:26], off offset:48
	global_load_dwordx2 v[27:28], v[33:34], off offset:48
	v_cvt_f32_ubyte0_e32 v25, v46
	v_cvt_f32_ubyte0_e32 v26, v36
	v_mov_b32_e32 v45, 0xbf600000
	v_mov_b32_e32 v46, 0xbf600000
	v_fmac_f32_e32 v45, 0xbd000000, v26
	v_fmac_f32_e32 v46, 0xbd000000, v25
	v_and_b32_e32 v25, 8, v68
	v_and_b32_e32 v26, 8, v62
	v_and_b32_sdwa v30, v35, v22 dst_sel:DWORD dst_unused:UNUSED_PAD src0_sel:BYTE_1 src1_sel:DWORD
	v_lshrrev_b32_sdwa v31, v23, v35 dst_sel:DWORD dst_unused:UNUSED_PAD src0_sel:DWORD src1_sel:BYTE_1
	v_cvt_f32_ubyte0_e32 v25, v25
	v_cvt_f32_ubyte0_e32 v26, v26
	v_mov_b32_e32 v35, 0xbf600000
	v_mov_b32_e32 v36, 0xbf600000
	v_fmac_f32_e32 v35, 0xbd000000, v26
	v_fmac_f32_e32 v36, 0xbd000000, v25
	v_cvt_f32_ubyte0_e32 v25, v30
	v_cvt_f32_ubyte0_e32 v26, v64
	v_mov_b32_e32 v33, 0xbf600000
	v_mov_b32_e32 v34, 0xbf600000
	v_fmac_f32_e32 v33, 0xbd000000, v26
	v_fmac_f32_e32 v34, 0xbd000000, v25
	v_and_b32_e32 v25, 8, v31
	v_and_b32_e32 v26, 8, v65
	v_cvt_f32_ubyte0_e32 v26, v26
	v_cvt_f32_ubyte0_e32 v25, v25
	v_mov_b32_e32 v30, 0xbf600000
	v_mov_b32_e32 v32, 0xbf600000
	v_fmac_f32_e32 v30, 0xbd000000, v25
	v_fmac_f32_e32 v32, 0xbd000000, v26
	global_load_dwordx2 v[25:26], v[55:56], off offset:48
	v_fma_f32 v71, v46, v57, 0
	v_fma_f32 v57, v45, v57, 0
	v_fmac_f32_e32 v57, v36, v58
	v_fmac_f32_e32 v71, v35, v58
	v_fma_f32 v58, v34, v59, 0
	v_fma_f32 v59, v33, v59, 0
	v_fmac_f32_e32 v59, v32, v60
	v_fmac_f32_e32 v58, v30, v60
	v_add_co_u32_e32 v4, vcc, 0x900, v4
	v_addc_co_u32_e32 v5, vcc, 0, v5, vcc
	v_cmp_le_u32_e32 vcc, s9, v14
	s_or_b64 s[12:13], vcc, s[12:13]
	s_waitcnt vmcnt(0)
	v_perm_b32 v31, v25, v27, s3
	v_perm_b32 v25, v25, v27, s26
	;; [unrolled: 1-line block ×3, first 2 shown]
	v_pk_lshrrev_b16 v31, 12, v31 op_sel_hi:[0,1]
	v_pk_lshrrev_b16 v25, 8, v25 op_sel_hi:[0,1]
	v_pk_lshrrev_b16 v27, 4, v27 op_sel_hi:[0,1]
	v_perm_b32 v26, v26, v28, s26
	v_and_or_b32 v25, v25, s27, v31
	v_and_b32_e32 v27, 0xf000f00, v27
	v_and_b32_e32 v26, 0xf000f000, v26
	v_or3_b32 v26, v25, v27, v26
	v_cvt_f32_f16_e32 v25, v26
	v_cvt_f32_f16_sdwa v26, v26 dst_sel:DWORD dst_unused:UNUSED_PAD src0_sel:WORD_1
	v_perm_b32 v27, v70, v67, s3
	v_pk_lshrrev_b16 v27, v18, v27
	v_lshlrev_b32_sdwa v28, v24, v27 dst_sel:DWORD dst_unused:UNUSED_PAD src0_sel:DWORD src1_sel:WORD_1
	v_lshlrev_b32_sdwa v31, v24, v27 dst_sel:DWORD dst_unused:UNUSED_PAD src0_sel:DWORD src1_sel:WORD_0
	v_lshrrev_b32_e32 v60, 18, v27
	v_bfe_u32 v27, v27, 2, 14
	v_and_b32_e32 v27, 14, v27
	v_mul_f32_e32 v55, v61, v26
	v_mul_f32_e32 v56, v61, v25
	v_or_b32_e32 v61, 1, v27
	v_cvt_f32_i32_e32 v27, v29
	v_cvt_f32_i32_e32 v29, v63
	v_and_b32_e32 v31, 14, v31
	v_or_b32_e32 v31, 1, v31
	v_add_f32_e32 v57, v57, v27
	v_add_f32_e32 v62, v71, v29
	v_cvt_f32_ubyte0_e32 v27, v31
	v_cvt_f32_i32_e32 v29, v66
	v_cvt_f32_i32_e32 v31, v69
	v_and_b32_e32 v60, 14, v60
	v_and_b32_e32 v28, 14, v28
	v_or_b32_e32 v60, 1, v60
	v_or_b32_e32 v28, 1, v28
	v_add_f32_e32 v58, v58, v31
	v_add_f32_e32 v59, v59, v29
	v_cvt_f32_ubyte0_e32 v29, v60
	v_cvt_f32_ubyte0_e32 v28, v28
	v_mul_f32_e32 v58, v58, v29
	v_fmac_f32_e32 v58, v57, v28
	v_fmac_f32_e32 v15, v55, v58
	v_add_u32_e32 v55, s1, v19
	v_mad_u64_u32 v[63:64], s[16:17], v55, 36, v[2:3]
	v_cvt_f32_ubyte0_e32 v31, v61
	v_mul_f32_e32 v59, v59, v31
	v_fmac_f32_e32 v59, v62, v27
	v_fmac_f32_e32 v16, v56, v59
	global_load_dwordx4 v[55:58], v[63:64], off
	global_load_dword v65, v[63:64], off offset:32
	global_load_dwordx4 v[59:62], v[63:64], off offset:16
	s_waitcnt vmcnt(2)
	v_dot4_i32_i8 v63, v56, s22, 0
	v_dot4_i32_i8 v68, v37, v56, 0
	v_dot4_i32_i8 v56, v47, v56, 0
	v_dot4_i32_i8 v63, v57, s22, v63
	v_dot4_i32_i8 v64, v58, s22, 0
	v_dot4_i32_i8 v56, v48, v57, v56
	v_cvt_f32_i32_e32 v63, v63
	s_waitcnt vmcnt(0)
	v_dot4_i32_i8 v64, v59, s22, v64
	v_dot4_i32_i8 v56, v49, v58, v56
	v_cvt_f32_i32_e32 v64, v64
	v_dot4_i32_i8 v56, v50, v59, v56
	v_dot4_i32_i8 v66, v60, s22, 0
	v_dot4_i32_i8 v68, v38, v57, v68
	v_dot4_i32_i8 v69, v39, v60, 0
	v_cvt_f32_i32_e32 v56, v56
	v_dot4_i32_i8 v66, v61, s22, v66
	v_dot4_i32_i8 v67, v62, s22, 0
	v_dot4_i32_i8 v68, v40, v58, v68
	v_dot4_i32_i8 v69, v41, v61, v69
	v_cvt_f32_i32_e32 v66, v66
	v_dot4_i32_i8 v67, v65, s22, v67
	v_dot4_i32_i8 v68, v42, v59, v68
	v_dot4_i32_i8 v69, v43, v62, v69
	v_fma_f32 v59, v45, v63, 0
	v_cvt_f32_i32_e32 v67, v67
	v_dot4_i32_i8 v69, v44, v65, v69
	v_fmac_f32_e32 v59, v36, v64
	v_add_f32_e32 v56, v59, v56
	v_cvt_f32_i32_e32 v59, v69
	v_dot4_i32_i8 v57, v51, v60, 0
	v_fma_f32 v58, v46, v63, 0
	v_cvt_f32_i32_e32 v63, v68
	v_cvt_f32_f16_e32 v55, v55
	v_dot4_i32_i8 v57, v53, v61, v57
	v_fma_f32 v61, v33, v66, 0
	v_dot4_i32_i8 v57, v52, v62, v57
	v_fmac_f32_e32 v61, v32, v67
	v_dot4_i32_i8 v57, v54, v65, v57
	v_fmac_f32_e32 v58, v35, v64
	v_add_f32_e32 v59, v61, v59
	v_add_f32_e32 v58, v58, v63
	v_cvt_f32_i32_e32 v57, v57
	v_mul_f32_e32 v59, v59, v31
	v_mul_f32_e32 v62, v55, v26
	v_mul_f32_e32 v55, v55, v25
	v_fmac_f32_e32 v59, v58, v27
	v_fma_f32 v60, v34, v66, 0
	v_fmac_f32_e32 v13, v55, v59
	v_add_u32_e32 v55, s25, v19
	v_fmac_f32_e32 v60, v30, v67
	v_mad_u64_u32 v[63:64], s[16:17], v55, 36, v[2:3]
	v_add_f32_e32 v57, v60, v57
	v_mul_f32_e32 v57, v57, v29
	v_fmac_f32_e32 v57, v56, v28
	v_fmac_f32_e32 v12, v62, v57
	global_load_dwordx4 v[55:58], v[63:64], off
	global_load_dword v65, v[63:64], off offset:32
	global_load_dwordx4 v[59:62], v[63:64], off offset:16
	s_waitcnt vmcnt(2)
	v_dot4_i32_i8 v63, v56, s22, 0
	v_dot4_i32_i8 v68, v37, v56, 0
	v_dot4_i32_i8 v56, v47, v56, 0
	v_dot4_i32_i8 v63, v57, s22, v63
	v_dot4_i32_i8 v64, v58, s22, 0
	v_dot4_i32_i8 v56, v48, v57, v56
	v_cvt_f32_i32_e32 v63, v63
	s_waitcnt vmcnt(0)
	v_dot4_i32_i8 v64, v59, s22, v64
	v_dot4_i32_i8 v56, v49, v58, v56
	v_cvt_f32_i32_e32 v64, v64
	v_dot4_i32_i8 v56, v50, v59, v56
	v_dot4_i32_i8 v66, v60, s22, 0
	v_dot4_i32_i8 v68, v38, v57, v68
	v_dot4_i32_i8 v69, v39, v60, 0
	v_cvt_f32_i32_e32 v56, v56
	v_dot4_i32_i8 v66, v61, s22, v66
	v_dot4_i32_i8 v67, v62, s22, 0
	v_dot4_i32_i8 v68, v40, v58, v68
	v_dot4_i32_i8 v69, v41, v61, v69
	v_cvt_f32_i32_e32 v66, v66
	v_dot4_i32_i8 v67, v65, s22, v67
	v_dot4_i32_i8 v68, v42, v59, v68
	v_dot4_i32_i8 v69, v43, v62, v69
	v_fma_f32 v59, v45, v63, 0
	v_cvt_f32_i32_e32 v67, v67
	v_dot4_i32_i8 v69, v44, v65, v69
	v_fmac_f32_e32 v59, v36, v64
	v_add_f32_e32 v56, v59, v56
	v_cvt_f32_i32_e32 v59, v69
	v_dot4_i32_i8 v57, v51, v60, 0
	v_fma_f32 v58, v46, v63, 0
	v_cvt_f32_i32_e32 v63, v68
	v_cvt_f32_f16_e32 v55, v55
	v_dot4_i32_i8 v57, v53, v61, v57
	v_fma_f32 v61, v33, v66, 0
	v_dot4_i32_i8 v57, v52, v62, v57
	v_fmac_f32_e32 v61, v32, v67
	v_dot4_i32_i8 v57, v54, v65, v57
	v_fmac_f32_e32 v58, v35, v64
	v_add_f32_e32 v59, v61, v59
	v_add_f32_e32 v58, v58, v63
	v_cvt_f32_i32_e32 v57, v57
	v_mul_f32_e32 v59, v59, v31
	v_mul_f32_e32 v62, v55, v26
	v_mul_f32_e32 v55, v55, v25
	v_fmac_f32_e32 v59, v58, v27
	v_fma_f32 v60, v34, v66, 0
	v_fmac_f32_e32 v11, v55, v59
	v_add_u32_e32 v55, s24, v19
	v_fmac_f32_e32 v60, v30, v67
	v_mad_u64_u32 v[63:64], s[16:17], v55, 36, v[2:3]
	v_add_f32_e32 v57, v60, v57
	;; [unrolled: 60-line block ×3, first 2 shown]
	v_mul_f32_e32 v57, v57, v29
	v_fmac_f32_e32 v57, v56, v28
	v_fmac_f32_e32 v8, v62, v57
	global_load_dwordx4 v[55:58], v[63:64], off
	global_load_dword v65, v[63:64], off offset:32
	global_load_dwordx4 v[59:62], v[63:64], off offset:16
	v_add_u32_e32 v19, 64, v19
	s_waitcnt vmcnt(2)
	v_dot4_i32_i8 v63, v56, s22, 0
	v_dot4_i32_i8 v63, v57, s22, v63
	v_dot4_i32_i8 v64, v58, s22, 0
	s_waitcnt vmcnt(0)
	v_dot4_i32_i8 v66, v60, s22, 0
	v_dot4_i32_i8 v37, v37, v56, 0
	v_cvt_f32_i32_e32 v63, v63
	v_dot4_i32_i8 v64, v59, s22, v64
	v_dot4_i32_i8 v66, v61, s22, v66
	;; [unrolled: 1-line block ×4, first 2 shown]
	v_cvt_f32_i32_e32 v64, v64
	v_cvt_f32_i32_e32 v66, v66
	v_dot4_i32_i8 v67, v65, s22, v67
	v_dot4_i32_i8 v37, v40, v58, v37
	;; [unrolled: 1-line block ×4, first 2 shown]
	v_cvt_f32_i32_e32 v67, v67
	v_dot4_i32_i8 v38, v41, v61, v38
	v_dot4_i32_i8 v39, v47, v56, 0
	;; [unrolled: 1-line block ×10, first 2 shown]
	v_fma_f32 v41, v46, v63, 0
	v_fma_f32 v42, v45, v63, 0
	v_dot4_i32_i8 v39, v50, v59, v39
	v_fmac_f32_e32 v42, v36, v64
	v_fmac_f32_e32 v41, v35, v64
	v_fma_f32 v34, v34, v66, 0
	v_fma_f32 v33, v33, v66, 0
	v_cvt_f32_i32_e32 v35, v38
	v_cvt_f32_i32_e32 v36, v40
	v_fmac_f32_e32 v33, v32, v67
	v_fmac_f32_e32 v34, v30, v67
	v_cvt_f32_i32_e32 v30, v39
	v_cvt_f32_i32_e32 v32, v37
	v_cvt_f32_f16_e32 v55, v55
	v_add_f32_e32 v34, v34, v36
	v_add_f32_e32 v33, v33, v35
	;; [unrolled: 1-line block ×4, first 2 shown]
	v_mul_f32_e32 v31, v33, v31
	v_mul_f32_e32 v29, v34, v29
	;; [unrolled: 1-line block ×4, first 2 shown]
	v_fmac_f32_e32 v29, v30, v28
	v_fmac_f32_e32 v31, v32, v27
	;; [unrolled: 1-line block ×4, first 2 shown]
	s_andn2_b64 exec, exec, s[12:13]
	s_cbranch_execnz .LBB224_2
; %bb.3:
	s_or_b64 exec, exec, s[12:13]
.LBB224_4:
	s_or_b64 exec, exec, s[10:11]
	s_mov_b32 s1, 0
	v_cmp_eq_u32_e32 vcc, 0, v1
	; wave barrier
	s_and_saveexec_b64 s[10:11], vcc
	s_cbranch_execz .LBB224_15
; %bb.5:
	v_mbcnt_lo_u32_b32 v1, -1, 0
	v_mbcnt_hi_u32_b32 v14, -1, v1
	v_and_b32_e32 v1, 64, v14
	v_add_u32_e32 v17, 64, v1
	v_xor_b32_e32 v1, 32, v14
	v_cmp_lt_i32_e32 vcc, v1, v17
	v_cndmask_b32_e32 v1, v14, v1, vcc
	v_lshlrev_b32_e32 v1, 2, v1
	ds_bpermute_b32 v5, v1, v16
	ds_bpermute_b32 v18, v1, v15
	v_xor_b32_e32 v2, 16, v14
	v_cmp_lt_i32_e32 vcc, v2, v17
	v_cndmask_b32_e32 v2, v14, v2, vcc
	v_lshlrev_b32_e32 v2, 2, v2
	s_waitcnt lgkmcnt(1)
	v_add_f32_e32 v5, v16, v5
	s_waitcnt lgkmcnt(0)
	v_add_f32_e32 v15, v15, v18
	ds_bpermute_b32 v16, v2, v5
	ds_bpermute_b32 v18, v2, v15
	v_xor_b32_e32 v3, 8, v14
	v_cmp_lt_i32_e32 vcc, v3, v17
	v_cndmask_b32_e32 v3, v14, v3, vcc
	v_lshlrev_b32_e32 v3, 2, v3
	s_waitcnt lgkmcnt(1)
	v_add_f32_e32 v16, v5, v16
	s_waitcnt lgkmcnt(0)
	v_add_f32_e32 v15, v15, v18
	;; [unrolled: 10-line block ×3, first 2 shown]
	ds_bpermute_b32 v20, v4, v16
	ds_bpermute_b32 v18, v4, v15
	v_xor_b32_e32 v19, 2, v14
	v_cmp_lt_i32_e32 vcc, v19, v17
	v_cndmask_b32_e32 v19, v14, v19, vcc
	v_lshlrev_b32_e32 v5, 2, v19
	v_xor_b32_e32 v19, 1, v14
	v_cmp_lt_i32_e32 vcc, v19, v17
	s_waitcnt lgkmcnt(1)
	v_add_f32_e32 v17, v16, v20
	s_waitcnt lgkmcnt(0)
	v_add_f32_e32 v15, v15, v18
	v_cndmask_b32_e32 v14, v14, v19, vcc
	ds_bpermute_b32 v19, v5, v17
	ds_bpermute_b32 v18, v5, v15
	s_load_dwordx2 s[4:5], s[4:5], 0x38
	s_mul_i32 s3, s14, s7
	v_lshlrev_b32_e32 v16, 2, v14
	s_waitcnt lgkmcnt(0)
	v_add_f32_e32 v14, v17, v19
	v_add_f32_e32 v15, v15, v18
	s_mul_i32 s0, s18, s8
	s_add_i32 s3, s3, s6
	ds_bpermute_b32 v17, v16, v14
	ds_bpermute_b32 v18, v16, v15
	s_add_i32 s0, s3, s0
	s_lshl_b64 s[0:1], s[0:1], 2
	s_add_u32 s4, s4, s0
	v_add_u32_e32 v19, s6, v0
	s_addc_u32 s5, s5, s1
	v_cmp_gt_u32_e32 vcc, 2, v0
	v_cmp_gt_u32_e64 s[0:1], s2, v19
	s_and_b64 s[0:1], vcc, s[0:1]
	s_waitcnt lgkmcnt(1)
	v_add_f32_e32 v14, v14, v17
	s_waitcnt lgkmcnt(0)
	v_add_f32_e32 v15, v15, v18
	s_and_saveexec_b64 s[6:7], s[0:1]
	s_cbranch_execz .LBB224_7
; %bb.6:
	v_cmp_eq_u32_e32 vcc, 1, v0
	v_cndmask_b32_e32 v17, v14, v15, vcc
	v_cmp_eq_u32_e32 vcc, 2, v0
	v_cndmask_b32_e32 v17, v17, v13, vcc
	;; [unrolled: 2-line block ×9, first 2 shown]
	v_lshlrev_b32_e32 v18, 2, v0
	global_store_dword v18, v17, s[4:5]
.LBB224_7:
	s_or_b64 exec, exec, s[6:7]
	ds_bpermute_b32 v17, v1, v13
	ds_bpermute_b32 v18, v1, v12
	s_waitcnt lgkmcnt(1)
	v_add_f32_e32 v13, v13, v17
	s_waitcnt lgkmcnt(0)
	v_add_f32_e32 v12, v12, v18
	ds_bpermute_b32 v17, v2, v13
	ds_bpermute_b32 v18, v2, v12
	s_waitcnt lgkmcnt(1)
	v_add_f32_e32 v13, v13, v17
	s_waitcnt lgkmcnt(0)
	v_add_f32_e32 v12, v12, v18
	;; [unrolled: 6-line block ×6, first 2 shown]
	s_and_saveexec_b64 s[6:7], s[0:1]
	s_cbranch_execz .LBB224_9
; %bb.8:
	v_add_u32_e32 v17, 2, v0
	v_cmp_eq_u32_e32 vcc, 1, v17
	v_cndmask_b32_e32 v18, v14, v15, vcc
	v_cmp_eq_u32_e32 vcc, 2, v17
	v_cndmask_b32_e32 v18, v18, v13, vcc
	;; [unrolled: 2-line block ×9, first 2 shown]
	v_add_u32_e32 v17, s2, v0
	v_mov_b32_e32 v18, 0
	v_lshlrev_b64 v[17:18], 2, v[17:18]
	v_mov_b32_e32 v20, s5
	v_add_co_u32_e32 v17, vcc, s4, v17
	v_addc_co_u32_e32 v18, vcc, v20, v18, vcc
	global_store_dword v[17:18], v19, off
.LBB224_9:
	s_or_b64 exec, exec, s[6:7]
	ds_bpermute_b32 v17, v1, v11
	ds_bpermute_b32 v18, v1, v10
	s_waitcnt lgkmcnt(1)
	v_add_f32_e32 v11, v11, v17
	s_waitcnt lgkmcnt(0)
	v_add_f32_e32 v10, v10, v18
	ds_bpermute_b32 v17, v2, v11
	ds_bpermute_b32 v18, v2, v10
	s_waitcnt lgkmcnt(1)
	v_add_f32_e32 v11, v11, v17
	s_waitcnt lgkmcnt(0)
	v_add_f32_e32 v10, v10, v18
	;; [unrolled: 6-line block ×6, first 2 shown]
	s_and_saveexec_b64 s[6:7], s[0:1]
	s_cbranch_execz .LBB224_11
; %bb.10:
	v_add_u32_e32 v17, 4, v0
	v_cmp_eq_u32_e32 vcc, 1, v17
	v_cndmask_b32_e32 v18, v14, v15, vcc
	v_cmp_eq_u32_e32 vcc, 2, v17
	v_cndmask_b32_e32 v18, v18, v13, vcc
	;; [unrolled: 2-line block ×9, first 2 shown]
	v_lshl_or_b32 v17, s2, 1, v0
	v_mov_b32_e32 v18, 0
	v_lshlrev_b64 v[17:18], 2, v[17:18]
	v_mov_b32_e32 v20, s5
	v_add_co_u32_e32 v17, vcc, s4, v17
	v_addc_co_u32_e32 v18, vcc, v20, v18, vcc
	global_store_dword v[17:18], v19, off
.LBB224_11:
	s_or_b64 exec, exec, s[6:7]
	ds_bpermute_b32 v17, v1, v9
	ds_bpermute_b32 v18, v1, v8
	s_waitcnt lgkmcnt(1)
	v_add_f32_e32 v9, v9, v17
	s_waitcnt lgkmcnt(0)
	v_add_f32_e32 v8, v8, v18
	ds_bpermute_b32 v17, v2, v9
	ds_bpermute_b32 v18, v2, v8
	s_waitcnt lgkmcnt(1)
	v_add_f32_e32 v9, v9, v17
	s_waitcnt lgkmcnt(0)
	v_add_f32_e32 v8, v8, v18
	;; [unrolled: 6-line block ×6, first 2 shown]
	s_and_saveexec_b64 s[6:7], s[0:1]
	s_cbranch_execz .LBB224_13
; %bb.12:
	v_add_u32_e32 v19, 6, v0
	v_cmp_eq_u32_e32 vcc, 1, v19
	v_cndmask_b32_e32 v17, v14, v15, vcc
	v_cmp_eq_u32_e32 vcc, 2, v19
	v_cndmask_b32_e32 v17, v17, v13, vcc
	;; [unrolled: 2-line block ×8, first 2 shown]
	v_mad_u64_u32 v[17:18], s[8:9], s2, 3, v[0:1]
	v_mov_b32_e32 v18, 0
	v_cmp_eq_u32_e32 vcc, 9, v19
	v_lshlrev_b64 v[17:18], 2, v[17:18]
	v_cndmask_b32_e32 v19, v20, v7, vcc
	v_mov_b32_e32 v20, s5
	v_add_co_u32_e32 v17, vcc, s4, v17
	v_addc_co_u32_e32 v18, vcc, v20, v18, vcc
	global_store_dword v[17:18], v19, off
.LBB224_13:
	s_or_b64 exec, exec, s[6:7]
	ds_bpermute_b32 v17, v1, v6
	ds_bpermute_b32 v1, v1, v7
	s_waitcnt lgkmcnt(1)
	v_add_f32_e32 v6, v6, v17
	s_waitcnt lgkmcnt(0)
	v_add_f32_e32 v1, v7, v1
	ds_bpermute_b32 v7, v2, v6
	ds_bpermute_b32 v2, v2, v1
	s_waitcnt lgkmcnt(1)
	v_add_f32_e32 v6, v6, v7
	s_waitcnt lgkmcnt(0)
	v_add_f32_e32 v1, v1, v2
	;; [unrolled: 6-line block ×5, first 2 shown]
	ds_bpermute_b32 v3, v16, v1
	ds_bpermute_b32 v4, v16, v2
	s_and_b64 exec, exec, s[0:1]
	s_cbranch_execz .LBB224_15
; %bb.14:
	s_waitcnt lgkmcnt(1)
	v_add_f32_e32 v1, v1, v3
	v_add_u32_e32 v3, 8, v0
	v_cmp_eq_u32_e32 vcc, 1, v3
	s_waitcnt lgkmcnt(0)
	v_add_f32_e32 v2, v2, v4
	v_cndmask_b32_e32 v4, v14, v15, vcc
	v_cmp_eq_u32_e32 vcc, 2, v3
	v_cndmask_b32_e32 v4, v4, v13, vcc
	v_cmp_eq_u32_e32 vcc, 3, v3
	;; [unrolled: 2-line block ×8, first 2 shown]
	v_cndmask_b32_e32 v2, v1, v2, vcc
	v_lshl_or_b32 v0, s2, 2, v0
	v_mov_b32_e32 v1, 0
	v_lshlrev_b64 v[0:1], 2, v[0:1]
	v_mov_b32_e32 v3, s5
	v_add_co_u32_e32 v0, vcc, s4, v0
	v_addc_co_u32_e32 v1, vcc, v3, v1, vcc
	global_store_dword v[0:1], v2, off
.LBB224_15:
	s_endpgm
	.section	.rodata,"a",@progbits
	.p2align	6, 0x0
	.amdhsa_kernel _ZL13mul_mat_vec_qIL9ggml_type29ELi5ELb0ELb0EEvPKvS2_PKi31ggml_cuda_mm_fusion_args_devicePfj15HIP_vector_typeIjLj3EEjjjS8_jjjS8_jjjj
		.amdhsa_group_segment_fixed_size 0
		.amdhsa_private_segment_fixed_size 0
		.amdhsa_kernarg_size 144
		.amdhsa_user_sgpr_count 6
		.amdhsa_user_sgpr_private_segment_buffer 1
		.amdhsa_user_sgpr_dispatch_ptr 0
		.amdhsa_user_sgpr_queue_ptr 0
		.amdhsa_user_sgpr_kernarg_segment_ptr 1
		.amdhsa_user_sgpr_dispatch_id 0
		.amdhsa_user_sgpr_flat_scratch_init 0
		.amdhsa_user_sgpr_private_segment_size 0
		.amdhsa_uses_dynamic_stack 0
		.amdhsa_system_sgpr_private_segment_wavefront_offset 0
		.amdhsa_system_sgpr_workgroup_id_x 1
		.amdhsa_system_sgpr_workgroup_id_y 1
		.amdhsa_system_sgpr_workgroup_id_z 1
		.amdhsa_system_sgpr_workgroup_info 0
		.amdhsa_system_vgpr_workitem_id 1
		.amdhsa_next_free_vgpr 72
		.amdhsa_next_free_sgpr 30
		.amdhsa_reserve_vcc 1
		.amdhsa_reserve_flat_scratch 0
		.amdhsa_float_round_mode_32 0
		.amdhsa_float_round_mode_16_64 0
		.amdhsa_float_denorm_mode_32 3
		.amdhsa_float_denorm_mode_16_64 3
		.amdhsa_dx10_clamp 1
		.amdhsa_ieee_mode 1
		.amdhsa_fp16_overflow 0
		.amdhsa_exception_fp_ieee_invalid_op 0
		.amdhsa_exception_fp_denorm_src 0
		.amdhsa_exception_fp_ieee_div_zero 0
		.amdhsa_exception_fp_ieee_overflow 0
		.amdhsa_exception_fp_ieee_underflow 0
		.amdhsa_exception_fp_ieee_inexact 0
		.amdhsa_exception_int_div_zero 0
	.end_amdhsa_kernel
	.section	.text._ZL13mul_mat_vec_qIL9ggml_type29ELi5ELb0ELb0EEvPKvS2_PKi31ggml_cuda_mm_fusion_args_devicePfj15HIP_vector_typeIjLj3EEjjjS8_jjjS8_jjjj,"axG",@progbits,_ZL13mul_mat_vec_qIL9ggml_type29ELi5ELb0ELb0EEvPKvS2_PKi31ggml_cuda_mm_fusion_args_devicePfj15HIP_vector_typeIjLj3EEjjjS8_jjjS8_jjjj,comdat
.Lfunc_end224:
	.size	_ZL13mul_mat_vec_qIL9ggml_type29ELi5ELb0ELb0EEvPKvS2_PKi31ggml_cuda_mm_fusion_args_devicePfj15HIP_vector_typeIjLj3EEjjjS8_jjjS8_jjjj, .Lfunc_end224-_ZL13mul_mat_vec_qIL9ggml_type29ELi5ELb0ELb0EEvPKvS2_PKi31ggml_cuda_mm_fusion_args_devicePfj15HIP_vector_typeIjLj3EEjjjS8_jjjS8_jjjj
                                        ; -- End function
	.set _ZL13mul_mat_vec_qIL9ggml_type29ELi5ELb0ELb0EEvPKvS2_PKi31ggml_cuda_mm_fusion_args_devicePfj15HIP_vector_typeIjLj3EEjjjS8_jjjS8_jjjj.num_vgpr, 72
	.set _ZL13mul_mat_vec_qIL9ggml_type29ELi5ELb0ELb0EEvPKvS2_PKi31ggml_cuda_mm_fusion_args_devicePfj15HIP_vector_typeIjLj3EEjjjS8_jjjS8_jjjj.num_agpr, 0
	.set _ZL13mul_mat_vec_qIL9ggml_type29ELi5ELb0ELb0EEvPKvS2_PKi31ggml_cuda_mm_fusion_args_devicePfj15HIP_vector_typeIjLj3EEjjjS8_jjjS8_jjjj.numbered_sgpr, 30
	.set _ZL13mul_mat_vec_qIL9ggml_type29ELi5ELb0ELb0EEvPKvS2_PKi31ggml_cuda_mm_fusion_args_devicePfj15HIP_vector_typeIjLj3EEjjjS8_jjjS8_jjjj.num_named_barrier, 0
	.set _ZL13mul_mat_vec_qIL9ggml_type29ELi5ELb0ELb0EEvPKvS2_PKi31ggml_cuda_mm_fusion_args_devicePfj15HIP_vector_typeIjLj3EEjjjS8_jjjS8_jjjj.private_seg_size, 0
	.set _ZL13mul_mat_vec_qIL9ggml_type29ELi5ELb0ELb0EEvPKvS2_PKi31ggml_cuda_mm_fusion_args_devicePfj15HIP_vector_typeIjLj3EEjjjS8_jjjS8_jjjj.uses_vcc, 1
	.set _ZL13mul_mat_vec_qIL9ggml_type29ELi5ELb0ELb0EEvPKvS2_PKi31ggml_cuda_mm_fusion_args_devicePfj15HIP_vector_typeIjLj3EEjjjS8_jjjS8_jjjj.uses_flat_scratch, 0
	.set _ZL13mul_mat_vec_qIL9ggml_type29ELi5ELb0ELb0EEvPKvS2_PKi31ggml_cuda_mm_fusion_args_devicePfj15HIP_vector_typeIjLj3EEjjjS8_jjjS8_jjjj.has_dyn_sized_stack, 0
	.set _ZL13mul_mat_vec_qIL9ggml_type29ELi5ELb0ELb0EEvPKvS2_PKi31ggml_cuda_mm_fusion_args_devicePfj15HIP_vector_typeIjLj3EEjjjS8_jjjS8_jjjj.has_recursion, 0
	.set _ZL13mul_mat_vec_qIL9ggml_type29ELi5ELb0ELb0EEvPKvS2_PKi31ggml_cuda_mm_fusion_args_devicePfj15HIP_vector_typeIjLj3EEjjjS8_jjjS8_jjjj.has_indirect_call, 0
	.section	.AMDGPU.csdata,"",@progbits
; Kernel info:
; codeLenInByte = 5132
; TotalNumSgprs: 34
; NumVgprs: 72
; ScratchSize: 0
; MemoryBound: 0
; FloatMode: 240
; IeeeMode: 1
; LDSByteSize: 0 bytes/workgroup (compile time only)
; SGPRBlocks: 4
; VGPRBlocks: 17
; NumSGPRsForWavesPerEU: 34
; NumVGPRsForWavesPerEU: 72
; Occupancy: 3
; WaveLimiterHint : 0
; COMPUTE_PGM_RSRC2:SCRATCH_EN: 0
; COMPUTE_PGM_RSRC2:USER_SGPR: 6
; COMPUTE_PGM_RSRC2:TRAP_HANDLER: 0
; COMPUTE_PGM_RSRC2:TGID_X_EN: 1
; COMPUTE_PGM_RSRC2:TGID_Y_EN: 1
; COMPUTE_PGM_RSRC2:TGID_Z_EN: 1
; COMPUTE_PGM_RSRC2:TIDIG_COMP_CNT: 1
	.section	.text._ZL13mul_mat_vec_qIL9ggml_type29ELi6ELb0ELb0EEvPKvS2_PKi31ggml_cuda_mm_fusion_args_devicePfj15HIP_vector_typeIjLj3EEjjjS8_jjjS8_jjjj,"axG",@progbits,_ZL13mul_mat_vec_qIL9ggml_type29ELi6ELb0ELb0EEvPKvS2_PKi31ggml_cuda_mm_fusion_args_devicePfj15HIP_vector_typeIjLj3EEjjjS8_jjjS8_jjjj,comdat
	.globl	_ZL13mul_mat_vec_qIL9ggml_type29ELi6ELb0ELb0EEvPKvS2_PKi31ggml_cuda_mm_fusion_args_devicePfj15HIP_vector_typeIjLj3EEjjjS8_jjjS8_jjjj ; -- Begin function _ZL13mul_mat_vec_qIL9ggml_type29ELi6ELb0ELb0EEvPKvS2_PKi31ggml_cuda_mm_fusion_args_devicePfj15HIP_vector_typeIjLj3EEjjjS8_jjjS8_jjjj
	.p2align	8
	.type	_ZL13mul_mat_vec_qIL9ggml_type29ELi6ELb0ELb0EEvPKvS2_PKi31ggml_cuda_mm_fusion_args_devicePfj15HIP_vector_typeIjLj3EEjjjS8_jjjS8_jjjj,@function
_ZL13mul_mat_vec_qIL9ggml_type29ELi6ELb0ELb0EEvPKvS2_PKi31ggml_cuda_mm_fusion_args_devicePfj15HIP_vector_typeIjLj3EEjjjS8_jjjS8_jjjj: ; @_ZL13mul_mat_vec_qIL9ggml_type29ELi6ELb0ELb0EEvPKvS2_PKi31ggml_cuda_mm_fusion_args_devicePfj15HIP_vector_typeIjLj3EEjjjS8_jjjS8_jjjj
; %bb.0:
	s_load_dword s9, s[4:5], 0x40
	s_load_dwordx4 s[0:3], s[4:5], 0x50
	s_load_dword s25, s[4:5], 0x60
	s_load_dwordx4 s[12:15], s[4:5], 0x68
	;; [unrolled: 2-line block ×3, first 2 shown]
	v_lshl_or_b32 v2, v1, 6, v0
	s_waitcnt lgkmcnt(0)
	s_lshr_b32 s9, s9, 8
	v_lshrrev_b32_e32 v16, 3, v2
	v_mov_b32_e32 v7, 0
	s_lshl_b32 s6, s6, 1
	v_cmp_gt_u32_e32 vcc, s9, v16
	v_mov_b32_e32 v6, v7
	v_mov_b32_e32 v8, v7
	;; [unrolled: 1-line block ×11, first 2 shown]
	s_and_saveexec_b64 s[10:11], vcc
	s_cbranch_execz .LBB225_4
; %bb.1:
	s_mul_hi_u32 s3, s3, s7
	s_add_i32 s3, s7, s3
	s_load_dwordx4 s[20:23], s[4:5], 0x0
	s_lshr_b32 s3, s3, s25
	s_mul_i32 s3, s3, s12
	s_mul_hi_u32 s12, s15, s8
	s_add_i32 s12, s8, s12
	s_lshr_b32 s12, s12, s24
	s_mul_i32 s24, s17, s8
	s_mul_i32 s15, s12, s16
	;; [unrolled: 1-line block ×3, first 2 shown]
	s_mul_hi_u32 s12, s24, 36
	s_waitcnt lgkmcnt(0)
	s_add_u32 s16, s22, s16
	s_addc_u32 s17, s23, s12
	s_mul_i32 s12, s13, s7
	s_mul_hi_u32 s13, s12, 36
	s_mul_i32 s12, s12, 36
	s_add_u32 s16, s16, s12
	v_and_b32_e32 v4, 1, v0
	s_addc_u32 s17, s17, s13
	v_and_b32_e32 v7, 7, v0
	v_cmp_eq_u32_e32 vcc, 1, v4
	s_add_i32 s19, s15, s3
	v_mad_u64_u32 v[2:3], s[16:17], v7, 36, s[16:17]
	v_cndmask_b32_e64 v4, 0, 6, vcc
	s_mov_b32 s3, 0x5040100
	v_perm_b32 v20, v4, v4, s3
	s_add_i32 s16, s6, 1
	v_mov_b32_e32 v4, s12
	s_mul_i32 s15, s6, s0
	s_mul_i32 s0, s0, s16
	s_movk_i32 s16, 0x120
	v_mov_b32_e32 v5, s13
	v_mad_u64_u32 v[4:5], s[12:13], v16, s16, v[4:5]
	v_mov_b32_e32 v9, s23
	v_mov_b32_e32 v6, 0
	v_mad_u64_u32 v[4:5], s[12:13], s24, 36, v[4:5]
	v_bfe_u32 v8, v0, 1, 2
	v_lshlrev_b32_e32 v19, 1, v7
	v_mad_u64_u32 v[4:5], s[12:13], v7, 36, v[4:5]
	s_add_i32 s15, s19, s15
	s_add_i32 s0, s19, s0
	v_add_co_u32_e32 v4, vcc, s22, v4
	v_addc_co_u32_e32 v5, vcc, v9, v5, vcc
	v_add_co_u32_e32 v4, vcc, 16, v4
	v_lshlrev_b32_e32 v21, 3, v16
	s_mul_i32 s19, s1, 5
	s_lshl_b32 s24, s1, 2
	s_mul_i32 s25, s1, 3
	s_lshl_b32 s26, s1, 1
	v_addc_co_u32_e32 v5, vcc, 0, v5, vcc
	s_mov_b64 s[12:13], 0
	s_mov_b32 s22, 0x1010101
	v_lshlrev_b32_e32 v22, 2, v7
	s_movk_i32 s23, 0x700
	v_lshlrev_b32_e32 v23, 1, v8
	s_mov_b32 s27, 0x7060302
	s_mov_b32 s28, 0xf000f0
	v_mov_b32_e32 v24, 8
	v_mov_b32_e32 v25, 4
	;; [unrolled: 1-line block ×14, first 2 shown]
.LBB225_2:                              ; =>This Inner Loop Header: Depth=1
	global_load_dwordx4 v[27:30], v[4:5], off offset:-16
	global_load_dword v45, v[4:5], off offset:16
	global_load_dwordx4 v[31:34], v[4:5], off
	v_add_u32_e32 v35, s15, v16
	s_waitcnt vmcnt(2)
	v_dot4_i32_i8 v36, v28, s22, 0
	v_dot4_i32_i8 v36, v29, s22, v36
	v_cvt_f32_i32_e32 v59, v36
	v_dot4_i32_i8 v36, v30, s22, 0
	s_waitcnt vmcnt(0)
	v_dot4_i32_i8 v36, v31, s22, v36
	v_cvt_f32_i32_e32 v60, v36
	v_dot4_i32_i8 v36, v32, s22, 0
	v_dot4_i32_i8 v36, v33, s22, v36
	v_cvt_f32_i32_e32 v61, v36
	v_dot4_i32_i8 v36, v34, s22, 0
	v_dot4_i32_i8 v36, v45, s22, v36
	v_cvt_f32_i32_e32 v62, v36
	v_mad_i64_i32 v[35:36], s[16:17], v35, 56, s[20:21]
	v_cvt_f32_f16_e32 v63, v27
	s_getpc_b64 s[16:17]
	s_add_u32 s16, s16, _ZL13iq1s_grid_gpu@rel32@lo+4
	s_addc_u32 s17, s17, _ZL13iq1s_grid_gpu@rel32@hi+12
	v_add_co_u32_e32 v37, vcc, v35, v22
	v_addc_co_u32_e32 v38, vcc, 0, v36, vcc
	global_load_dword v27, v[37:38], off
	v_add_co_u32_e32 v37, vcc, v35, v19
	v_addc_co_u32_e32 v38, vcc, 0, v36, vcc
	global_load_ushort v37, v[37:38], off offset:32
	s_waitcnt vmcnt(1)
	v_and_b32_e32 v38, 0xff, v27
	v_bfe_u32 v41, v27, 8, 8
	v_lshrrev_b32_e32 v46, 24, v27
	v_bfe_u32 v27, v27, 16, 8
	s_waitcnt vmcnt(0)
	v_lshlrev_b32_e32 v39, 8, v37
	v_and_or_b32 v38, v39, s23, v38
	v_lshlrev_b32_e32 v38, 2, v38
	v_lshlrev_b32_e32 v42, 4, v37
	global_load_dword v38, v38, s[16:17]
	v_and_or_b32 v41, v42, s23, v41
	v_lshlrev_b32_e32 v41, 2, v41
	global_load_dword v42, v41, s[16:17]
	v_and_b32_e32 v64, 8, v37
	v_bfe_u32 v65, v37, 4, 4
	v_and_b32_sdwa v67, v37, v24 dst_sel:DWORD dst_unused:UNUSED_PAD src0_sel:BYTE_1 src1_sel:DWORD
	v_lshrrev_b32_sdwa v68, v25, v37 dst_sel:DWORD dst_unused:UNUSED_PAD src0_sel:DWORD src1_sel:BYTE_1
	s_waitcnt vmcnt(1)
	v_and_b32_e32 v39, 0xf0f0f0f, v38
	v_lshrrev_b32_e32 v38, 4, v38
	v_and_b32_e32 v40, 0xf0f0f0f, v38
	v_dot4_i32_i8 v38, v39, v28, 0
	v_dot4_i32_i8 v38, v40, v29, v38
	s_waitcnt vmcnt(0)
	v_and_b32_e32 v41, 0xf0f0f0f, v42
	v_lshrrev_b32_e32 v42, 4, v42
	v_and_b32_e32 v42, 0xf0f0f0f, v42
	v_dot4_i32_i8 v38, v41, v30, v38
	v_dot4_i32_i8 v66, v42, v31, v38
	v_lshlrev_b32_sdwa v38, v24, v37 dst_sel:DWORD dst_unused:UNUSED_PAD src0_sel:DWORD src1_sel:BYTE_1
	v_and_or_b32 v27, v38, s23, v27
	v_lshlrev_b32_e32 v27, 2, v27
	v_lshlrev_b32_sdwa v37, v25, v37 dst_sel:DWORD dst_unused:UNUSED_PAD src0_sel:DWORD src1_sel:BYTE_1
	global_load_dword v27, v27, s[16:17]
	v_and_or_b32 v37, v37, s23, v46
	v_lshlrev_b32_e32 v37, 2, v37
	global_load_dword v37, v37, s[16:17]
	s_waitcnt vmcnt(1)
	v_and_b32_e32 v43, 0xf0f0f0f, v27
	v_lshrrev_b32_e32 v27, 4, v27
	v_and_b32_e32 v44, 0xf0f0f0f, v27
	v_dot4_i32_i8 v27, v43, v32, 0
	v_dot4_i32_i8 v27, v44, v33, v27
	s_waitcnt vmcnt(0)
	v_and_b32_e32 v47, 0xf0f0f0f, v37
	v_lshrrev_b32_e32 v37, 4, v37
	v_and_b32_e32 v48, 0xf0f0f0f, v37
	v_dot4_i32_i8 v27, v47, v34, v27
	v_dot4_i32_i8 v69, v48, v45, v27
	v_add_u32_e32 v27, s0, v16
	v_mad_i64_i32 v[57:58], s[30:31], v27, 56, s[20:21]
	v_add_co_u32_e32 v37, vcc, v35, v23
	v_addc_co_u32_e32 v38, vcc, 0, v36, vcc
	global_load_ushort v70, v[37:38], off offset:48
	v_add_co_u32_e32 v37, vcc, v57, v22
	v_addc_co_u32_e32 v38, vcc, 0, v58, vcc
	global_load_dword v27, v[37:38], off
	v_add_co_u32_e32 v37, vcc, v57, v19
	v_addc_co_u32_e32 v38, vcc, 0, v58, vcc
	global_load_ushort v37, v[37:38], off offset:32
	v_add_u32_e32 v16, 8, v16
	s_waitcnt vmcnt(1)
	v_and_b32_e32 v38, 0xff, v27
	v_lshrrev_b32_e32 v46, 24, v27
	s_waitcnt vmcnt(0)
	v_lshlrev_b32_e32 v49, 8, v37
	v_and_or_b32 v38, v49, s23, v38
	v_lshlrev_b32_e32 v38, 2, v38
	global_load_dword v38, v38, s[16:17]
	v_lshlrev_b32_e32 v51, 4, v37
	v_bfe_u32 v71, v37, 4, 4
	s_waitcnt vmcnt(0)
	v_and_b32_e32 v49, 0xf0f0f0f, v38
	v_lshrrev_b32_e32 v38, 4, v38
	v_and_b32_e32 v50, 0xf0f0f0f, v38
	v_dot4_i32_i8 v28, v49, v28, 0
	v_dot4_i32_i8 v28, v50, v29, v28
	v_bfe_u32 v29, v27, 8, 8
	v_and_or_b32 v29, v51, s23, v29
	v_lshlrev_b32_e32 v29, 2, v29
	global_load_dword v29, v29, s[16:17]
	v_bfe_u32 v27, v27, 16, 8
	v_and_b32_e32 v38, 8, v37
	s_waitcnt vmcnt(0)
	v_and_b32_e32 v51, 0xf0f0f0f, v29
	v_lshrrev_b32_e32 v29, 4, v29
	v_and_b32_e32 v52, 0xf0f0f0f, v29
	v_dot4_i32_i8 v28, v51, v30, v28
	v_dot4_i32_i8 v31, v52, v31, v28
	v_lshlrev_b32_sdwa v28, v24, v37 dst_sel:DWORD dst_unused:UNUSED_PAD src0_sel:DWORD src1_sel:BYTE_1
	v_and_or_b32 v27, v28, s23, v27
	v_lshlrev_b32_e32 v27, 2, v27
	v_lshlrev_b32_sdwa v28, v25, v37 dst_sel:DWORD dst_unused:UNUSED_PAD src0_sel:DWORD src1_sel:BYTE_1
	global_load_dword v27, v27, s[16:17]
	v_and_or_b32 v28, v28, s23, v46
	v_lshlrev_b32_e32 v28, 2, v28
	global_load_dword v28, v28, s[16:17]
	v_mov_b32_e32 v46, 0xbf600000
	s_waitcnt vmcnt(1)
	v_and_b32_e32 v53, 0xf0f0f0f, v27
	v_lshrrev_b32_e32 v27, 4, v27
	v_and_b32_e32 v55, 0xf0f0f0f, v27
	v_dot4_i32_i8 v27, v53, v32, 0
	v_dot4_i32_i8 v27, v55, v33, v27
	s_waitcnt vmcnt(0)
	v_and_b32_e32 v54, 0xf0f0f0f, v28
	v_lshrrev_b32_e32 v28, 4, v28
	v_and_b32_e32 v56, 0xf0f0f0f, v28
	v_dot4_i32_i8 v27, v54, v34, v27
	v_dot4_i32_i8 v72, v56, v45, v27
	v_add_co_u32_e32 v27, vcc, v57, v23
	v_addc_co_u32_e32 v28, vcc, 0, v58, vcc
	global_load_ushort v73, v[27:28], off offset:48
	global_load_dwordx2 v[29:30], v[35:36], off offset:48
	v_cvt_f32_ubyte0_e32 v27, v64
	v_cvt_f32_ubyte0_e32 v28, v38
	v_mov_b32_e32 v45, 0xbf600000
	v_fmac_f32_e32 v45, 0xbd000000, v28
	v_fmac_f32_e32 v46, 0xbd000000, v27
	v_and_b32_e32 v27, 8, v71
	v_and_b32_e32 v28, 8, v65
	v_and_b32_sdwa v32, v37, v24 dst_sel:DWORD dst_unused:UNUSED_PAD src0_sel:BYTE_1 src1_sel:DWORD
	v_lshrrev_b32_sdwa v33, v25, v37 dst_sel:DWORD dst_unused:UNUSED_PAD src0_sel:DWORD src1_sel:BYTE_1
	v_cvt_f32_ubyte0_e32 v27, v27
	v_cvt_f32_ubyte0_e32 v28, v28
	v_mov_b32_e32 v37, 0xbf600000
	v_mov_b32_e32 v38, 0xbf600000
	v_fmac_f32_e32 v37, 0xbd000000, v28
	v_fmac_f32_e32 v38, 0xbd000000, v27
	v_cvt_f32_ubyte0_e32 v27, v32
	v_cvt_f32_ubyte0_e32 v28, v67
	v_mov_b32_e32 v35, 0xbf600000
	v_mov_b32_e32 v36, 0xbf600000
	v_fmac_f32_e32 v35, 0xbd000000, v28
	v_fmac_f32_e32 v36, 0xbd000000, v27
	v_and_b32_e32 v27, 8, v33
	v_and_b32_e32 v28, 8, v68
	v_cvt_f32_ubyte0_e32 v28, v28
	v_cvt_f32_ubyte0_e32 v27, v27
	v_mov_b32_e32 v33, 0xbf600000
	v_mov_b32_e32 v34, 0xbf600000
	v_fmac_f32_e32 v33, 0xbd000000, v27
	v_fmac_f32_e32 v34, 0xbd000000, v28
	global_load_dwordx2 v[27:28], v[57:58], off offset:48
	v_fma_f32 v64, v46, v59, 0
	v_fma_f32 v59, v45, v59, 0
	v_fmac_f32_e32 v59, v38, v60
	v_fmac_f32_e32 v64, v37, v60
	v_fma_f32 v32, v36, v61, 0
	v_fma_f32 v60, v35, v61, 0
	v_fmac_f32_e32 v60, v34, v62
	v_fmac_f32_e32 v32, v33, v62
	v_add_co_u32_e32 v4, vcc, 0x900, v4
	v_addc_co_u32_e32 v5, vcc, 0, v5, vcc
	v_cmp_le_u32_e32 vcc, s9, v16
	s_or_b64 s[12:13], vcc, s[12:13]
	s_waitcnt vmcnt(0)
	v_perm_b32 v57, v27, v29, s3
	v_perm_b32 v27, v27, v29, s27
	;; [unrolled: 1-line block ×3, first 2 shown]
	v_pk_lshrrev_b16 v57, 12, v57 op_sel_hi:[0,1]
	v_pk_lshrrev_b16 v27, 8, v27 op_sel_hi:[0,1]
	;; [unrolled: 1-line block ×3, first 2 shown]
	v_perm_b32 v28, v28, v30, s27
	v_and_or_b32 v27, v27, s28, v57
	v_and_b32_e32 v29, 0xf000f00, v29
	v_and_b32_e32 v28, 0xf000f000, v28
	v_or3_b32 v28, v27, v29, v28
	v_cvt_f32_f16_e32 v27, v28
	v_cvt_f32_f16_sdwa v28, v28 dst_sel:DWORD dst_unused:UNUSED_PAD src0_sel:WORD_1
	v_perm_b32 v29, v73, v70, s3
	v_pk_lshrrev_b16 v29, v20, v29
	v_lshlrev_b32_sdwa v30, v26, v29 dst_sel:DWORD dst_unused:UNUSED_PAD src0_sel:DWORD src1_sel:WORD_1
	v_lshlrev_b32_sdwa v61, v26, v29 dst_sel:DWORD dst_unused:UNUSED_PAD src0_sel:DWORD src1_sel:WORD_0
	v_lshrrev_b32_e32 v62, 18, v29
	v_bfe_u32 v29, v29, 2, 14
	v_and_b32_e32 v29, 14, v29
	v_mul_f32_e32 v57, v63, v28
	v_mul_f32_e32 v58, v63, v27
	v_or_b32_e32 v63, 1, v29
	v_cvt_f32_i32_e32 v29, v31
	v_cvt_f32_i32_e32 v31, v66
	v_and_b32_e32 v61, 14, v61
	v_or_b32_e32 v61, 1, v61
	v_add_f32_e32 v59, v59, v29
	v_add_f32_e32 v64, v64, v31
	v_cvt_f32_ubyte0_e32 v29, v61
	v_cvt_f32_i32_e32 v31, v69
	v_cvt_f32_i32_e32 v61, v72
	v_and_b32_e32 v62, 14, v62
	v_and_b32_e32 v30, 14, v30
	v_or_b32_e32 v62, 1, v62
	v_or_b32_e32 v30, 1, v30
	v_add_f32_e32 v61, v32, v61
	v_add_f32_e32 v60, v60, v31
	v_cvt_f32_ubyte0_e32 v31, v62
	v_cvt_f32_ubyte0_e32 v30, v30
	v_mul_f32_e32 v61, v61, v31
	v_fmac_f32_e32 v61, v59, v30
	v_fmac_f32_e32 v17, v57, v61
	v_add_u32_e32 v57, s1, v21
	v_mad_u64_u32 v[65:66], s[16:17], v57, 36, v[2:3]
	v_cvt_f32_ubyte0_e32 v32, v63
	v_mul_f32_e32 v60, v60, v32
	v_fmac_f32_e32 v60, v64, v29
	v_fmac_f32_e32 v18, v58, v60
	global_load_dwordx4 v[57:60], v[65:66], off
	global_load_dword v67, v[65:66], off offset:32
	global_load_dwordx4 v[61:64], v[65:66], off offset:16
	s_waitcnt vmcnt(2)
	v_dot4_i32_i8 v65, v58, s22, 0
	v_dot4_i32_i8 v70, v39, v58, 0
	v_dot4_i32_i8 v58, v49, v58, 0
	v_dot4_i32_i8 v65, v59, s22, v65
	v_dot4_i32_i8 v66, v60, s22, 0
	v_dot4_i32_i8 v58, v50, v59, v58
	v_cvt_f32_i32_e32 v65, v65
	s_waitcnt vmcnt(0)
	v_dot4_i32_i8 v66, v61, s22, v66
	v_dot4_i32_i8 v58, v51, v60, v58
	v_cvt_f32_i32_e32 v66, v66
	v_dot4_i32_i8 v58, v52, v61, v58
	v_dot4_i32_i8 v68, v62, s22, 0
	v_dot4_i32_i8 v70, v40, v59, v70
	v_dot4_i32_i8 v71, v43, v62, 0
	v_cvt_f32_i32_e32 v58, v58
	v_dot4_i32_i8 v68, v63, s22, v68
	v_dot4_i32_i8 v69, v64, s22, 0
	v_dot4_i32_i8 v70, v41, v60, v70
	v_dot4_i32_i8 v71, v44, v63, v71
	v_cvt_f32_i32_e32 v68, v68
	v_dot4_i32_i8 v69, v67, s22, v69
	v_dot4_i32_i8 v70, v42, v61, v70
	v_dot4_i32_i8 v71, v47, v64, v71
	v_fma_f32 v61, v45, v65, 0
	v_cvt_f32_i32_e32 v69, v69
	v_dot4_i32_i8 v71, v48, v67, v71
	v_fmac_f32_e32 v61, v38, v66
	v_add_f32_e32 v58, v61, v58
	v_cvt_f32_i32_e32 v61, v71
	v_dot4_i32_i8 v59, v53, v62, 0
	v_fma_f32 v60, v46, v65, 0
	v_cvt_f32_i32_e32 v65, v70
	v_cvt_f32_f16_e32 v57, v57
	v_dot4_i32_i8 v59, v55, v63, v59
	v_fma_f32 v63, v35, v68, 0
	v_dot4_i32_i8 v59, v54, v64, v59
	v_fmac_f32_e32 v63, v34, v69
	v_dot4_i32_i8 v59, v56, v67, v59
	v_fmac_f32_e32 v60, v37, v66
	v_add_f32_e32 v61, v63, v61
	v_add_f32_e32 v60, v60, v65
	v_cvt_f32_i32_e32 v59, v59
	v_mul_f32_e32 v61, v61, v32
	v_mul_f32_e32 v64, v57, v28
	v_mul_f32_e32 v57, v57, v27
	v_fmac_f32_e32 v61, v60, v29
	v_fma_f32 v62, v36, v68, 0
	v_fmac_f32_e32 v15, v57, v61
	v_add_u32_e32 v57, s26, v21
	v_fmac_f32_e32 v62, v33, v69
	v_mad_u64_u32 v[65:66], s[16:17], v57, 36, v[2:3]
	v_add_f32_e32 v59, v62, v59
	v_mul_f32_e32 v59, v59, v31
	v_fmac_f32_e32 v59, v58, v30
	v_fmac_f32_e32 v14, v64, v59
	global_load_dwordx4 v[57:60], v[65:66], off
	global_load_dword v67, v[65:66], off offset:32
	global_load_dwordx4 v[61:64], v[65:66], off offset:16
	s_waitcnt vmcnt(2)
	v_dot4_i32_i8 v65, v58, s22, 0
	v_dot4_i32_i8 v70, v39, v58, 0
	v_dot4_i32_i8 v58, v49, v58, 0
	v_dot4_i32_i8 v65, v59, s22, v65
	v_dot4_i32_i8 v66, v60, s22, 0
	v_dot4_i32_i8 v58, v50, v59, v58
	v_cvt_f32_i32_e32 v65, v65
	s_waitcnt vmcnt(0)
	v_dot4_i32_i8 v66, v61, s22, v66
	v_dot4_i32_i8 v58, v51, v60, v58
	v_cvt_f32_i32_e32 v66, v66
	v_dot4_i32_i8 v58, v52, v61, v58
	v_dot4_i32_i8 v68, v62, s22, 0
	v_dot4_i32_i8 v70, v40, v59, v70
	v_dot4_i32_i8 v71, v43, v62, 0
	v_cvt_f32_i32_e32 v58, v58
	v_dot4_i32_i8 v68, v63, s22, v68
	v_dot4_i32_i8 v69, v64, s22, 0
	v_dot4_i32_i8 v70, v41, v60, v70
	v_dot4_i32_i8 v71, v44, v63, v71
	v_cvt_f32_i32_e32 v68, v68
	v_dot4_i32_i8 v69, v67, s22, v69
	v_dot4_i32_i8 v70, v42, v61, v70
	v_dot4_i32_i8 v71, v47, v64, v71
	v_fma_f32 v61, v45, v65, 0
	v_cvt_f32_i32_e32 v69, v69
	v_dot4_i32_i8 v71, v48, v67, v71
	v_fmac_f32_e32 v61, v38, v66
	v_add_f32_e32 v58, v61, v58
	v_cvt_f32_i32_e32 v61, v71
	v_dot4_i32_i8 v59, v53, v62, 0
	v_fma_f32 v60, v46, v65, 0
	v_cvt_f32_i32_e32 v65, v70
	v_cvt_f32_f16_e32 v57, v57
	v_dot4_i32_i8 v59, v55, v63, v59
	v_fma_f32 v63, v35, v68, 0
	v_dot4_i32_i8 v59, v54, v64, v59
	v_fmac_f32_e32 v63, v34, v69
	v_dot4_i32_i8 v59, v56, v67, v59
	v_fmac_f32_e32 v60, v37, v66
	v_add_f32_e32 v61, v63, v61
	v_add_f32_e32 v60, v60, v65
	v_cvt_f32_i32_e32 v59, v59
	v_mul_f32_e32 v61, v61, v32
	v_mul_f32_e32 v64, v57, v28
	v_mul_f32_e32 v57, v57, v27
	v_fmac_f32_e32 v61, v60, v29
	v_fma_f32 v62, v36, v68, 0
	v_fmac_f32_e32 v13, v57, v61
	v_add_u32_e32 v57, s25, v21
	v_fmac_f32_e32 v62, v33, v69
	v_mad_u64_u32 v[65:66], s[16:17], v57, 36, v[2:3]
	v_add_f32_e32 v59, v62, v59
	;; [unrolled: 60-line block ×4, first 2 shown]
	v_mul_f32_e32 v59, v59, v31
	v_fmac_f32_e32 v59, v58, v30
	v_fmac_f32_e32 v8, v64, v59
	global_load_dwordx4 v[57:60], v[65:66], off
	global_load_dword v67, v[65:66], off offset:32
	global_load_dwordx4 v[61:64], v[65:66], off offset:16
	v_add_u32_e32 v21, 64, v21
	s_waitcnt vmcnt(2)
	v_dot4_i32_i8 v65, v58, s22, 0
	v_dot4_i32_i8 v39, v39, v58, 0
	;; [unrolled: 1-line block ×4, first 2 shown]
	s_waitcnt vmcnt(0)
	v_dot4_i32_i8 v68, v62, s22, 0
	v_dot4_i32_i8 v39, v40, v59, v39
	v_cvt_f32_i32_e32 v65, v65
	v_dot4_i32_i8 v66, v61, s22, v66
	v_dot4_i32_i8 v68, v63, s22, v68
	v_dot4_i32_i8 v69, v64, s22, 0
	v_dot4_i32_i8 v39, v41, v60, v39
	v_cvt_f32_i32_e32 v66, v66
	v_cvt_f32_i32_e32 v68, v68
	v_dot4_i32_i8 v69, v67, s22, v69
	v_dot4_i32_i8 v39, v42, v61, v39
	;; [unrolled: 1-line block ×4, first 2 shown]
	v_cvt_f32_i32_e32 v69, v69
	v_dot4_i32_i8 v40, v44, v63, v40
	v_dot4_i32_i8 v41, v49, v58, 0
	;; [unrolled: 1-line block ×9, first 2 shown]
	v_fma_f32 v43, v46, v65, 0
	v_fma_f32 v44, v45, v65, 0
	v_dot4_i32_i8 v41, v52, v61, v41
	v_fmac_f32_e32 v44, v38, v66
	v_fmac_f32_e32 v43, v37, v66
	v_fma_f32 v36, v36, v68, 0
	v_fma_f32 v35, v35, v68, 0
	v_cvt_f32_i32_e32 v37, v40
	v_cvt_f32_i32_e32 v38, v42
	v_fmac_f32_e32 v35, v34, v69
	v_fmac_f32_e32 v36, v33, v69
	v_cvt_f32_i32_e32 v33, v41
	v_cvt_f32_i32_e32 v34, v39
	v_cvt_f32_f16_e32 v57, v57
	v_add_f32_e32 v36, v36, v38
	v_add_f32_e32 v35, v35, v37
	;; [unrolled: 1-line block ×4, first 2 shown]
	v_mul_f32_e32 v32, v35, v32
	v_mul_f32_e32 v31, v36, v31
	;; [unrolled: 1-line block ×4, first 2 shown]
	v_fmac_f32_e32 v31, v33, v30
	v_fmac_f32_e32 v32, v34, v29
	;; [unrolled: 1-line block ×4, first 2 shown]
	s_andn2_b64 exec, exec, s[12:13]
	s_cbranch_execnz .LBB225_2
; %bb.3:
	s_or_b64 exec, exec, s[12:13]
.LBB225_4:
	s_or_b64 exec, exec, s[10:11]
	s_mov_b32 s1, 0
	v_cmp_eq_u32_e32 vcc, 0, v1
	; wave barrier
	s_and_saveexec_b64 s[10:11], vcc
	s_cbranch_execz .LBB225_17
; %bb.5:
	v_mbcnt_lo_u32_b32 v1, -1, 0
	v_mbcnt_hi_u32_b32 v16, -1, v1
	v_and_b32_e32 v1, 64, v16
	v_add_u32_e32 v19, 64, v1
	v_xor_b32_e32 v1, 32, v16
	v_cmp_lt_i32_e32 vcc, v1, v19
	v_cndmask_b32_e32 v1, v16, v1, vcc
	v_lshlrev_b32_e32 v1, 2, v1
	ds_bpermute_b32 v5, v1, v18
	ds_bpermute_b32 v20, v1, v17
	v_xor_b32_e32 v2, 16, v16
	v_cmp_lt_i32_e32 vcc, v2, v19
	v_cndmask_b32_e32 v2, v16, v2, vcc
	v_lshlrev_b32_e32 v2, 2, v2
	s_waitcnt lgkmcnt(1)
	v_add_f32_e32 v5, v18, v5
	s_waitcnt lgkmcnt(0)
	v_add_f32_e32 v17, v17, v20
	ds_bpermute_b32 v18, v2, v5
	ds_bpermute_b32 v20, v2, v17
	v_xor_b32_e32 v3, 8, v16
	v_cmp_lt_i32_e32 vcc, v3, v19
	v_cndmask_b32_e32 v3, v16, v3, vcc
	v_lshlrev_b32_e32 v3, 2, v3
	s_waitcnt lgkmcnt(1)
	v_add_f32_e32 v18, v5, v18
	s_waitcnt lgkmcnt(0)
	v_add_f32_e32 v17, v17, v20
	;; [unrolled: 10-line block ×3, first 2 shown]
	ds_bpermute_b32 v22, v4, v18
	ds_bpermute_b32 v20, v4, v17
	v_xor_b32_e32 v21, 2, v16
	v_cmp_lt_i32_e32 vcc, v21, v19
	v_cndmask_b32_e32 v21, v16, v21, vcc
	v_lshlrev_b32_e32 v5, 2, v21
	v_xor_b32_e32 v21, 1, v16
	v_cmp_lt_i32_e32 vcc, v21, v19
	s_waitcnt lgkmcnt(1)
	v_add_f32_e32 v19, v18, v22
	s_waitcnt lgkmcnt(0)
	v_add_f32_e32 v17, v17, v20
	v_cndmask_b32_e32 v16, v16, v21, vcc
	ds_bpermute_b32 v21, v5, v19
	ds_bpermute_b32 v20, v5, v17
	s_load_dwordx2 s[4:5], s[4:5], 0x38
	s_mul_i32 s3, s14, s7
	v_lshlrev_b32_e32 v18, 2, v16
	s_waitcnt lgkmcnt(0)
	v_add_f32_e32 v16, v19, v21
	v_add_f32_e32 v17, v17, v20
	s_mul_i32 s0, s18, s8
	s_add_i32 s3, s3, s6
	ds_bpermute_b32 v19, v18, v16
	ds_bpermute_b32 v20, v18, v17
	s_add_i32 s0, s3, s0
	s_lshl_b64 s[0:1], s[0:1], 2
	s_add_u32 s4, s4, s0
	v_add_u32_e32 v21, s6, v0
	s_addc_u32 s5, s5, s1
	v_cmp_gt_u32_e32 vcc, 2, v0
	v_cmp_gt_u32_e64 s[0:1], s2, v21
	s_and_b64 s[0:1], vcc, s[0:1]
	s_waitcnt lgkmcnt(1)
	v_add_f32_e32 v16, v16, v19
	s_waitcnt lgkmcnt(0)
	v_add_f32_e32 v17, v17, v20
	s_and_saveexec_b64 s[6:7], s[0:1]
	s_cbranch_execz .LBB225_7
; %bb.6:
	v_cmp_eq_u32_e32 vcc, 1, v0
	v_cndmask_b32_e32 v19, v16, v17, vcc
	v_cmp_eq_u32_e32 vcc, 2, v0
	v_cndmask_b32_e32 v19, v19, v15, vcc
	;; [unrolled: 2-line block ×11, first 2 shown]
	v_lshlrev_b32_e32 v20, 2, v0
	global_store_dword v20, v19, s[4:5]
.LBB225_7:
	s_or_b64 exec, exec, s[6:7]
	ds_bpermute_b32 v19, v1, v15
	ds_bpermute_b32 v20, v1, v14
	s_waitcnt lgkmcnt(1)
	v_add_f32_e32 v15, v15, v19
	s_waitcnt lgkmcnt(0)
	v_add_f32_e32 v14, v14, v20
	ds_bpermute_b32 v19, v2, v15
	ds_bpermute_b32 v20, v2, v14
	s_waitcnt lgkmcnt(1)
	v_add_f32_e32 v15, v15, v19
	s_waitcnt lgkmcnt(0)
	v_add_f32_e32 v14, v14, v20
	;; [unrolled: 6-line block ×6, first 2 shown]
	s_and_saveexec_b64 s[6:7], s[0:1]
	s_cbranch_execz .LBB225_9
; %bb.8:
	v_add_u32_e32 v19, 2, v0
	v_cmp_eq_u32_e32 vcc, 1, v19
	v_cndmask_b32_e32 v20, v16, v17, vcc
	v_cmp_eq_u32_e32 vcc, 2, v19
	v_cndmask_b32_e32 v20, v20, v15, vcc
	;; [unrolled: 2-line block ×11, first 2 shown]
	v_add_u32_e32 v19, s2, v0
	v_mov_b32_e32 v20, 0
	v_lshlrev_b64 v[19:20], 2, v[19:20]
	v_mov_b32_e32 v22, s5
	v_add_co_u32_e32 v19, vcc, s4, v19
	v_addc_co_u32_e32 v20, vcc, v22, v20, vcc
	global_store_dword v[19:20], v21, off
.LBB225_9:
	s_or_b64 exec, exec, s[6:7]
	ds_bpermute_b32 v19, v1, v13
	ds_bpermute_b32 v20, v1, v12
	s_waitcnt lgkmcnt(1)
	v_add_f32_e32 v13, v13, v19
	s_waitcnt lgkmcnt(0)
	v_add_f32_e32 v12, v12, v20
	ds_bpermute_b32 v19, v2, v13
	ds_bpermute_b32 v20, v2, v12
	s_waitcnt lgkmcnt(1)
	v_add_f32_e32 v13, v13, v19
	s_waitcnt lgkmcnt(0)
	v_add_f32_e32 v12, v12, v20
	;; [unrolled: 6-line block ×6, first 2 shown]
	s_and_saveexec_b64 s[6:7], s[0:1]
	s_cbranch_execz .LBB225_11
; %bb.10:
	v_add_u32_e32 v19, 4, v0
	v_cmp_eq_u32_e32 vcc, 1, v19
	v_cndmask_b32_e32 v20, v16, v17, vcc
	v_cmp_eq_u32_e32 vcc, 2, v19
	v_cndmask_b32_e32 v20, v20, v15, vcc
	;; [unrolled: 2-line block ×11, first 2 shown]
	v_lshl_or_b32 v19, s2, 1, v0
	v_mov_b32_e32 v20, 0
	v_lshlrev_b64 v[19:20], 2, v[19:20]
	v_mov_b32_e32 v22, s5
	v_add_co_u32_e32 v19, vcc, s4, v19
	v_addc_co_u32_e32 v20, vcc, v22, v20, vcc
	global_store_dword v[19:20], v21, off
.LBB225_11:
	s_or_b64 exec, exec, s[6:7]
	ds_bpermute_b32 v19, v1, v11
	ds_bpermute_b32 v20, v1, v10
	s_waitcnt lgkmcnt(1)
	v_add_f32_e32 v11, v11, v19
	s_waitcnt lgkmcnt(0)
	v_add_f32_e32 v10, v10, v20
	ds_bpermute_b32 v19, v2, v11
	ds_bpermute_b32 v20, v2, v10
	s_waitcnt lgkmcnt(1)
	v_add_f32_e32 v11, v11, v19
	s_waitcnt lgkmcnt(0)
	v_add_f32_e32 v10, v10, v20
	;; [unrolled: 6-line block ×6, first 2 shown]
	s_and_saveexec_b64 s[6:7], s[0:1]
	s_cbranch_execz .LBB225_13
; %bb.12:
	v_add_u32_e32 v21, 6, v0
	v_cmp_eq_u32_e32 vcc, 1, v21
	v_cndmask_b32_e32 v19, v16, v17, vcc
	v_cmp_eq_u32_e32 vcc, 2, v21
	v_cndmask_b32_e32 v19, v19, v15, vcc
	v_cmp_eq_u32_e32 vcc, 3, v21
	v_cndmask_b32_e32 v19, v19, v14, vcc
	v_cmp_eq_u32_e32 vcc, 4, v21
	v_cndmask_b32_e32 v19, v19, v13, vcc
	v_cmp_eq_u32_e32 vcc, 5, v21
	v_cndmask_b32_e32 v19, v19, v12, vcc
	v_cmp_eq_u32_e32 vcc, 6, v21
	v_cndmask_b32_e32 v19, v19, v11, vcc
	v_cmp_eq_u32_e32 vcc, 7, v21
	v_cndmask_b32_e32 v19, v19, v10, vcc
	v_cmp_eq_u32_e32 vcc, 8, v21
	v_cndmask_b32_e32 v19, v19, v9, vcc
	v_cmp_eq_u32_e32 vcc, 9, v21
	v_cndmask_b32_e32 v19, v19, v8, vcc
	v_cmp_eq_u32_e32 vcc, 10, v21
	v_cndmask_b32_e32 v22, v19, v6, vcc
	v_mad_u64_u32 v[19:20], s[8:9], s2, 3, v[0:1]
	v_mov_b32_e32 v20, 0
	v_cmp_eq_u32_e32 vcc, 11, v21
	v_lshlrev_b64 v[19:20], 2, v[19:20]
	v_cndmask_b32_e32 v21, v22, v7, vcc
	v_mov_b32_e32 v22, s5
	v_add_co_u32_e32 v19, vcc, s4, v19
	v_addc_co_u32_e32 v20, vcc, v22, v20, vcc
	global_store_dword v[19:20], v21, off
.LBB225_13:
	s_or_b64 exec, exec, s[6:7]
	ds_bpermute_b32 v19, v1, v9
	ds_bpermute_b32 v20, v1, v8
	s_waitcnt lgkmcnt(1)
	v_add_f32_e32 v9, v9, v19
	s_waitcnt lgkmcnt(0)
	v_add_f32_e32 v8, v8, v20
	ds_bpermute_b32 v19, v2, v9
	ds_bpermute_b32 v20, v2, v8
	s_waitcnt lgkmcnt(1)
	v_add_f32_e32 v9, v9, v19
	s_waitcnt lgkmcnt(0)
	v_add_f32_e32 v8, v8, v20
	;; [unrolled: 6-line block ×6, first 2 shown]
	s_and_saveexec_b64 s[6:7], s[0:1]
	s_cbranch_execz .LBB225_15
; %bb.14:
	v_add_u32_e32 v19, 8, v0
	v_cmp_eq_u32_e32 vcc, 1, v19
	v_cndmask_b32_e32 v20, v16, v17, vcc
	v_cmp_eq_u32_e32 vcc, 2, v19
	v_cndmask_b32_e32 v20, v20, v15, vcc
	v_cmp_eq_u32_e32 vcc, 3, v19
	v_cndmask_b32_e32 v20, v20, v14, vcc
	v_cmp_eq_u32_e32 vcc, 4, v19
	v_cndmask_b32_e32 v20, v20, v13, vcc
	v_cmp_eq_u32_e32 vcc, 5, v19
	v_cndmask_b32_e32 v20, v20, v12, vcc
	v_cmp_eq_u32_e32 vcc, 6, v19
	v_cndmask_b32_e32 v20, v20, v11, vcc
	v_cmp_eq_u32_e32 vcc, 7, v19
	v_cndmask_b32_e32 v20, v20, v10, vcc
	v_cmp_eq_u32_e32 vcc, 8, v19
	v_cndmask_b32_e32 v20, v20, v9, vcc
	v_cmp_eq_u32_e32 vcc, 9, v19
	v_cndmask_b32_e32 v20, v20, v8, vcc
	v_cmp_eq_u32_e32 vcc, 10, v19
	v_cndmask_b32_e32 v20, v20, v6, vcc
	v_cmp_eq_u32_e32 vcc, 11, v19
	v_cndmask_b32_e32 v21, v20, v7, vcc
	v_lshl_or_b32 v19, s2, 2, v0
	v_mov_b32_e32 v20, 0
	v_lshlrev_b64 v[19:20], 2, v[19:20]
	v_mov_b32_e32 v22, s5
	v_add_co_u32_e32 v19, vcc, s4, v19
	v_addc_co_u32_e32 v20, vcc, v22, v20, vcc
	global_store_dword v[19:20], v21, off
.LBB225_15:
	s_or_b64 exec, exec, s[6:7]
	ds_bpermute_b32 v19, v1, v6
	ds_bpermute_b32 v1, v1, v7
	s_waitcnt lgkmcnt(1)
	v_add_f32_e32 v6, v6, v19
	s_waitcnt lgkmcnt(0)
	v_add_f32_e32 v1, v7, v1
	ds_bpermute_b32 v7, v2, v6
	ds_bpermute_b32 v2, v2, v1
	s_waitcnt lgkmcnt(1)
	v_add_f32_e32 v6, v6, v7
	s_waitcnt lgkmcnt(0)
	v_add_f32_e32 v1, v1, v2
	;; [unrolled: 6-line block ×5, first 2 shown]
	ds_bpermute_b32 v3, v18, v1
	ds_bpermute_b32 v4, v18, v2
	s_and_b64 exec, exec, s[0:1]
	s_cbranch_execz .LBB225_17
; %bb.16:
	s_waitcnt lgkmcnt(1)
	v_add_f32_e32 v1, v1, v3
	v_add_u32_e32 v3, 10, v0
	v_cmp_eq_u32_e32 vcc, 1, v3
	s_waitcnt lgkmcnt(0)
	v_add_f32_e32 v2, v2, v4
	v_cndmask_b32_e32 v4, v16, v17, vcc
	v_cmp_eq_u32_e32 vcc, 2, v3
	v_cndmask_b32_e32 v4, v4, v15, vcc
	v_cmp_eq_u32_e32 vcc, 3, v3
	;; [unrolled: 2-line block ×9, first 2 shown]
	v_cndmask_b32_e32 v4, v4, v1, vcc
	v_mad_u64_u32 v[0:1], s[0:1], s2, 5, v[0:1]
	v_mov_b32_e32 v1, 0
	v_cmp_eq_u32_e32 vcc, 11, v3
	v_lshlrev_b64 v[0:1], 2, v[0:1]
	v_cndmask_b32_e32 v2, v4, v2, vcc
	v_mov_b32_e32 v3, s5
	v_add_co_u32_e32 v0, vcc, s4, v0
	v_addc_co_u32_e32 v1, vcc, v3, v1, vcc
	global_store_dword v[0:1], v2, off
.LBB225_17:
	s_endpgm
	.section	.rodata,"a",@progbits
	.p2align	6, 0x0
	.amdhsa_kernel _ZL13mul_mat_vec_qIL9ggml_type29ELi6ELb0ELb0EEvPKvS2_PKi31ggml_cuda_mm_fusion_args_devicePfj15HIP_vector_typeIjLj3EEjjjS8_jjjS8_jjjj
		.amdhsa_group_segment_fixed_size 0
		.amdhsa_private_segment_fixed_size 0
		.amdhsa_kernarg_size 144
		.amdhsa_user_sgpr_count 6
		.amdhsa_user_sgpr_private_segment_buffer 1
		.amdhsa_user_sgpr_dispatch_ptr 0
		.amdhsa_user_sgpr_queue_ptr 0
		.amdhsa_user_sgpr_kernarg_segment_ptr 1
		.amdhsa_user_sgpr_dispatch_id 0
		.amdhsa_user_sgpr_flat_scratch_init 0
		.amdhsa_user_sgpr_private_segment_size 0
		.amdhsa_uses_dynamic_stack 0
		.amdhsa_system_sgpr_private_segment_wavefront_offset 0
		.amdhsa_system_sgpr_workgroup_id_x 1
		.amdhsa_system_sgpr_workgroup_id_y 1
		.amdhsa_system_sgpr_workgroup_id_z 1
		.amdhsa_system_sgpr_workgroup_info 0
		.amdhsa_system_vgpr_workitem_id 1
		.amdhsa_next_free_vgpr 74
		.amdhsa_next_free_sgpr 32
		.amdhsa_reserve_vcc 1
		.amdhsa_reserve_flat_scratch 0
		.amdhsa_float_round_mode_32 0
		.amdhsa_float_round_mode_16_64 0
		.amdhsa_float_denorm_mode_32 3
		.amdhsa_float_denorm_mode_16_64 3
		.amdhsa_dx10_clamp 1
		.amdhsa_ieee_mode 1
		.amdhsa_fp16_overflow 0
		.amdhsa_exception_fp_ieee_invalid_op 0
		.amdhsa_exception_fp_denorm_src 0
		.amdhsa_exception_fp_ieee_div_zero 0
		.amdhsa_exception_fp_ieee_overflow 0
		.amdhsa_exception_fp_ieee_underflow 0
		.amdhsa_exception_fp_ieee_inexact 0
		.amdhsa_exception_int_div_zero 0
	.end_amdhsa_kernel
	.section	.text._ZL13mul_mat_vec_qIL9ggml_type29ELi6ELb0ELb0EEvPKvS2_PKi31ggml_cuda_mm_fusion_args_devicePfj15HIP_vector_typeIjLj3EEjjjS8_jjjS8_jjjj,"axG",@progbits,_ZL13mul_mat_vec_qIL9ggml_type29ELi6ELb0ELb0EEvPKvS2_PKi31ggml_cuda_mm_fusion_args_devicePfj15HIP_vector_typeIjLj3EEjjjS8_jjjS8_jjjj,comdat
.Lfunc_end225:
	.size	_ZL13mul_mat_vec_qIL9ggml_type29ELi6ELb0ELb0EEvPKvS2_PKi31ggml_cuda_mm_fusion_args_devicePfj15HIP_vector_typeIjLj3EEjjjS8_jjjS8_jjjj, .Lfunc_end225-_ZL13mul_mat_vec_qIL9ggml_type29ELi6ELb0ELb0EEvPKvS2_PKi31ggml_cuda_mm_fusion_args_devicePfj15HIP_vector_typeIjLj3EEjjjS8_jjjS8_jjjj
                                        ; -- End function
	.set _ZL13mul_mat_vec_qIL9ggml_type29ELi6ELb0ELb0EEvPKvS2_PKi31ggml_cuda_mm_fusion_args_devicePfj15HIP_vector_typeIjLj3EEjjjS8_jjjS8_jjjj.num_vgpr, 74
	.set _ZL13mul_mat_vec_qIL9ggml_type29ELi6ELb0ELb0EEvPKvS2_PKi31ggml_cuda_mm_fusion_args_devicePfj15HIP_vector_typeIjLj3EEjjjS8_jjjS8_jjjj.num_agpr, 0
	.set _ZL13mul_mat_vec_qIL9ggml_type29ELi6ELb0ELb0EEvPKvS2_PKi31ggml_cuda_mm_fusion_args_devicePfj15HIP_vector_typeIjLj3EEjjjS8_jjjS8_jjjj.numbered_sgpr, 32
	.set _ZL13mul_mat_vec_qIL9ggml_type29ELi6ELb0ELb0EEvPKvS2_PKi31ggml_cuda_mm_fusion_args_devicePfj15HIP_vector_typeIjLj3EEjjjS8_jjjS8_jjjj.num_named_barrier, 0
	.set _ZL13mul_mat_vec_qIL9ggml_type29ELi6ELb0ELb0EEvPKvS2_PKi31ggml_cuda_mm_fusion_args_devicePfj15HIP_vector_typeIjLj3EEjjjS8_jjjS8_jjjj.private_seg_size, 0
	.set _ZL13mul_mat_vec_qIL9ggml_type29ELi6ELb0ELb0EEvPKvS2_PKi31ggml_cuda_mm_fusion_args_devicePfj15HIP_vector_typeIjLj3EEjjjS8_jjjS8_jjjj.uses_vcc, 1
	.set _ZL13mul_mat_vec_qIL9ggml_type29ELi6ELb0ELb0EEvPKvS2_PKi31ggml_cuda_mm_fusion_args_devicePfj15HIP_vector_typeIjLj3EEjjjS8_jjjS8_jjjj.uses_flat_scratch, 0
	.set _ZL13mul_mat_vec_qIL9ggml_type29ELi6ELb0ELb0EEvPKvS2_PKi31ggml_cuda_mm_fusion_args_devicePfj15HIP_vector_typeIjLj3EEjjjS8_jjjS8_jjjj.has_dyn_sized_stack, 0
	.set _ZL13mul_mat_vec_qIL9ggml_type29ELi6ELb0ELb0EEvPKvS2_PKi31ggml_cuda_mm_fusion_args_devicePfj15HIP_vector_typeIjLj3EEjjjS8_jjjS8_jjjj.has_recursion, 0
	.set _ZL13mul_mat_vec_qIL9ggml_type29ELi6ELb0ELb0EEvPKvS2_PKi31ggml_cuda_mm_fusion_args_devicePfj15HIP_vector_typeIjLj3EEjjjS8_jjjS8_jjjj.has_indirect_call, 0
	.section	.AMDGPU.csdata,"",@progbits
; Kernel info:
; codeLenInByte = 5936
; TotalNumSgprs: 36
; NumVgprs: 74
; ScratchSize: 0
; MemoryBound: 0
; FloatMode: 240
; IeeeMode: 1
; LDSByteSize: 0 bytes/workgroup (compile time only)
; SGPRBlocks: 4
; VGPRBlocks: 18
; NumSGPRsForWavesPerEU: 36
; NumVGPRsForWavesPerEU: 74
; Occupancy: 3
; WaveLimiterHint : 0
; COMPUTE_PGM_RSRC2:SCRATCH_EN: 0
; COMPUTE_PGM_RSRC2:USER_SGPR: 6
; COMPUTE_PGM_RSRC2:TRAP_HANDLER: 0
; COMPUTE_PGM_RSRC2:TGID_X_EN: 1
; COMPUTE_PGM_RSRC2:TGID_Y_EN: 1
; COMPUTE_PGM_RSRC2:TGID_Z_EN: 1
; COMPUTE_PGM_RSRC2:TIDIG_COMP_CNT: 1
	.section	.text._ZL13mul_mat_vec_qIL9ggml_type29ELi7ELb0ELb0EEvPKvS2_PKi31ggml_cuda_mm_fusion_args_devicePfj15HIP_vector_typeIjLj3EEjjjS8_jjjS8_jjjj,"axG",@progbits,_ZL13mul_mat_vec_qIL9ggml_type29ELi7ELb0ELb0EEvPKvS2_PKi31ggml_cuda_mm_fusion_args_devicePfj15HIP_vector_typeIjLj3EEjjjS8_jjjS8_jjjj,comdat
	.globl	_ZL13mul_mat_vec_qIL9ggml_type29ELi7ELb0ELb0EEvPKvS2_PKi31ggml_cuda_mm_fusion_args_devicePfj15HIP_vector_typeIjLj3EEjjjS8_jjjS8_jjjj ; -- Begin function _ZL13mul_mat_vec_qIL9ggml_type29ELi7ELb0ELb0EEvPKvS2_PKi31ggml_cuda_mm_fusion_args_devicePfj15HIP_vector_typeIjLj3EEjjjS8_jjjS8_jjjj
	.p2align	8
	.type	_ZL13mul_mat_vec_qIL9ggml_type29ELi7ELb0ELb0EEvPKvS2_PKi31ggml_cuda_mm_fusion_args_devicePfj15HIP_vector_typeIjLj3EEjjjS8_jjjS8_jjjj,@function
_ZL13mul_mat_vec_qIL9ggml_type29ELi7ELb0ELb0EEvPKvS2_PKi31ggml_cuda_mm_fusion_args_devicePfj15HIP_vector_typeIjLj3EEjjjS8_jjjS8_jjjj: ; @_ZL13mul_mat_vec_qIL9ggml_type29ELi7ELb0ELb0EEvPKvS2_PKi31ggml_cuda_mm_fusion_args_devicePfj15HIP_vector_typeIjLj3EEjjjS8_jjjS8_jjjj
; %bb.0:
	s_load_dword s9, s[4:5], 0x40
	s_load_dwordx4 s[0:3], s[4:5], 0x50
	s_load_dword s25, s[4:5], 0x60
	s_load_dwordx4 s[12:15], s[4:5], 0x68
	;; [unrolled: 2-line block ×3, first 2 shown]
	v_lshl_or_b32 v2, v1, 6, v0
	s_waitcnt lgkmcnt(0)
	s_lshr_b32 s9, s9, 8
	v_lshrrev_b32_e32 v24, 3, v2
	s_lshl_b32 s6, s6, 1
	v_cmp_gt_u32_e32 vcc, s9, v24
	v_mov_b32_e32 v10, 0
	v_mov_b32_e32 v11, 0
	v_mov_b32_e32 v12, 0
	v_mov_b32_e32 v13, 0
	v_mov_b32_e32 v14, 0
	v_mov_b32_e32 v15, 0
	v_mov_b32_e32 v16, 0
	v_mov_b32_e32 v17, 0
	v_mov_b32_e32 v18, 0
	v_mov_b32_e32 v19, 0
	v_mov_b32_e32 v20, 0
	v_mov_b32_e32 v21, 0
	v_mov_b32_e32 v23, 0
	v_mov_b32_e32 v22, 0
	s_and_saveexec_b64 s[10:11], vcc
	s_cbranch_execz .LBB226_4
; %bb.1:
	s_mul_hi_u32 s3, s3, s7
	s_add_i32 s3, s7, s3
	s_load_dwordx4 s[20:23], s[4:5], 0x0
	s_lshr_b32 s3, s3, s25
	s_mul_i32 s3, s3, s12
	s_mul_hi_u32 s12, s15, s8
	s_add_i32 s12, s8, s12
	s_lshr_b32 s12, s12, s24
	s_mul_i32 s24, s17, s8
	s_mul_i32 s15, s12, s16
	;; [unrolled: 1-line block ×3, first 2 shown]
	s_mul_hi_u32 s12, s24, 36
	s_waitcnt lgkmcnt(0)
	s_add_u32 s16, s22, s16
	s_addc_u32 s17, s23, s12
	s_mul_i32 s12, s13, s7
	s_mul_hi_u32 s13, s12, 36
	s_mul_i32 s12, s12, 36
	s_add_u32 s16, s16, s12
	s_addc_u32 s17, s17, s13
	v_and_b32_e32 v4, 7, v0
	v_mad_u64_u32 v[6:7], s[16:17], v4, 36, s[16:17]
	v_and_b32_e32 v2, 1, v0
	s_add_i32 s16, s6, 1
	s_add_i32 s15, s15, s3
	v_cmp_eq_u32_e32 vcc, 1, v2
	s_mul_i32 s3, s6, s0
	s_mul_i32 s0, s0, s16
	v_mov_b32_e32 v2, s12
	s_add_i32 s3, s15, s3
	s_add_i32 s0, s15, s0
	s_movk_i32 s15, 0x120
	v_mov_b32_e32 v3, s13
	v_mad_u64_u32 v[2:3], s[12:13], v24, s15, v[2:3]
	v_cndmask_b32_e64 v26, 0, 6, vcc
	v_mov_b32_e32 v8, s23
	v_mad_u64_u32 v[2:3], s[12:13], s24, 36, v[2:3]
	v_bfe_u32 v5, v0, 1, 2
	v_mov_b32_e32 v22, 0
	v_mad_u64_u32 v[2:3], s[12:13], v4, 36, v[2:3]
	v_lshlrev_b32_e32 v25, 1, v4
	v_lshlrev_b32_e32 v27, 3, v24
	v_add_co_u32_e32 v2, vcc, s22, v2
	v_addc_co_u32_e32 v3, vcc, v8, v3, vcc
	v_add_co_u32_e32 v8, vcc, 16, v2
	s_mul_i32 s15, s1, 6
	s_mul_i32 s19, s1, 5
	s_lshl_b32 s24, s1, 2
	s_mul_i32 s25, s1, 3
	s_lshl_b32 s26, s1, 1
	v_addc_co_u32_e32 v9, vcc, 0, v3, vcc
	s_mov_b64 s[12:13], 0
	s_mov_b32 s22, 0x1010101
	v_lshlrev_b32_e32 v28, 2, v4
	s_movk_i32 s23, 0x700
	s_movk_i32 s27, 0xf0
	;; [unrolled: 1-line block ×3, first 2 shown]
	v_lshlrev_b32_e32 v29, 1, v5
	v_mov_b32_e32 v30, 8
	v_mov_b32_e32 v31, 4
	;; [unrolled: 1-line block ×15, first 2 shown]
.LBB226_2:                              ; =>This Inner Loop Header: Depth=1
	global_load_dwordx4 v[48:51], v[8:9], off offset:-16
	global_load_dword v58, v[8:9], off offset:16
	global_load_dwordx4 v[2:5], v[8:9], off
	v_add_u32_e32 v32, s3, v24
	v_mad_i64_i32 v[45:46], s[16:17], v32, 56, s[20:21]
	s_getpc_b64 s[16:17]
	s_add_u32 s16, s16, _ZL13iq1s_grid_gpu@rel32@lo+4
	s_addc_u32 s17, s17, _ZL13iq1s_grid_gpu@rel32@hi+12
	v_mov_b32_e32 v40, 0xbf600000
	v_add_co_u32_e32 v32, vcc, v45, v28
	s_waitcnt vmcnt(2)
	v_dot4_i32_i8 v33, v49, s22, 0
	v_dot4_i32_i8 v33, v50, s22, v33
	v_cvt_f32_i32_e32 v52, v33
	v_dot4_i32_i8 v33, v51, s22, 0
	s_waitcnt vmcnt(0)
	v_dot4_i32_i8 v33, v2, s22, v33
	v_cvt_f32_i32_e32 v53, v33
	v_dot4_i32_i8 v33, v3, s22, 0
	v_dot4_i32_i8 v33, v4, s22, v33
	v_cvt_f32_i32_e32 v54, v33
	v_dot4_i32_i8 v33, v5, s22, 0
	v_dot4_i32_i8 v33, v58, s22, v33
	v_cvt_f32_i32_e32 v62, v33
	v_addc_co_u32_e32 v33, vcc, 0, v46, vcc
	v_cvt_f32_f16_e32 v59, v48
	global_load_dword v35, v[32:33], off
	global_load_dwordx2 v[47:48], v[45:46], off offset:48
	v_add_co_u32_e32 v32, vcc, v45, v25
	v_addc_co_u32_e32 v33, vcc, 0, v46, vcc
	global_load_ushort v42, v[32:33], off offset:32
	v_add_co_u32_e32 v45, vcc, v45, v29
	v_addc_co_u32_e32 v46, vcc, 0, v46, vcc
	global_load_ushort v45, v[45:46], off offset:48
	s_waitcnt vmcnt(3)
	v_and_b32_e32 v32, 0xff, v35
	v_lshrrev_b32_e32 v41, 24, v35
	s_waitcnt vmcnt(1)
	v_lshlrev_b32_e32 v33, 8, v42
	v_and_or_b32 v32, v33, s23, v32
	v_lshlrev_b32_e32 v32, 2, v32
	global_load_dword v33, v32, s[16:17]
	v_lshlrev_b32_e32 v38, 4, v42
	v_lshrrev_b32_e32 v39, 4, v42
	s_waitcnt vmcnt(1)
	v_lshrrev_b32_e32 v45, v26, v45
	v_lshlrev_b32_e32 v46, 1, v45
	v_lshrrev_b32_e32 v45, 2, v45
	v_and_or_b32 v46, v46, 14, 1
	s_waitcnt vmcnt(0)
	v_and_b32_e32 v32, 0xf0f0f0f, v33
	v_lshrrev_b32_e32 v33, 4, v33
	v_and_b32_e32 v33, 0xf0f0f0f, v33
	v_dot4_i32_i8 v34, v32, v49, 0
	v_dot4_i32_i8 v36, v33, v50, v34
	v_and_b32_e32 v34, 8, v42
	v_cvt_f32_ubyte0_e32 v37, v34
	v_mov_b32_e32 v34, 0xbf600000
	v_fmac_f32_e32 v34, 0xbd000000, v37
	v_bfe_u32 v37, v35, 8, 8
	v_and_or_b32 v37, v38, s23, v37
	v_lshlrev_b32_e32 v37, 2, v37
	global_load_dword v38, v37, s[16:17]
	v_bfe_u32 v35, v35, 16, 8
	v_fma_f32 v55, v34, v52, 0
	s_waitcnt vmcnt(0)
	v_and_b32_e32 v37, 0xf0f0f0f, v38
	v_lshrrev_b32_e32 v38, 4, v38
	v_and_b32_e32 v38, 0xf0f0f0f, v38
	v_dot4_i32_i8 v36, v37, v51, v36
	v_dot4_i32_i8 v56, v38, v2, v36
	v_and_b32_e32 v36, 8, v39
	v_cvt_f32_ubyte0_e32 v36, v36
	v_fmac_f32_e32 v40, 0xbd000000, v36
	v_lshlrev_b32_sdwa v36, v30, v42 dst_sel:DWORD dst_unused:UNUSED_PAD src0_sel:DWORD src1_sel:BYTE_1
	v_and_or_b32 v35, v36, s23, v35
	v_lshlrev_b32_e32 v35, 2, v35
	global_load_dword v36, v35, s[16:17]
	v_fmac_f32_e32 v55, v40, v53
	s_waitcnt vmcnt(0)
	v_and_b32_e32 v35, 0xf0f0f0f, v36
	v_lshrrev_b32_e32 v36, 4, v36
	v_and_b32_e32 v36, 0xf0f0f0f, v36
	v_dot4_i32_i8 v39, v35, v3, 0
	v_dot4_i32_i8 v43, v36, v4, v39
	v_and_b32_sdwa v39, v42, v30 dst_sel:DWORD dst_unused:UNUSED_PAD src0_sel:BYTE_1 src1_sel:DWORD
	v_cvt_f32_ubyte0_e32 v44, v39
	v_mov_b32_e32 v39, 0xbf600000
	v_fmac_f32_e32 v39, 0xbd000000, v44
	v_lshrrev_b32_sdwa v44, v31, v42 dst_sel:DWORD dst_unused:UNUSED_PAD src0_sel:DWORD src1_sel:BYTE_1
	v_lshlrev_b32_sdwa v42, v31, v42 dst_sel:DWORD dst_unused:UNUSED_PAD src0_sel:DWORD src1_sel:BYTE_1
	v_and_or_b32 v41, v42, s23, v41
	v_lshlrev_b32_e32 v41, 2, v41
	global_load_dword v42, v41, s[16:17]
	v_fma_f32 v57, v39, v54, 0
	s_waitcnt vmcnt(0)
	v_and_b32_e32 v41, 0xf0f0f0f, v42
	v_lshrrev_b32_e32 v42, 4, v42
	v_and_b32_e32 v42, 0xf0f0f0f, v42
	v_dot4_i32_i8 v43, v41, v5, v43
	v_dot4_i32_i8 v60, v42, v58, v43
	v_and_b32_e32 v43, 8, v44
	v_cvt_f32_ubyte0_e32 v44, v43
	v_mov_b32_e32 v43, 0xbf600000
	v_fmac_f32_e32 v43, 0xbd000000, v44
	v_lshrrev_b16_e32 v44, 12, v47
	v_and_b32_sdwa v47, v47, s27 dst_sel:DWORD dst_unused:UNUSED_PAD src0_sel:BYTE_3 src1_sel:DWORD
	v_or_b32_e32 v44, v47, v44
	v_lshrrev_b16_e32 v47, 4, v48
	v_and_b32_e32 v47, 0xf00, v47
	v_or_b32_e32 v44, v44, v47
	v_and_b32_sdwa v47, v48, s28 dst_sel:DWORD dst_unused:UNUSED_PAD src0_sel:WORD_1 src1_sel:DWORD
	v_and_or_b32 v48, v45, 14, 1
	v_cvt_f32_i32_e32 v45, v56
	v_or_b32_e32 v44, v44, v47
	v_cvt_f32_f16_e32 v44, v44
	v_fmac_f32_e32 v57, v43, v62
	v_add_f32_e32 v55, v55, v45
	v_cvt_f32_ubyte0_e32 v45, v46
	v_cvt_f32_i32_e32 v46, v60
	v_mul_f32_e32 v47, v59, v44
	v_add_f32_e32 v56, v57, v46
	v_cvt_f32_ubyte0_e32 v46, v48
	v_mul_f32_e32 v48, v56, v46
	v_fmac_f32_e32 v48, v55, v45
	v_fmac_f32_e32 v22, v47, v48
	v_add_u32_e32 v47, s0, v24
	v_mad_i64_i32 v[60:61], s[30:31], v47, 56, s[20:21]
	v_add_u32_e32 v24, 8, v24
	v_add_co_u32_e32 v47, vcc, v60, v28
	v_addc_co_u32_e32 v48, vcc, 0, v61, vcc
	global_load_dword v56, v[47:48], off
	v_add_co_u32_e32 v47, vcc, v60, v25
	v_addc_co_u32_e32 v48, vcc, 0, v61, vcc
	global_load_ushort v64, v[47:48], off offset:32
	s_waitcnt vmcnt(1)
	v_and_b32_e32 v47, 0xff, v56
	v_lshrrev_b32_e32 v63, 24, v56
	s_waitcnt vmcnt(0)
	v_lshlrev_b32_e32 v48, 8, v64
	v_and_or_b32 v47, v48, s23, v47
	v_lshlrev_b32_e32 v47, 2, v47
	global_load_dword v48, v47, s[16:17]
	v_lshrrev_b32_e32 v57, 4, v64
	s_waitcnt vmcnt(0)
	v_and_b32_e32 v47, 0xf0f0f0f, v48
	v_lshrrev_b32_e32 v48, 4, v48
	v_and_b32_e32 v48, 0xf0f0f0f, v48
	v_dot4_i32_i8 v49, v47, v49, 0
	v_dot4_i32_i8 v50, v48, v50, v49
	v_and_b32_e32 v49, 8, v64
	v_cvt_f32_ubyte0_e32 v55, v49
	v_mov_b32_e32 v49, 0xbf600000
	v_fmac_f32_e32 v49, 0xbd000000, v55
	v_fma_f32 v65, v49, v52, 0
	v_bfe_u32 v52, v56, 8, 8
	v_lshlrev_b32_e32 v55, 4, v64
	v_and_or_b32 v52, v55, s23, v52
	v_lshlrev_b32_e32 v52, 2, v52
	global_load_dword v55, v52, s[16:17]
	s_waitcnt vmcnt(0)
	v_and_b32_e32 v52, 0xf0f0f0f, v55
	v_lshrrev_b32_e32 v55, 4, v55
	v_and_b32_e32 v55, 0xf0f0f0f, v55
	v_dot4_i32_i8 v50, v52, v51, v50
	v_dot4_i32_i8 v66, v55, v2, v50
	v_and_b32_e32 v2, 8, v57
	v_cvt_f32_ubyte0_e32 v2, v2
	v_mov_b32_e32 v57, 0xbf600000
	v_fmac_f32_e32 v57, 0xbd000000, v2
	v_bfe_u32 v2, v56, 16, 8
	v_lshlrev_b32_sdwa v50, v30, v64 dst_sel:DWORD dst_unused:UNUSED_PAD src0_sel:DWORD src1_sel:BYTE_1
	v_and_or_b32 v2, v50, s23, v2
	v_lshlrev_b32_e32 v2, 2, v2
	global_load_dword v2, v2, s[16:17]
	v_fmac_f32_e32 v65, v57, v53
	v_mov_b32_e32 v56, 0xbf600000
	s_waitcnt vmcnt(0)
	v_and_b32_e32 v50, 0xf0f0f0f, v2
	v_lshrrev_b32_e32 v2, 4, v2
	v_and_b32_e32 v53, 0xf0f0f0f, v2
	v_dot4_i32_i8 v2, v50, v3, 0
	v_dot4_i32_i8 v2, v53, v4, v2
	v_lshlrev_b32_sdwa v4, v31, v64 dst_sel:DWORD dst_unused:UNUSED_PAD src0_sel:DWORD src1_sel:BYTE_1
	v_and_or_b32 v4, v4, s23, v63
	v_lshlrev_b32_e32 v4, 2, v4
	global_load_dword v4, v4, s[16:17]
	v_and_b32_sdwa v3, v64, v30 dst_sel:DWORD dst_unused:UNUSED_PAD src0_sel:BYTE_1 src1_sel:DWORD
	v_cvt_f32_ubyte0_e32 v3, v3
	v_fmac_f32_e32 v56, 0xbd000000, v3
	v_fma_f32 v67, v56, v54, 0
	v_lshrrev_b32_sdwa v3, v31, v64 dst_sel:DWORD dst_unused:UNUSED_PAD src0_sel:DWORD src1_sel:BYTE_1
	s_waitcnt vmcnt(0)
	v_and_b32_e32 v51, 0xf0f0f0f, v4
	v_lshrrev_b32_e32 v4, 4, v4
	v_and_b32_e32 v54, 0xf0f0f0f, v4
	v_dot4_i32_i8 v2, v51, v5, v2
	v_dot4_i32_i8 v58, v54, v58, v2
	v_and_b32_e32 v2, 8, v3
	v_cvt_f32_ubyte0_e32 v2, v2
	v_mov_b32_e32 v5, 0xbf600000
	v_fmac_f32_e32 v5, 0xbd000000, v2
	global_load_dwordx2 v[2:3], v[60:61], off offset:48
	v_fmac_f32_e32 v67, v5, v62
	s_waitcnt vmcnt(0)
	v_lshrrev_b16_e32 v4, 12, v2
	v_and_b32_sdwa v2, v2, s27 dst_sel:DWORD dst_unused:UNUSED_PAD src0_sel:BYTE_3 src1_sel:DWORD
	v_or_b32_e32 v2, v2, v4
	v_lshrrev_b16_e32 v4, 4, v3
	v_and_b32_e32 v4, 0xf00, v4
	v_or_b32_e32 v2, v2, v4
	v_and_b32_sdwa v3, v3, s28 dst_sel:DWORD dst_unused:UNUSED_PAD src0_sel:WORD_1 src1_sel:DWORD
	v_or_b32_e32 v2, v2, v3
	v_add_co_u32_e32 v3, vcc, v60, v29
	v_addc_co_u32_e32 v4, vcc, 0, v61, vcc
	global_load_ushort v3, v[3:4], off offset:48
	v_cvt_f32_f16_e32 v2, v2
	v_add_co_u32_e32 v8, vcc, 0x900, v8
	v_addc_co_u32_e32 v9, vcc, 0, v9, vcc
	v_mul_f32_e32 v59, v59, v2
	v_cmp_le_u32_e32 vcc, s9, v24
	s_or_b64 s[12:13], vcc, s[12:13]
	s_waitcnt vmcnt(0)
	v_lshrrev_b32_e32 v3, v26, v3
	v_lshlrev_b32_e32 v4, 1, v3
	v_lshrrev_b32_e32 v3, 2, v3
	v_and_or_b32 v60, v3, 14, 1
	v_cvt_f32_i32_e32 v3, v66
	v_and_or_b32 v4, v4, 14, 1
	v_add_f32_e32 v61, v65, v3
	v_cvt_f32_ubyte0_e32 v3, v4
	v_cvt_f32_i32_e32 v4, v58
	v_add_f32_e32 v58, v67, v4
	v_cvt_f32_ubyte0_e32 v4, v60
	v_mul_f32_e32 v58, v58, v4
	v_fmac_f32_e32 v58, v61, v3
	v_fmac_f32_e32 v23, v59, v58
	v_add_u32_e32 v58, s1, v27
	v_mad_u64_u32 v[66:67], s[16:17], v58, 36, v[6:7]
	global_load_dwordx4 v[58:61], v[66:67], off
	global_load_dword v68, v[66:67], off offset:32
	global_load_dwordx4 v[62:65], v[66:67], off offset:16
	s_waitcnt vmcnt(2)
	v_dot4_i32_i8 v66, v59, s22, 0
	v_dot4_i32_i8 v71, v32, v59, 0
	v_dot4_i32_i8 v59, v47, v59, 0
	v_dot4_i32_i8 v66, v60, s22, v66
	v_dot4_i32_i8 v67, v61, s22, 0
	v_dot4_i32_i8 v59, v48, v60, v59
	v_cvt_f32_i32_e32 v66, v66
	s_waitcnt vmcnt(0)
	v_dot4_i32_i8 v67, v62, s22, v67
	v_dot4_i32_i8 v59, v52, v61, v59
	v_cvt_f32_i32_e32 v67, v67
	v_dot4_i32_i8 v71, v33, v60, v71
	v_dot4_i32_i8 v59, v55, v62, v59
	v_dot4_i32_i8 v69, v63, s22, 0
	v_dot4_i32_i8 v71, v37, v61, v71
	v_dot4_i32_i8 v61, v50, v63, 0
	v_cvt_f32_i32_e32 v59, v59
	v_dot4_i32_i8 v69, v64, s22, v69
	v_dot4_i32_i8 v70, v65, s22, 0
	v_dot4_i32_i8 v61, v53, v64, v61
	v_cvt_f32_i32_e32 v69, v69
	v_dot4_i32_i8 v70, v68, s22, v70
	v_fma_f32 v60, v49, v66, 0
	v_dot4_i32_i8 v61, v51, v65, v61
	v_cvt_f32_i32_e32 v70, v70
	v_fmac_f32_e32 v60, v57, v67
	v_dot4_i32_i8 v61, v54, v68, v61
	v_add_f32_e32 v59, v60, v59
	v_cvt_f32_i32_e32 v60, v61
	v_cvt_f32_f16_e32 v58, v58
	v_dot4_i32_i8 v71, v38, v62, v71
	v_fma_f32 v62, v56, v69, 0
	v_fmac_f32_e32 v62, v5, v70
	v_add_f32_e32 v60, v62, v60
	v_mul_f32_e32 v60, v60, v4
	v_mul_f32_e32 v75, v58, v44
	v_mul_f32_e32 v58, v58, v2
	v_fmac_f32_e32 v60, v59, v3
	v_fma_f32 v72, v34, v66, 0
	v_fmac_f32_e32 v20, v58, v60
	v_add_u32_e32 v58, s26, v27
	v_fmac_f32_e32 v72, v40, v67
	v_mad_u64_u32 v[66:67], s[16:17], v58, 36, v[6:7]
	v_dot4_i32_i8 v73, v35, v63, 0
	v_dot4_i32_i8 v73, v36, v64, v73
	v_dot4_i32_i8 v73, v41, v65, v73
	v_dot4_i32_i8 v73, v42, v68, v73
	global_load_dwordx4 v[58:61], v[66:67], off
	global_load_dword v68, v[66:67], off offset:32
	global_load_dwordx4 v[62:65], v[66:67], off offset:16
	v_cvt_f32_i32_e32 v71, v71
	v_fma_f32 v74, v39, v69, 0
	v_fmac_f32_e32 v74, v43, v70
	v_add_f32_e32 v71, v72, v71
	v_cvt_f32_i32_e32 v72, v73
	v_add_f32_e32 v72, v74, v72
	v_mul_f32_e32 v72, v72, v46
	v_fmac_f32_e32 v72, v71, v45
	v_fmac_f32_e32 v21, v75, v72
	s_waitcnt vmcnt(2)
	v_dot4_i32_i8 v66, v59, s22, 0
	v_dot4_i32_i8 v71, v32, v59, 0
	v_dot4_i32_i8 v59, v47, v59, 0
	v_dot4_i32_i8 v66, v60, s22, v66
	v_dot4_i32_i8 v67, v61, s22, 0
	v_dot4_i32_i8 v59, v48, v60, v59
	v_cvt_f32_i32_e32 v66, v66
	s_waitcnt vmcnt(0)
	v_dot4_i32_i8 v67, v62, s22, v67
	v_dot4_i32_i8 v59, v52, v61, v59
	v_cvt_f32_i32_e32 v67, v67
	v_dot4_i32_i8 v71, v33, v60, v71
	v_dot4_i32_i8 v59, v55, v62, v59
	v_dot4_i32_i8 v69, v63, s22, 0
	v_dot4_i32_i8 v71, v37, v61, v71
	v_dot4_i32_i8 v61, v50, v63, 0
	v_cvt_f32_i32_e32 v59, v59
	v_dot4_i32_i8 v69, v64, s22, v69
	v_dot4_i32_i8 v70, v65, s22, 0
	v_dot4_i32_i8 v61, v53, v64, v61
	v_cvt_f32_i32_e32 v69, v69
	v_dot4_i32_i8 v70, v68, s22, v70
	v_fma_f32 v60, v49, v66, 0
	v_dot4_i32_i8 v61, v51, v65, v61
	v_cvt_f32_i32_e32 v70, v70
	v_fmac_f32_e32 v60, v57, v67
	v_dot4_i32_i8 v61, v54, v68, v61
	v_add_f32_e32 v59, v60, v59
	v_cvt_f32_i32_e32 v60, v61
	v_cvt_f32_f16_e32 v58, v58
	v_dot4_i32_i8 v71, v38, v62, v71
	v_fma_f32 v62, v56, v69, 0
	v_fmac_f32_e32 v62, v5, v70
	v_add_f32_e32 v60, v62, v60
	v_mul_f32_e32 v60, v60, v4
	v_mul_f32_e32 v75, v58, v44
	v_mul_f32_e32 v58, v58, v2
	v_fmac_f32_e32 v60, v59, v3
	v_fma_f32 v72, v34, v66, 0
	v_fmac_f32_e32 v18, v58, v60
	v_add_u32_e32 v58, s25, v27
	v_fmac_f32_e32 v72, v40, v67
	v_mad_u64_u32 v[66:67], s[16:17], v58, 36, v[6:7]
	v_dot4_i32_i8 v73, v35, v63, 0
	v_dot4_i32_i8 v73, v36, v64, v73
	v_dot4_i32_i8 v73, v41, v65, v73
	v_dot4_i32_i8 v73, v42, v68, v73
	global_load_dwordx4 v[58:61], v[66:67], off
	global_load_dword v68, v[66:67], off offset:32
	global_load_dwordx4 v[62:65], v[66:67], off offset:16
	v_cvt_f32_i32_e32 v71, v71
	v_fma_f32 v74, v39, v69, 0
	v_fmac_f32_e32 v74, v43, v70
	v_add_f32_e32 v71, v72, v71
	v_cvt_f32_i32_e32 v72, v73
	v_add_f32_e32 v72, v74, v72
	v_mul_f32_e32 v72, v72, v46
	v_fmac_f32_e32 v72, v71, v45
	v_fmac_f32_e32 v19, v75, v72
	;; [unrolled: 60-line block ×4, first 2 shown]
	s_waitcnt vmcnt(2)
	v_dot4_i32_i8 v66, v59, s22, 0
	v_dot4_i32_i8 v71, v32, v59, 0
	;; [unrolled: 1-line block ×6, first 2 shown]
	v_cvt_f32_i32_e32 v66, v66
	s_waitcnt vmcnt(0)
	v_dot4_i32_i8 v67, v62, s22, v67
	v_dot4_i32_i8 v59, v52, v61, v59
	v_cvt_f32_i32_e32 v67, v67
	v_dot4_i32_i8 v71, v33, v60, v71
	v_dot4_i32_i8 v59, v55, v62, v59
	;; [unrolled: 1-line block ×5, first 2 shown]
	v_cvt_f32_i32_e32 v59, v59
	v_dot4_i32_i8 v69, v64, s22, v69
	v_dot4_i32_i8 v70, v65, s22, 0
	;; [unrolled: 1-line block ×3, first 2 shown]
	v_cvt_f32_i32_e32 v69, v69
	v_dot4_i32_i8 v70, v68, s22, v70
	v_fma_f32 v60, v49, v66, 0
	v_dot4_i32_i8 v61, v51, v65, v61
	v_cvt_f32_i32_e32 v70, v70
	v_fmac_f32_e32 v60, v57, v67
	v_dot4_i32_i8 v61, v54, v68, v61
	v_add_f32_e32 v59, v60, v59
	v_cvt_f32_i32_e32 v60, v61
	v_cvt_f32_f16_e32 v58, v58
	v_dot4_i32_i8 v71, v38, v62, v71
	v_fma_f32 v62, v56, v69, 0
	v_fmac_f32_e32 v62, v5, v70
	v_add_f32_e32 v60, v62, v60
	v_mul_f32_e32 v60, v60, v4
	v_mul_f32_e32 v75, v58, v44
	;; [unrolled: 1-line block ×3, first 2 shown]
	v_fmac_f32_e32 v60, v59, v3
	v_fmac_f32_e32 v12, v58, v60
	v_add_u32_e32 v58, s15, v27
	v_mad_u64_u32 v[58:59], s[16:17], v58, 36, v[6:7]
	v_dot4_i32_i8 v73, v35, v63, 0
	v_dot4_i32_i8 v73, v36, v64, v73
	v_fma_f32 v72, v34, v66, 0
	v_dot4_i32_i8 v73, v41, v65, v73
	v_fmac_f32_e32 v72, v40, v67
	v_dot4_i32_i8 v73, v42, v68, v73
	global_load_dwordx4 v[60:63], v[58:59], off
	global_load_dword v68, v[58:59], off offset:32
	global_load_dwordx4 v[64:67], v[58:59], off offset:16
	v_cvt_f32_i32_e32 v71, v71
	v_fma_f32 v74, v39, v69, 0
	v_fmac_f32_e32 v74, v43, v70
	v_add_u32_e32 v27, 64, v27
	v_add_f32_e32 v71, v72, v71
	v_cvt_f32_i32_e32 v72, v73
	v_add_f32_e32 v72, v74, v72
	v_mul_f32_e32 v72, v72, v46
	v_fmac_f32_e32 v72, v71, v45
	v_fmac_f32_e32 v13, v75, v72
	s_waitcnt vmcnt(2)
	v_dot4_i32_i8 v58, v61, s22, 0
	v_dot4_i32_i8 v58, v62, s22, v58
	v_cvt_f32_i32_e32 v69, v58
	v_dot4_i32_i8 v32, v32, v61, 0
	v_dot4_i32_i8 v58, v63, s22, 0
	;; [unrolled: 1-line block ×3, first 2 shown]
	s_waitcnt vmcnt(0)
	v_dot4_i32_i8 v58, v64, s22, v58
	v_dot4_i32_i8 v32, v37, v63, v32
	v_cvt_f32_i32_e32 v70, v58
	v_dot4_i32_i8 v58, v65, s22, 0
	v_dot4_i32_i8 v32, v38, v64, v32
	;; [unrolled: 1-line block ×3, first 2 shown]
	v_fma_f32 v33, v34, v69, 0
	v_dot4_i32_i8 v34, v35, v65, 0
	v_cvt_f32_i32_e32 v32, v32
	v_cvt_f32_i32_e32 v71, v58
	v_dot4_i32_i8 v58, v67, s22, 0
	v_dot4_i32_i8 v34, v36, v66, v34
	v_dot4_i32_i8 v58, v68, s22, v58
	v_dot4_i32_i8 v34, v41, v67, v34
	v_cvt_f32_i32_e32 v59, v58
	v_fmac_f32_e32 v33, v40, v70
	v_dot4_i32_i8 v34, v42, v68, v34
	v_add_f32_e32 v32, v33, v32
	v_cvt_f32_i32_e32 v33, v34
	v_cvt_f32_f16_e32 v58, v60
	v_fma_f32 v35, v39, v71, 0
	v_fmac_f32_e32 v35, v43, v59
	v_add_f32_e32 v33, v35, v33
	v_mul_f32_e32 v33, v33, v46
	v_mul_f32_e32 v36, v58, v44
	v_fmac_f32_e32 v33, v32, v45
	v_dot4_i32_i8 v32, v47, v61, 0
	v_fmac_f32_e32 v11, v36, v33
	v_dot4_i32_i8 v33, v48, v62, v32
	v_dot4_i32_i8 v33, v52, v63, v33
	;; [unrolled: 1-line block ×3, first 2 shown]
	v_fma_f32 v35, v56, v71, 0
	v_dot4_i32_i8 v34, v50, v65, 0
	v_fmac_f32_e32 v35, v5, v59
	v_cvt_f32_i32_e32 v5, v33
	v_dot4_i32_i8 v34, v53, v66, v34
	v_fma_f32 v32, v49, v69, 0
	v_dot4_i32_i8 v34, v51, v67, v34
	v_fmac_f32_e32 v32, v57, v70
	v_dot4_i32_i8 v34, v54, v68, v34
	v_add_f32_e32 v5, v32, v5
	v_cvt_f32_i32_e32 v32, v34
	v_mul_f32_e32 v2, v58, v2
	v_add_f32_e32 v32, v35, v32
	v_mul_f32_e32 v4, v32, v4
	v_fmac_f32_e32 v4, v5, v3
	v_fmac_f32_e32 v10, v2, v4
	s_andn2_b64 exec, exec, s[12:13]
	s_cbranch_execnz .LBB226_2
; %bb.3:
	s_or_b64 exec, exec, s[12:13]
.LBB226_4:
	s_or_b64 exec, exec, s[10:11]
	s_mov_b32 s1, 0
	v_cmp_eq_u32_e32 vcc, 0, v1
	; wave barrier
	s_and_saveexec_b64 s[10:11], vcc
	s_cbranch_execz .LBB226_19
; %bb.5:
	v_mbcnt_lo_u32_b32 v1, -1, 0
	v_mbcnt_hi_u32_b32 v6, -1, v1
	v_and_b32_e32 v1, 64, v6
	v_add_u32_e32 v7, 64, v1
	v_xor_b32_e32 v1, 32, v6
	v_cmp_lt_i32_e32 vcc, v1, v7
	v_cndmask_b32_e32 v1, v6, v1, vcc
	v_lshlrev_b32_e32 v1, 2, v1
	ds_bpermute_b32 v5, v1, v22
	ds_bpermute_b32 v8, v1, v23
	v_xor_b32_e32 v2, 16, v6
	v_cmp_lt_i32_e32 vcc, v2, v7
	v_cndmask_b32_e32 v2, v6, v2, vcc
	v_lshlrev_b32_e32 v2, 2, v2
	s_waitcnt lgkmcnt(1)
	v_add_f32_e32 v5, v22, v5
	s_waitcnt lgkmcnt(0)
	v_add_f32_e32 v8, v23, v8
	ds_bpermute_b32 v22, v2, v5
	ds_bpermute_b32 v23, v2, v8
	v_xor_b32_e32 v3, 8, v6
	v_cmp_lt_i32_e32 vcc, v3, v7
	v_cndmask_b32_e32 v3, v6, v3, vcc
	v_lshlrev_b32_e32 v3, 2, v3
	s_waitcnt lgkmcnt(1)
	v_add_f32_e32 v22, v5, v22
	s_waitcnt lgkmcnt(0)
	v_add_f32_e32 v8, v8, v23
	;; [unrolled: 10-line block ×3, first 2 shown]
	ds_bpermute_b32 v24, v4, v22
	ds_bpermute_b32 v23, v4, v8
	v_xor_b32_e32 v9, 2, v6
	v_cmp_lt_i32_e32 vcc, v9, v7
	v_cndmask_b32_e32 v9, v6, v9, vcc
	v_lshlrev_b32_e32 v5, 2, v9
	v_xor_b32_e32 v9, 1, v6
	v_cmp_lt_i32_e32 vcc, v9, v7
	s_waitcnt lgkmcnt(1)
	v_add_f32_e32 v7, v22, v24
	s_waitcnt lgkmcnt(0)
	v_add_f32_e32 v22, v8, v23
	v_cndmask_b32_e32 v6, v6, v9, vcc
	ds_bpermute_b32 v9, v5, v7
	ds_bpermute_b32 v23, v5, v22
	s_load_dwordx2 s[4:5], s[4:5], 0x38
	s_mul_i32 s3, s14, s7
	v_lshlrev_b32_e32 v8, 2, v6
	s_waitcnt lgkmcnt(0)
	v_add_f32_e32 v6, v7, v9
	v_add_f32_e32 v9, v22, v23
	s_mul_i32 s0, s18, s8
	s_add_i32 s3, s3, s6
	ds_bpermute_b32 v7, v8, v6
	ds_bpermute_b32 v22, v8, v9
	s_add_i32 s0, s3, s0
	s_lshl_b64 s[0:1], s[0:1], 2
	s_add_u32 s4, s4, s0
	v_add_u32_e32 v23, s6, v0
	s_addc_u32 s5, s5, s1
	v_cmp_gt_u32_e32 vcc, 2, v0
	v_cmp_gt_u32_e64 s[0:1], s2, v23
	s_and_b64 s[0:1], vcc, s[0:1]
	s_waitcnt lgkmcnt(1)
	v_add_f32_e32 v6, v6, v7
	s_waitcnt lgkmcnt(0)
	v_add_f32_e32 v7, v9, v22
	s_and_saveexec_b64 s[6:7], s[0:1]
	s_cbranch_execz .LBB226_7
; %bb.6:
	v_cmp_eq_u32_e32 vcc, 1, v0
	v_cndmask_b32_e32 v9, v6, v7, vcc
	v_cmp_eq_u32_e32 vcc, 2, v0
	v_cndmask_b32_e32 v9, v9, v21, vcc
	;; [unrolled: 2-line block ×13, first 2 shown]
	v_lshlrev_b32_e32 v22, 2, v0
	global_store_dword v22, v9, s[4:5]
.LBB226_7:
	s_or_b64 exec, exec, s[6:7]
	ds_bpermute_b32 v9, v1, v21
	ds_bpermute_b32 v22, v1, v20
	s_waitcnt lgkmcnt(1)
	v_add_f32_e32 v9, v21, v9
	s_waitcnt lgkmcnt(0)
	v_add_f32_e32 v20, v20, v22
	ds_bpermute_b32 v21, v2, v9
	ds_bpermute_b32 v22, v2, v20
	s_waitcnt lgkmcnt(1)
	v_add_f32_e32 v9, v9, v21
	s_waitcnt lgkmcnt(0)
	v_add_f32_e32 v20, v20, v22
	;; [unrolled: 6-line block ×6, first 2 shown]
	s_and_saveexec_b64 s[6:7], s[0:1]
	s_cbranch_execz .LBB226_9
; %bb.8:
	v_add_u32_e32 v21, 2, v0
	v_cmp_eq_u32_e32 vcc, 1, v21
	v_cndmask_b32_e32 v22, v6, v7, vcc
	v_cmp_eq_u32_e32 vcc, 2, v21
	v_cndmask_b32_e32 v22, v22, v20, vcc
	;; [unrolled: 2-line block ×13, first 2 shown]
	v_add_u32_e32 v21, s2, v0
	v_mov_b32_e32 v22, 0
	v_lshlrev_b64 v[21:22], 2, v[21:22]
	v_mov_b32_e32 v24, s5
	v_add_co_u32_e32 v21, vcc, s4, v21
	v_addc_co_u32_e32 v22, vcc, v24, v22, vcc
	global_store_dword v[21:22], v23, off
.LBB226_9:
	s_or_b64 exec, exec, s[6:7]
	ds_bpermute_b32 v21, v1, v19
	ds_bpermute_b32 v22, v1, v18
	s_waitcnt lgkmcnt(1)
	v_add_f32_e32 v19, v19, v21
	s_waitcnt lgkmcnt(0)
	v_add_f32_e32 v18, v18, v22
	ds_bpermute_b32 v21, v2, v19
	ds_bpermute_b32 v22, v2, v18
	s_waitcnt lgkmcnt(1)
	v_add_f32_e32 v19, v19, v21
	s_waitcnt lgkmcnt(0)
	v_add_f32_e32 v18, v18, v22
	;; [unrolled: 6-line block ×6, first 2 shown]
	s_and_saveexec_b64 s[6:7], s[0:1]
	s_cbranch_execz .LBB226_11
; %bb.10:
	v_add_u32_e32 v21, 4, v0
	v_cmp_eq_u32_e32 vcc, 1, v21
	v_cndmask_b32_e32 v22, v6, v7, vcc
	v_cmp_eq_u32_e32 vcc, 2, v21
	v_cndmask_b32_e32 v22, v22, v20, vcc
	;; [unrolled: 2-line block ×13, first 2 shown]
	v_lshl_or_b32 v21, s2, 1, v0
	v_mov_b32_e32 v22, 0
	v_lshlrev_b64 v[21:22], 2, v[21:22]
	v_mov_b32_e32 v24, s5
	v_add_co_u32_e32 v21, vcc, s4, v21
	v_addc_co_u32_e32 v22, vcc, v24, v22, vcc
	global_store_dword v[21:22], v23, off
.LBB226_11:
	s_or_b64 exec, exec, s[6:7]
	ds_bpermute_b32 v21, v1, v17
	ds_bpermute_b32 v22, v1, v16
	s_waitcnt lgkmcnt(1)
	v_add_f32_e32 v17, v17, v21
	s_waitcnt lgkmcnt(0)
	v_add_f32_e32 v16, v16, v22
	ds_bpermute_b32 v21, v2, v17
	ds_bpermute_b32 v22, v2, v16
	s_waitcnt lgkmcnt(1)
	v_add_f32_e32 v17, v17, v21
	s_waitcnt lgkmcnt(0)
	v_add_f32_e32 v16, v16, v22
	;; [unrolled: 6-line block ×6, first 2 shown]
	s_and_saveexec_b64 s[6:7], s[0:1]
	s_cbranch_execz .LBB226_13
; %bb.12:
	v_add_u32_e32 v23, 6, v0
	v_cmp_eq_u32_e32 vcc, 1, v23
	v_cndmask_b32_e32 v21, v6, v7, vcc
	v_cmp_eq_u32_e32 vcc, 2, v23
	v_cndmask_b32_e32 v21, v21, v20, vcc
	;; [unrolled: 2-line block ×12, first 2 shown]
	v_mad_u64_u32 v[21:22], s[8:9], s2, 3, v[0:1]
	v_mov_b32_e32 v22, 0
	v_cmp_eq_u32_e32 vcc, 13, v23
	v_lshlrev_b64 v[21:22], 2, v[21:22]
	v_cndmask_b32_e32 v23, v24, v10, vcc
	v_mov_b32_e32 v24, s5
	v_add_co_u32_e32 v21, vcc, s4, v21
	v_addc_co_u32_e32 v22, vcc, v24, v22, vcc
	global_store_dword v[21:22], v23, off
.LBB226_13:
	s_or_b64 exec, exec, s[6:7]
	ds_bpermute_b32 v21, v1, v15
	ds_bpermute_b32 v22, v1, v14
	s_waitcnt lgkmcnt(1)
	v_add_f32_e32 v15, v15, v21
	s_waitcnt lgkmcnt(0)
	v_add_f32_e32 v14, v14, v22
	ds_bpermute_b32 v21, v2, v15
	ds_bpermute_b32 v22, v2, v14
	s_waitcnt lgkmcnt(1)
	v_add_f32_e32 v15, v15, v21
	s_waitcnt lgkmcnt(0)
	v_add_f32_e32 v14, v14, v22
	;; [unrolled: 6-line block ×6, first 2 shown]
	s_and_saveexec_b64 s[6:7], s[0:1]
	s_cbranch_execz .LBB226_15
; %bb.14:
	v_add_u32_e32 v21, 8, v0
	v_cmp_eq_u32_e32 vcc, 1, v21
	v_cndmask_b32_e32 v22, v6, v7, vcc
	v_cmp_eq_u32_e32 vcc, 2, v21
	v_cndmask_b32_e32 v22, v22, v20, vcc
	;; [unrolled: 2-line block ×13, first 2 shown]
	v_lshl_or_b32 v21, s2, 2, v0
	v_mov_b32_e32 v22, 0
	v_lshlrev_b64 v[21:22], 2, v[21:22]
	v_mov_b32_e32 v24, s5
	v_add_co_u32_e32 v21, vcc, s4, v21
	v_addc_co_u32_e32 v22, vcc, v24, v22, vcc
	global_store_dword v[21:22], v23, off
.LBB226_15:
	s_or_b64 exec, exec, s[6:7]
	ds_bpermute_b32 v21, v1, v13
	ds_bpermute_b32 v22, v1, v12
	s_waitcnt lgkmcnt(1)
	v_add_f32_e32 v13, v13, v21
	s_waitcnt lgkmcnt(0)
	v_add_f32_e32 v12, v12, v22
	ds_bpermute_b32 v21, v2, v13
	ds_bpermute_b32 v22, v2, v12
	s_waitcnt lgkmcnt(1)
	v_add_f32_e32 v13, v13, v21
	s_waitcnt lgkmcnt(0)
	v_add_f32_e32 v12, v12, v22
	;; [unrolled: 6-line block ×6, first 2 shown]
	s_and_saveexec_b64 s[6:7], s[0:1]
	s_cbranch_execz .LBB226_17
; %bb.16:
	v_add_u32_e32 v23, 10, v0
	v_cmp_eq_u32_e32 vcc, 1, v23
	v_cndmask_b32_e32 v21, v6, v7, vcc
	v_cmp_eq_u32_e32 vcc, 2, v23
	v_cndmask_b32_e32 v21, v21, v20, vcc
	;; [unrolled: 2-line block ×12, first 2 shown]
	v_mad_u64_u32 v[21:22], s[8:9], s2, 5, v[0:1]
	v_mov_b32_e32 v22, 0
	v_cmp_eq_u32_e32 vcc, 13, v23
	v_lshlrev_b64 v[21:22], 2, v[21:22]
	v_cndmask_b32_e32 v23, v24, v10, vcc
	v_mov_b32_e32 v24, s5
	v_add_co_u32_e32 v21, vcc, s4, v21
	v_addc_co_u32_e32 v22, vcc, v24, v22, vcc
	global_store_dword v[21:22], v23, off
.LBB226_17:
	s_or_b64 exec, exec, s[6:7]
	ds_bpermute_b32 v21, v1, v11
	ds_bpermute_b32 v1, v1, v10
	s_waitcnt lgkmcnt(1)
	v_add_f32_e32 v11, v11, v21
	s_waitcnt lgkmcnt(0)
	v_add_f32_e32 v1, v10, v1
	ds_bpermute_b32 v10, v2, v11
	ds_bpermute_b32 v2, v2, v1
	s_waitcnt lgkmcnt(1)
	v_add_f32_e32 v10, v11, v10
	s_waitcnt lgkmcnt(0)
	v_add_f32_e32 v1, v1, v2
	;; [unrolled: 6-line block ×5, first 2 shown]
	ds_bpermute_b32 v3, v8, v1
	ds_bpermute_b32 v4, v8, v2
	s_and_b64 exec, exec, s[0:1]
	s_cbranch_execz .LBB226_19
; %bb.18:
	s_waitcnt lgkmcnt(1)
	v_add_f32_e32 v1, v1, v3
	v_add_u32_e32 v3, 12, v0
	v_cmp_eq_u32_e32 vcc, 1, v3
	s_waitcnt lgkmcnt(0)
	v_add_f32_e32 v2, v2, v4
	v_cndmask_b32_e32 v4, v6, v7, vcc
	v_cmp_eq_u32_e32 vcc, 2, v3
	v_cndmask_b32_e32 v4, v4, v20, vcc
	v_cmp_eq_u32_e32 vcc, 3, v3
	;; [unrolled: 2-line block ×12, first 2 shown]
	s_mul_i32 s0, s2, 6
	v_cndmask_b32_e32 v2, v1, v2, vcc
	v_or_b32_e32 v0, s0, v0
	v_mov_b32_e32 v1, 0
	v_lshlrev_b64 v[0:1], 2, v[0:1]
	v_mov_b32_e32 v3, s5
	v_add_co_u32_e32 v0, vcc, s4, v0
	v_addc_co_u32_e32 v1, vcc, v3, v1, vcc
	global_store_dword v[0:1], v2, off
.LBB226_19:
	s_endpgm
	.section	.rodata,"a",@progbits
	.p2align	6, 0x0
	.amdhsa_kernel _ZL13mul_mat_vec_qIL9ggml_type29ELi7ELb0ELb0EEvPKvS2_PKi31ggml_cuda_mm_fusion_args_devicePfj15HIP_vector_typeIjLj3EEjjjS8_jjjS8_jjjj
		.amdhsa_group_segment_fixed_size 0
		.amdhsa_private_segment_fixed_size 0
		.amdhsa_kernarg_size 144
		.amdhsa_user_sgpr_count 6
		.amdhsa_user_sgpr_private_segment_buffer 1
		.amdhsa_user_sgpr_dispatch_ptr 0
		.amdhsa_user_sgpr_queue_ptr 0
		.amdhsa_user_sgpr_kernarg_segment_ptr 1
		.amdhsa_user_sgpr_dispatch_id 0
		.amdhsa_user_sgpr_flat_scratch_init 0
		.amdhsa_user_sgpr_private_segment_size 0
		.amdhsa_uses_dynamic_stack 0
		.amdhsa_system_sgpr_private_segment_wavefront_offset 0
		.amdhsa_system_sgpr_workgroup_id_x 1
		.amdhsa_system_sgpr_workgroup_id_y 1
		.amdhsa_system_sgpr_workgroup_id_z 1
		.amdhsa_system_sgpr_workgroup_info 0
		.amdhsa_system_vgpr_workitem_id 1
		.amdhsa_next_free_vgpr 76
		.amdhsa_next_free_sgpr 32
		.amdhsa_reserve_vcc 1
		.amdhsa_reserve_flat_scratch 0
		.amdhsa_float_round_mode_32 0
		.amdhsa_float_round_mode_16_64 0
		.amdhsa_float_denorm_mode_32 3
		.amdhsa_float_denorm_mode_16_64 3
		.amdhsa_dx10_clamp 1
		.amdhsa_ieee_mode 1
		.amdhsa_fp16_overflow 0
		.amdhsa_exception_fp_ieee_invalid_op 0
		.amdhsa_exception_fp_denorm_src 0
		.amdhsa_exception_fp_ieee_div_zero 0
		.amdhsa_exception_fp_ieee_overflow 0
		.amdhsa_exception_fp_ieee_underflow 0
		.amdhsa_exception_fp_ieee_inexact 0
		.amdhsa_exception_int_div_zero 0
	.end_amdhsa_kernel
	.section	.text._ZL13mul_mat_vec_qIL9ggml_type29ELi7ELb0ELb0EEvPKvS2_PKi31ggml_cuda_mm_fusion_args_devicePfj15HIP_vector_typeIjLj3EEjjjS8_jjjS8_jjjj,"axG",@progbits,_ZL13mul_mat_vec_qIL9ggml_type29ELi7ELb0ELb0EEvPKvS2_PKi31ggml_cuda_mm_fusion_args_devicePfj15HIP_vector_typeIjLj3EEjjjS8_jjjS8_jjjj,comdat
.Lfunc_end226:
	.size	_ZL13mul_mat_vec_qIL9ggml_type29ELi7ELb0ELb0EEvPKvS2_PKi31ggml_cuda_mm_fusion_args_devicePfj15HIP_vector_typeIjLj3EEjjjS8_jjjS8_jjjj, .Lfunc_end226-_ZL13mul_mat_vec_qIL9ggml_type29ELi7ELb0ELb0EEvPKvS2_PKi31ggml_cuda_mm_fusion_args_devicePfj15HIP_vector_typeIjLj3EEjjjS8_jjjS8_jjjj
                                        ; -- End function
	.set _ZL13mul_mat_vec_qIL9ggml_type29ELi7ELb0ELb0EEvPKvS2_PKi31ggml_cuda_mm_fusion_args_devicePfj15HIP_vector_typeIjLj3EEjjjS8_jjjS8_jjjj.num_vgpr, 76
	.set _ZL13mul_mat_vec_qIL9ggml_type29ELi7ELb0ELb0EEvPKvS2_PKi31ggml_cuda_mm_fusion_args_devicePfj15HIP_vector_typeIjLj3EEjjjS8_jjjS8_jjjj.num_agpr, 0
	.set _ZL13mul_mat_vec_qIL9ggml_type29ELi7ELb0ELb0EEvPKvS2_PKi31ggml_cuda_mm_fusion_args_devicePfj15HIP_vector_typeIjLj3EEjjjS8_jjjS8_jjjj.numbered_sgpr, 32
	.set _ZL13mul_mat_vec_qIL9ggml_type29ELi7ELb0ELb0EEvPKvS2_PKi31ggml_cuda_mm_fusion_args_devicePfj15HIP_vector_typeIjLj3EEjjjS8_jjjS8_jjjj.num_named_barrier, 0
	.set _ZL13mul_mat_vec_qIL9ggml_type29ELi7ELb0ELb0EEvPKvS2_PKi31ggml_cuda_mm_fusion_args_devicePfj15HIP_vector_typeIjLj3EEjjjS8_jjjS8_jjjj.private_seg_size, 0
	.set _ZL13mul_mat_vec_qIL9ggml_type29ELi7ELb0ELb0EEvPKvS2_PKi31ggml_cuda_mm_fusion_args_devicePfj15HIP_vector_typeIjLj3EEjjjS8_jjjS8_jjjj.uses_vcc, 1
	.set _ZL13mul_mat_vec_qIL9ggml_type29ELi7ELb0ELb0EEvPKvS2_PKi31ggml_cuda_mm_fusion_args_devicePfj15HIP_vector_typeIjLj3EEjjjS8_jjjS8_jjjj.uses_flat_scratch, 0
	.set _ZL13mul_mat_vec_qIL9ggml_type29ELi7ELb0ELb0EEvPKvS2_PKi31ggml_cuda_mm_fusion_args_devicePfj15HIP_vector_typeIjLj3EEjjjS8_jjjS8_jjjj.has_dyn_sized_stack, 0
	.set _ZL13mul_mat_vec_qIL9ggml_type29ELi7ELb0ELb0EEvPKvS2_PKi31ggml_cuda_mm_fusion_args_devicePfj15HIP_vector_typeIjLj3EEjjjS8_jjjS8_jjjj.has_recursion, 0
	.set _ZL13mul_mat_vec_qIL9ggml_type29ELi7ELb0ELb0EEvPKvS2_PKi31ggml_cuda_mm_fusion_args_devicePfj15HIP_vector_typeIjLj3EEjjjS8_jjjS8_jjjj.has_indirect_call, 0
	.section	.AMDGPU.csdata,"",@progbits
; Kernel info:
; codeLenInByte = 6720
; TotalNumSgprs: 36
; NumVgprs: 76
; ScratchSize: 0
; MemoryBound: 0
; FloatMode: 240
; IeeeMode: 1
; LDSByteSize: 0 bytes/workgroup (compile time only)
; SGPRBlocks: 4
; VGPRBlocks: 18
; NumSGPRsForWavesPerEU: 36
; NumVGPRsForWavesPerEU: 76
; Occupancy: 3
; WaveLimiterHint : 0
; COMPUTE_PGM_RSRC2:SCRATCH_EN: 0
; COMPUTE_PGM_RSRC2:USER_SGPR: 6
; COMPUTE_PGM_RSRC2:TRAP_HANDLER: 0
; COMPUTE_PGM_RSRC2:TGID_X_EN: 1
; COMPUTE_PGM_RSRC2:TGID_Y_EN: 1
; COMPUTE_PGM_RSRC2:TGID_Z_EN: 1
; COMPUTE_PGM_RSRC2:TIDIG_COMP_CNT: 1
	.section	.text._ZL13mul_mat_vec_qIL9ggml_type29ELi8ELb0ELb0EEvPKvS2_PKi31ggml_cuda_mm_fusion_args_devicePfj15HIP_vector_typeIjLj3EEjjjS8_jjjS8_jjjj,"axG",@progbits,_ZL13mul_mat_vec_qIL9ggml_type29ELi8ELb0ELb0EEvPKvS2_PKi31ggml_cuda_mm_fusion_args_devicePfj15HIP_vector_typeIjLj3EEjjjS8_jjjS8_jjjj,comdat
	.globl	_ZL13mul_mat_vec_qIL9ggml_type29ELi8ELb0ELb0EEvPKvS2_PKi31ggml_cuda_mm_fusion_args_devicePfj15HIP_vector_typeIjLj3EEjjjS8_jjjS8_jjjj ; -- Begin function _ZL13mul_mat_vec_qIL9ggml_type29ELi8ELb0ELb0EEvPKvS2_PKi31ggml_cuda_mm_fusion_args_devicePfj15HIP_vector_typeIjLj3EEjjjS8_jjjS8_jjjj
	.p2align	8
	.type	_ZL13mul_mat_vec_qIL9ggml_type29ELi8ELb0ELb0EEvPKvS2_PKi31ggml_cuda_mm_fusion_args_devicePfj15HIP_vector_typeIjLj3EEjjjS8_jjjS8_jjjj,@function
_ZL13mul_mat_vec_qIL9ggml_type29ELi8ELb0ELb0EEvPKvS2_PKi31ggml_cuda_mm_fusion_args_devicePfj15HIP_vector_typeIjLj3EEjjjS8_jjjS8_jjjj: ; @_ZL13mul_mat_vec_qIL9ggml_type29ELi8ELb0ELb0EEvPKvS2_PKi31ggml_cuda_mm_fusion_args_devicePfj15HIP_vector_typeIjLj3EEjjjS8_jjjS8_jjjj
; %bb.0:
	s_load_dword s9, s[4:5], 0x40
	s_load_dwordx4 s[0:3], s[4:5], 0x50
	s_load_dword s25, s[4:5], 0x60
	s_load_dwordx4 s[12:15], s[4:5], 0x68
	;; [unrolled: 2-line block ×3, first 2 shown]
	v_lshl_or_b32 v2, v1, 6, v0
	s_waitcnt lgkmcnt(0)
	s_lshr_b32 s9, s9, 8
	v_lshrrev_b32_e32 v26, 3, v2
	v_mov_b32_e32 v10, 0
	s_lshl_b32 s6, s6, 1
	v_cmp_gt_u32_e32 vcc, s9, v26
	v_mov_b32_e32 v11, v10
	v_mov_b32_e32 v12, v10
	;; [unrolled: 1-line block ×15, first 2 shown]
	s_and_saveexec_b64 s[10:11], vcc
	s_cbranch_execz .LBB227_4
; %bb.1:
	s_mul_hi_u32 s3, s3, s7
	s_add_i32 s3, s7, s3
	s_load_dwordx4 s[20:23], s[4:5], 0x0
	s_lshr_b32 s3, s3, s25
	s_mul_i32 s3, s3, s12
	s_mul_hi_u32 s12, s15, s8
	s_add_i32 s12, s8, s12
	s_lshr_b32 s12, s12, s24
	s_mul_i32 s25, s17, s8
	s_mul_i32 s15, s12, s16
	s_mul_i32 s16, s25, 36
	s_mul_hi_u32 s12, s25, 36
	s_waitcnt lgkmcnt(0)
	s_add_u32 s16, s22, s16
	s_addc_u32 s17, s23, s12
	s_mul_i32 s12, s13, s7
	s_mul_hi_u32 s13, s12, 36
	s_mul_i32 s12, s12, 36
	s_add_u32 s16, s16, s12
	s_addc_u32 s17, s17, s13
	v_and_b32_e32 v4, 7, v0
	v_mad_u64_u32 v[6:7], s[16:17], v4, 36, s[16:17]
	v_and_b32_e32 v2, 1, v0
	v_cmp_eq_u32_e32 vcc, 1, v2
	s_add_i32 s16, s6, 1
	v_mov_b32_e32 v2, s12
	s_add_i32 s15, s15, s3
	s_mul_i32 s3, s6, s0
	s_mul_i32 s0, s0, s16
	s_movk_i32 s16, 0x120
	v_mov_b32_e32 v3, s13
	v_mad_u64_u32 v[2:3], s[12:13], v26, s16, v[2:3]
	v_cndmask_b32_e64 v28, 0, 6, vcc
	v_mov_b32_e32 v8, s23
	v_mad_u64_u32 v[2:3], s[12:13], s25, 36, v[2:3]
	v_mov_b32_e32 v24, 0
	v_bfe_u32 v5, v0, 1, 2
	v_mad_u64_u32 v[2:3], s[12:13], v4, 36, v[2:3]
	v_lshlrev_b32_e32 v27, 1, v4
	s_add_i32 s3, s15, s3
	v_add_co_u32_e32 v2, vcc, s22, v2
	v_addc_co_u32_e32 v3, vcc, v8, v3, vcc
	v_add_co_u32_e32 v8, vcc, 16, v2
	s_add_i32 s0, s15, s0
	v_lshlrev_b32_e32 v29, 3, v26
	s_mul_i32 s15, s1, 7
	s_mul_i32 s19, s1, 6
	;; [unrolled: 1-line block ×3, first 2 shown]
	s_lshl_b32 s25, s1, 2
	s_mul_i32 s26, s1, 3
	s_lshl_b32 s27, s1, 1
	v_addc_co_u32_e32 v9, vcc, 0, v3, vcc
	s_mov_b64 s[12:13], 0
	s_mov_b32 s22, 0x1010101
	v_lshlrev_b32_e32 v30, 2, v4
	s_movk_i32 s23, 0x700
	s_movk_i32 s28, 0xf0
	;; [unrolled: 1-line block ×3, first 2 shown]
	v_lshlrev_b32_e32 v31, 1, v5
	v_mov_b32_e32 v32, 8
	v_mov_b32_e32 v33, 4
	;; [unrolled: 1-line block ×17, first 2 shown]
.LBB227_2:                              ; =>This Inner Loop Header: Depth=1
	global_load_dwordx4 v[50:53], v[8:9], off offset:-16
	global_load_dword v60, v[8:9], off offset:16
	global_load_dwordx4 v[2:5], v[8:9], off
	v_add_u32_e32 v34, s3, v26
	v_mad_i64_i32 v[47:48], s[16:17], v34, 56, s[20:21]
	s_getpc_b64 s[16:17]
	s_add_u32 s16, s16, _ZL13iq1s_grid_gpu@rel32@lo+4
	s_addc_u32 s17, s17, _ZL13iq1s_grid_gpu@rel32@hi+12
	v_mov_b32_e32 v42, 0xbf600000
	v_add_co_u32_e32 v34, vcc, v47, v30
	s_waitcnt vmcnt(2)
	v_dot4_i32_i8 v35, v51, s22, 0
	v_dot4_i32_i8 v35, v52, s22, v35
	v_cvt_f32_i32_e32 v54, v35
	v_dot4_i32_i8 v35, v53, s22, 0
	s_waitcnt vmcnt(0)
	v_dot4_i32_i8 v35, v2, s22, v35
	v_cvt_f32_i32_e32 v55, v35
	v_dot4_i32_i8 v35, v3, s22, 0
	v_dot4_i32_i8 v35, v4, s22, v35
	v_cvt_f32_i32_e32 v56, v35
	v_dot4_i32_i8 v35, v5, s22, 0
	v_dot4_i32_i8 v35, v60, s22, v35
	v_cvt_f32_i32_e32 v64, v35
	v_addc_co_u32_e32 v35, vcc, 0, v48, vcc
	v_cvt_f32_f16_e32 v61, v50
	global_load_dword v37, v[34:35], off
	global_load_dwordx2 v[49:50], v[47:48], off offset:48
	v_add_co_u32_e32 v34, vcc, v47, v27
	v_addc_co_u32_e32 v35, vcc, 0, v48, vcc
	global_load_ushort v44, v[34:35], off offset:32
	v_add_co_u32_e32 v47, vcc, v47, v31
	v_addc_co_u32_e32 v48, vcc, 0, v48, vcc
	global_load_ushort v47, v[47:48], off offset:48
	s_waitcnt vmcnt(3)
	v_and_b32_e32 v34, 0xff, v37
	v_lshrrev_b32_e32 v43, 24, v37
	s_waitcnt vmcnt(1)
	v_lshlrev_b32_e32 v35, 8, v44
	v_and_or_b32 v34, v35, s23, v34
	v_lshlrev_b32_e32 v34, 2, v34
	global_load_dword v35, v34, s[16:17]
	v_lshlrev_b32_e32 v40, 4, v44
	v_lshrrev_b32_e32 v41, 4, v44
	s_waitcnt vmcnt(1)
	v_lshrrev_b32_e32 v47, v28, v47
	v_lshlrev_b32_e32 v48, 1, v47
	v_lshrrev_b32_e32 v47, 2, v47
	v_and_or_b32 v48, v48, 14, 1
	s_waitcnt vmcnt(0)
	v_and_b32_e32 v34, 0xf0f0f0f, v35
	v_lshrrev_b32_e32 v35, 4, v35
	v_and_b32_e32 v35, 0xf0f0f0f, v35
	v_dot4_i32_i8 v36, v34, v51, 0
	v_dot4_i32_i8 v38, v35, v52, v36
	v_and_b32_e32 v36, 8, v44
	v_cvt_f32_ubyte0_e32 v39, v36
	v_mov_b32_e32 v36, 0xbf600000
	v_fmac_f32_e32 v36, 0xbd000000, v39
	v_bfe_u32 v39, v37, 8, 8
	v_and_or_b32 v39, v40, s23, v39
	v_lshlrev_b32_e32 v39, 2, v39
	global_load_dword v40, v39, s[16:17]
	v_bfe_u32 v37, v37, 16, 8
	v_fma_f32 v57, v36, v54, 0
	s_waitcnt vmcnt(0)
	v_and_b32_e32 v39, 0xf0f0f0f, v40
	v_lshrrev_b32_e32 v40, 4, v40
	v_and_b32_e32 v40, 0xf0f0f0f, v40
	v_dot4_i32_i8 v38, v39, v53, v38
	v_dot4_i32_i8 v58, v40, v2, v38
	v_and_b32_e32 v38, 8, v41
	v_cvt_f32_ubyte0_e32 v38, v38
	v_fmac_f32_e32 v42, 0xbd000000, v38
	v_lshlrev_b32_sdwa v38, v32, v44 dst_sel:DWORD dst_unused:UNUSED_PAD src0_sel:DWORD src1_sel:BYTE_1
	v_and_or_b32 v37, v38, s23, v37
	v_lshlrev_b32_e32 v37, 2, v37
	global_load_dword v38, v37, s[16:17]
	v_fmac_f32_e32 v57, v42, v55
	s_waitcnt vmcnt(0)
	v_and_b32_e32 v37, 0xf0f0f0f, v38
	v_lshrrev_b32_e32 v38, 4, v38
	v_and_b32_e32 v38, 0xf0f0f0f, v38
	v_dot4_i32_i8 v41, v37, v3, 0
	v_dot4_i32_i8 v45, v38, v4, v41
	v_and_b32_sdwa v41, v44, v32 dst_sel:DWORD dst_unused:UNUSED_PAD src0_sel:BYTE_1 src1_sel:DWORD
	v_cvt_f32_ubyte0_e32 v46, v41
	v_mov_b32_e32 v41, 0xbf600000
	v_fmac_f32_e32 v41, 0xbd000000, v46
	v_lshrrev_b32_sdwa v46, v33, v44 dst_sel:DWORD dst_unused:UNUSED_PAD src0_sel:DWORD src1_sel:BYTE_1
	v_lshlrev_b32_sdwa v44, v33, v44 dst_sel:DWORD dst_unused:UNUSED_PAD src0_sel:DWORD src1_sel:BYTE_1
	v_and_or_b32 v43, v44, s23, v43
	v_lshlrev_b32_e32 v43, 2, v43
	global_load_dword v44, v43, s[16:17]
	v_fma_f32 v59, v41, v56, 0
	s_waitcnt vmcnt(0)
	v_and_b32_e32 v43, 0xf0f0f0f, v44
	v_lshrrev_b32_e32 v44, 4, v44
	v_and_b32_e32 v44, 0xf0f0f0f, v44
	v_dot4_i32_i8 v45, v43, v5, v45
	v_dot4_i32_i8 v62, v44, v60, v45
	v_and_b32_e32 v45, 8, v46
	v_cvt_f32_ubyte0_e32 v46, v45
	v_mov_b32_e32 v45, 0xbf600000
	v_fmac_f32_e32 v45, 0xbd000000, v46
	v_lshrrev_b16_e32 v46, 12, v49
	v_and_b32_sdwa v49, v49, s28 dst_sel:DWORD dst_unused:UNUSED_PAD src0_sel:BYTE_3 src1_sel:DWORD
	v_or_b32_e32 v46, v49, v46
	v_lshrrev_b16_e32 v49, 4, v50
	v_and_b32_e32 v49, 0xf00, v49
	v_or_b32_e32 v46, v46, v49
	v_and_b32_sdwa v49, v50, s29 dst_sel:DWORD dst_unused:UNUSED_PAD src0_sel:WORD_1 src1_sel:DWORD
	v_and_or_b32 v50, v47, 14, 1
	v_cvt_f32_i32_e32 v47, v58
	v_or_b32_e32 v46, v46, v49
	v_cvt_f32_f16_e32 v46, v46
	v_fmac_f32_e32 v59, v45, v64
	v_add_f32_e32 v57, v57, v47
	v_cvt_f32_ubyte0_e32 v47, v48
	v_cvt_f32_i32_e32 v48, v62
	v_mul_f32_e32 v49, v61, v46
	v_add_f32_e32 v58, v59, v48
	v_cvt_f32_ubyte0_e32 v48, v50
	v_mul_f32_e32 v50, v58, v48
	v_fmac_f32_e32 v50, v57, v47
	v_fmac_f32_e32 v24, v49, v50
	v_add_u32_e32 v49, s0, v26
	v_mad_i64_i32 v[62:63], s[30:31], v49, 56, s[20:21]
	v_add_u32_e32 v26, 8, v26
	v_add_co_u32_e32 v49, vcc, v62, v30
	v_addc_co_u32_e32 v50, vcc, 0, v63, vcc
	global_load_dword v58, v[49:50], off
	v_add_co_u32_e32 v49, vcc, v62, v27
	v_addc_co_u32_e32 v50, vcc, 0, v63, vcc
	global_load_ushort v66, v[49:50], off offset:32
	s_waitcnt vmcnt(1)
	v_and_b32_e32 v49, 0xff, v58
	v_lshrrev_b32_e32 v65, 24, v58
	s_waitcnt vmcnt(0)
	v_lshlrev_b32_e32 v50, 8, v66
	v_and_or_b32 v49, v50, s23, v49
	v_lshlrev_b32_e32 v49, 2, v49
	global_load_dword v50, v49, s[16:17]
	v_lshrrev_b32_e32 v59, 4, v66
	s_waitcnt vmcnt(0)
	v_and_b32_e32 v49, 0xf0f0f0f, v50
	v_lshrrev_b32_e32 v50, 4, v50
	v_and_b32_e32 v50, 0xf0f0f0f, v50
	v_dot4_i32_i8 v51, v49, v51, 0
	v_dot4_i32_i8 v52, v50, v52, v51
	v_and_b32_e32 v51, 8, v66
	v_cvt_f32_ubyte0_e32 v57, v51
	v_mov_b32_e32 v51, 0xbf600000
	v_fmac_f32_e32 v51, 0xbd000000, v57
	v_fma_f32 v67, v51, v54, 0
	v_bfe_u32 v54, v58, 8, 8
	v_lshlrev_b32_e32 v57, 4, v66
	v_and_or_b32 v54, v57, s23, v54
	v_lshlrev_b32_e32 v54, 2, v54
	global_load_dword v57, v54, s[16:17]
	s_waitcnt vmcnt(0)
	v_and_b32_e32 v54, 0xf0f0f0f, v57
	v_lshrrev_b32_e32 v57, 4, v57
	v_and_b32_e32 v57, 0xf0f0f0f, v57
	v_dot4_i32_i8 v52, v54, v53, v52
	v_dot4_i32_i8 v68, v57, v2, v52
	v_and_b32_e32 v2, 8, v59
	v_cvt_f32_ubyte0_e32 v2, v2
	v_mov_b32_e32 v59, 0xbf600000
	v_fmac_f32_e32 v59, 0xbd000000, v2
	v_bfe_u32 v2, v58, 16, 8
	v_lshlrev_b32_sdwa v52, v32, v66 dst_sel:DWORD dst_unused:UNUSED_PAD src0_sel:DWORD src1_sel:BYTE_1
	v_and_or_b32 v2, v52, s23, v2
	v_lshlrev_b32_e32 v2, 2, v2
	global_load_dword v2, v2, s[16:17]
	v_fmac_f32_e32 v67, v59, v55
	v_mov_b32_e32 v58, 0xbf600000
	s_waitcnt vmcnt(0)
	v_and_b32_e32 v52, 0xf0f0f0f, v2
	v_lshrrev_b32_e32 v2, 4, v2
	v_and_b32_e32 v55, 0xf0f0f0f, v2
	v_dot4_i32_i8 v2, v52, v3, 0
	v_dot4_i32_i8 v2, v55, v4, v2
	v_lshlrev_b32_sdwa v4, v33, v66 dst_sel:DWORD dst_unused:UNUSED_PAD src0_sel:DWORD src1_sel:BYTE_1
	v_and_or_b32 v4, v4, s23, v65
	v_lshlrev_b32_e32 v4, 2, v4
	global_load_dword v4, v4, s[16:17]
	v_and_b32_sdwa v3, v66, v32 dst_sel:DWORD dst_unused:UNUSED_PAD src0_sel:BYTE_1 src1_sel:DWORD
	v_cvt_f32_ubyte0_e32 v3, v3
	v_fmac_f32_e32 v58, 0xbd000000, v3
	v_fma_f32 v69, v58, v56, 0
	v_lshrrev_b32_sdwa v3, v33, v66 dst_sel:DWORD dst_unused:UNUSED_PAD src0_sel:DWORD src1_sel:BYTE_1
	s_waitcnt vmcnt(0)
	v_and_b32_e32 v53, 0xf0f0f0f, v4
	v_lshrrev_b32_e32 v4, 4, v4
	v_and_b32_e32 v56, 0xf0f0f0f, v4
	v_dot4_i32_i8 v2, v53, v5, v2
	v_dot4_i32_i8 v60, v56, v60, v2
	v_and_b32_e32 v2, 8, v3
	v_cvt_f32_ubyte0_e32 v2, v2
	v_mov_b32_e32 v5, 0xbf600000
	v_fmac_f32_e32 v5, 0xbd000000, v2
	global_load_dwordx2 v[2:3], v[62:63], off offset:48
	v_fmac_f32_e32 v69, v5, v64
	s_waitcnt vmcnt(0)
	v_lshrrev_b16_e32 v4, 12, v2
	v_and_b32_sdwa v2, v2, s28 dst_sel:DWORD dst_unused:UNUSED_PAD src0_sel:BYTE_3 src1_sel:DWORD
	v_or_b32_e32 v2, v2, v4
	v_lshrrev_b16_e32 v4, 4, v3
	v_and_b32_e32 v4, 0xf00, v4
	v_or_b32_e32 v2, v2, v4
	v_and_b32_sdwa v3, v3, s29 dst_sel:DWORD dst_unused:UNUSED_PAD src0_sel:WORD_1 src1_sel:DWORD
	v_or_b32_e32 v2, v2, v3
	v_add_co_u32_e32 v3, vcc, v62, v31
	v_addc_co_u32_e32 v4, vcc, 0, v63, vcc
	global_load_ushort v3, v[3:4], off offset:48
	v_cvt_f32_f16_e32 v2, v2
	v_add_co_u32_e32 v8, vcc, 0x900, v8
	v_addc_co_u32_e32 v9, vcc, 0, v9, vcc
	v_mul_f32_e32 v61, v61, v2
	v_cmp_le_u32_e32 vcc, s9, v26
	s_or_b64 s[12:13], vcc, s[12:13]
	s_waitcnt vmcnt(0)
	v_lshrrev_b32_e32 v3, v28, v3
	v_lshlrev_b32_e32 v4, 1, v3
	v_lshrrev_b32_e32 v3, 2, v3
	v_and_or_b32 v62, v3, 14, 1
	v_cvt_f32_i32_e32 v3, v68
	v_and_or_b32 v4, v4, 14, 1
	v_add_f32_e32 v63, v67, v3
	v_cvt_f32_ubyte0_e32 v3, v4
	v_cvt_f32_i32_e32 v4, v60
	v_add_f32_e32 v60, v69, v4
	v_cvt_f32_ubyte0_e32 v4, v62
	v_mul_f32_e32 v60, v60, v4
	v_fmac_f32_e32 v60, v63, v3
	v_fmac_f32_e32 v25, v61, v60
	v_add_u32_e32 v60, s1, v29
	v_mad_u64_u32 v[68:69], s[16:17], v60, 36, v[6:7]
	global_load_dwordx4 v[60:63], v[68:69], off
	global_load_dword v70, v[68:69], off offset:32
	global_load_dwordx4 v[64:67], v[68:69], off offset:16
	s_waitcnt vmcnt(2)
	v_dot4_i32_i8 v68, v61, s22, 0
	v_dot4_i32_i8 v73, v34, v61, 0
	v_dot4_i32_i8 v61, v49, v61, 0
	v_dot4_i32_i8 v68, v62, s22, v68
	v_dot4_i32_i8 v69, v63, s22, 0
	v_dot4_i32_i8 v61, v50, v62, v61
	v_cvt_f32_i32_e32 v68, v68
	s_waitcnt vmcnt(0)
	v_dot4_i32_i8 v69, v64, s22, v69
	v_dot4_i32_i8 v61, v54, v63, v61
	v_cvt_f32_i32_e32 v69, v69
	v_dot4_i32_i8 v73, v35, v62, v73
	v_dot4_i32_i8 v61, v57, v64, v61
	v_dot4_i32_i8 v71, v65, s22, 0
	v_dot4_i32_i8 v73, v39, v63, v73
	v_dot4_i32_i8 v63, v52, v65, 0
	v_cvt_f32_i32_e32 v61, v61
	v_dot4_i32_i8 v71, v66, s22, v71
	v_dot4_i32_i8 v72, v67, s22, 0
	v_dot4_i32_i8 v63, v55, v66, v63
	v_cvt_f32_i32_e32 v71, v71
	v_dot4_i32_i8 v72, v70, s22, v72
	v_fma_f32 v62, v51, v68, 0
	v_dot4_i32_i8 v63, v53, v67, v63
	v_cvt_f32_i32_e32 v72, v72
	v_fmac_f32_e32 v62, v59, v69
	v_dot4_i32_i8 v63, v56, v70, v63
	v_add_f32_e32 v61, v62, v61
	v_cvt_f32_i32_e32 v62, v63
	v_cvt_f32_f16_e32 v60, v60
	v_dot4_i32_i8 v73, v40, v64, v73
	v_fma_f32 v64, v58, v71, 0
	v_fmac_f32_e32 v64, v5, v72
	v_add_f32_e32 v62, v64, v62
	v_mul_f32_e32 v62, v62, v4
	v_mul_f32_e32 v77, v60, v46
	v_mul_f32_e32 v60, v60, v2
	v_fmac_f32_e32 v62, v61, v3
	v_fma_f32 v74, v36, v68, 0
	v_fmac_f32_e32 v22, v60, v62
	v_add_u32_e32 v60, s27, v29
	v_fmac_f32_e32 v74, v42, v69
	v_mad_u64_u32 v[68:69], s[16:17], v60, 36, v[6:7]
	v_dot4_i32_i8 v75, v37, v65, 0
	v_dot4_i32_i8 v75, v38, v66, v75
	v_dot4_i32_i8 v75, v43, v67, v75
	v_dot4_i32_i8 v75, v44, v70, v75
	global_load_dwordx4 v[60:63], v[68:69], off
	global_load_dword v70, v[68:69], off offset:32
	global_load_dwordx4 v[64:67], v[68:69], off offset:16
	v_cvt_f32_i32_e32 v73, v73
	v_fma_f32 v76, v41, v71, 0
	v_fmac_f32_e32 v76, v45, v72
	v_add_f32_e32 v73, v74, v73
	v_cvt_f32_i32_e32 v74, v75
	v_add_f32_e32 v74, v76, v74
	v_mul_f32_e32 v74, v74, v48
	v_fmac_f32_e32 v74, v73, v47
	v_fmac_f32_e32 v23, v77, v74
	s_waitcnt vmcnt(2)
	v_dot4_i32_i8 v68, v61, s22, 0
	v_dot4_i32_i8 v73, v34, v61, 0
	v_dot4_i32_i8 v61, v49, v61, 0
	v_dot4_i32_i8 v68, v62, s22, v68
	v_dot4_i32_i8 v69, v63, s22, 0
	v_dot4_i32_i8 v61, v50, v62, v61
	v_cvt_f32_i32_e32 v68, v68
	s_waitcnt vmcnt(0)
	v_dot4_i32_i8 v69, v64, s22, v69
	v_dot4_i32_i8 v61, v54, v63, v61
	v_cvt_f32_i32_e32 v69, v69
	v_dot4_i32_i8 v73, v35, v62, v73
	v_dot4_i32_i8 v61, v57, v64, v61
	v_dot4_i32_i8 v71, v65, s22, 0
	v_dot4_i32_i8 v73, v39, v63, v73
	v_dot4_i32_i8 v63, v52, v65, 0
	v_cvt_f32_i32_e32 v61, v61
	v_dot4_i32_i8 v71, v66, s22, v71
	v_dot4_i32_i8 v72, v67, s22, 0
	v_dot4_i32_i8 v63, v55, v66, v63
	v_cvt_f32_i32_e32 v71, v71
	v_dot4_i32_i8 v72, v70, s22, v72
	v_fma_f32 v62, v51, v68, 0
	v_dot4_i32_i8 v63, v53, v67, v63
	v_cvt_f32_i32_e32 v72, v72
	v_fmac_f32_e32 v62, v59, v69
	v_dot4_i32_i8 v63, v56, v70, v63
	v_add_f32_e32 v61, v62, v61
	v_cvt_f32_i32_e32 v62, v63
	v_cvt_f32_f16_e32 v60, v60
	v_dot4_i32_i8 v73, v40, v64, v73
	v_fma_f32 v64, v58, v71, 0
	v_fmac_f32_e32 v64, v5, v72
	v_add_f32_e32 v62, v64, v62
	v_mul_f32_e32 v62, v62, v4
	v_mul_f32_e32 v77, v60, v46
	v_mul_f32_e32 v60, v60, v2
	v_fmac_f32_e32 v62, v61, v3
	v_fma_f32 v74, v36, v68, 0
	v_fmac_f32_e32 v20, v60, v62
	v_add_u32_e32 v60, s26, v29
	v_fmac_f32_e32 v74, v42, v69
	v_mad_u64_u32 v[68:69], s[16:17], v60, 36, v[6:7]
	v_dot4_i32_i8 v75, v37, v65, 0
	v_dot4_i32_i8 v75, v38, v66, v75
	v_dot4_i32_i8 v75, v43, v67, v75
	v_dot4_i32_i8 v75, v44, v70, v75
	global_load_dwordx4 v[60:63], v[68:69], off
	global_load_dword v70, v[68:69], off offset:32
	global_load_dwordx4 v[64:67], v[68:69], off offset:16
	v_cvt_f32_i32_e32 v73, v73
	v_fma_f32 v76, v41, v71, 0
	v_fmac_f32_e32 v76, v45, v72
	v_add_f32_e32 v73, v74, v73
	v_cvt_f32_i32_e32 v74, v75
	v_add_f32_e32 v74, v76, v74
	v_mul_f32_e32 v74, v74, v48
	v_fmac_f32_e32 v74, v73, v47
	v_fmac_f32_e32 v21, v77, v74
	;; [unrolled: 60-line block ×5, first 2 shown]
	s_waitcnt vmcnt(2)
	v_dot4_i32_i8 v68, v61, s22, 0
	v_dot4_i32_i8 v73, v34, v61, 0
	;; [unrolled: 1-line block ×6, first 2 shown]
	v_cvt_f32_i32_e32 v68, v68
	s_waitcnt vmcnt(0)
	v_dot4_i32_i8 v69, v64, s22, v69
	v_dot4_i32_i8 v61, v54, v63, v61
	v_cvt_f32_i32_e32 v69, v69
	v_dot4_i32_i8 v73, v35, v62, v73
	v_dot4_i32_i8 v61, v57, v64, v61
	;; [unrolled: 1-line block ×5, first 2 shown]
	v_cvt_f32_i32_e32 v61, v61
	v_dot4_i32_i8 v71, v66, s22, v71
	v_dot4_i32_i8 v72, v67, s22, 0
	;; [unrolled: 1-line block ×3, first 2 shown]
	v_cvt_f32_i32_e32 v71, v71
	v_dot4_i32_i8 v72, v70, s22, v72
	v_fma_f32 v62, v51, v68, 0
	v_dot4_i32_i8 v63, v53, v67, v63
	v_cvt_f32_i32_e32 v72, v72
	v_fmac_f32_e32 v62, v59, v69
	v_dot4_i32_i8 v63, v56, v70, v63
	v_add_f32_e32 v61, v62, v61
	v_cvt_f32_i32_e32 v62, v63
	v_cvt_f32_f16_e32 v60, v60
	v_dot4_i32_i8 v73, v40, v64, v73
	v_fma_f32 v64, v58, v71, 0
	v_fmac_f32_e32 v64, v5, v72
	v_add_f32_e32 v62, v64, v62
	v_mul_f32_e32 v62, v62, v4
	v_mul_f32_e32 v77, v60, v46
	;; [unrolled: 1-line block ×3, first 2 shown]
	v_fmac_f32_e32 v62, v61, v3
	v_fmac_f32_e32 v12, v60, v62
	v_add_u32_e32 v60, s15, v29
	v_mad_u64_u32 v[60:61], s[16:17], v60, 36, v[6:7]
	v_dot4_i32_i8 v75, v37, v65, 0
	v_dot4_i32_i8 v75, v38, v66, v75
	v_fma_f32 v74, v36, v68, 0
	v_dot4_i32_i8 v75, v43, v67, v75
	v_fmac_f32_e32 v74, v42, v69
	v_dot4_i32_i8 v75, v44, v70, v75
	global_load_dwordx4 v[62:65], v[60:61], off
	global_load_dword v70, v[60:61], off offset:32
	global_load_dwordx4 v[66:69], v[60:61], off offset:16
	v_cvt_f32_i32_e32 v73, v73
	v_fma_f32 v76, v41, v71, 0
	v_fmac_f32_e32 v76, v45, v72
	v_add_u32_e32 v29, 64, v29
	v_add_f32_e32 v73, v74, v73
	v_cvt_f32_i32_e32 v74, v75
	v_add_f32_e32 v74, v76, v74
	v_mul_f32_e32 v74, v74, v48
	v_fmac_f32_e32 v74, v73, v47
	v_fmac_f32_e32 v13, v77, v74
	s_waitcnt vmcnt(2)
	v_dot4_i32_i8 v60, v63, s22, 0
	v_dot4_i32_i8 v60, v64, s22, v60
	v_cvt_f32_i32_e32 v71, v60
	v_dot4_i32_i8 v34, v34, v63, 0
	v_dot4_i32_i8 v60, v65, s22, 0
	;; [unrolled: 1-line block ×3, first 2 shown]
	s_waitcnt vmcnt(0)
	v_dot4_i32_i8 v60, v66, s22, v60
	v_dot4_i32_i8 v34, v39, v65, v34
	v_cvt_f32_i32_e32 v72, v60
	v_dot4_i32_i8 v60, v67, s22, 0
	v_dot4_i32_i8 v34, v40, v66, v34
	;; [unrolled: 1-line block ×3, first 2 shown]
	v_fma_f32 v35, v36, v71, 0
	v_dot4_i32_i8 v36, v37, v67, 0
	v_cvt_f32_i32_e32 v34, v34
	v_cvt_f32_i32_e32 v73, v60
	v_dot4_i32_i8 v60, v69, s22, 0
	v_dot4_i32_i8 v36, v38, v68, v36
	;; [unrolled: 1-line block ×4, first 2 shown]
	v_cvt_f32_i32_e32 v61, v60
	v_fmac_f32_e32 v35, v42, v72
	v_dot4_i32_i8 v36, v44, v70, v36
	v_add_f32_e32 v34, v35, v34
	v_cvt_f32_i32_e32 v35, v36
	v_cvt_f32_f16_e32 v60, v62
	v_fma_f32 v37, v41, v73, 0
	v_fmac_f32_e32 v37, v45, v61
	v_add_f32_e32 v35, v37, v35
	v_mul_f32_e32 v35, v35, v48
	v_mul_f32_e32 v38, v60, v46
	v_fmac_f32_e32 v35, v34, v47
	v_dot4_i32_i8 v34, v49, v63, 0
	v_fmac_f32_e32 v11, v38, v35
	v_dot4_i32_i8 v35, v50, v64, v34
	v_dot4_i32_i8 v35, v54, v65, v35
	;; [unrolled: 1-line block ×5, first 2 shown]
	v_fma_f32 v36, v58, v73, 0
	v_fmac_f32_e32 v36, v5, v61
	v_cvt_f32_i32_e32 v5, v35
	v_fma_f32 v34, v51, v71, 0
	v_dot4_i32_i8 v37, v53, v69, v37
	v_fmac_f32_e32 v34, v59, v72
	v_dot4_i32_i8 v37, v56, v70, v37
	v_add_f32_e32 v5, v34, v5
	v_cvt_f32_i32_e32 v34, v37
	v_mul_f32_e32 v2, v60, v2
	v_add_f32_e32 v34, v36, v34
	v_mul_f32_e32 v4, v34, v4
	v_fmac_f32_e32 v4, v5, v3
	v_fmac_f32_e32 v10, v2, v4
	s_andn2_b64 exec, exec, s[12:13]
	s_cbranch_execnz .LBB227_2
; %bb.3:
	s_or_b64 exec, exec, s[12:13]
.LBB227_4:
	s_or_b64 exec, exec, s[10:11]
	s_mov_b32 s1, 0
	v_cmp_eq_u32_e32 vcc, 0, v1
	; wave barrier
	s_and_saveexec_b64 s[10:11], vcc
	s_cbranch_execz .LBB227_21
; %bb.5:
	v_mbcnt_lo_u32_b32 v1, -1, 0
	v_mbcnt_hi_u32_b32 v6, -1, v1
	v_and_b32_e32 v1, 64, v6
	v_add_u32_e32 v7, 64, v1
	v_xor_b32_e32 v1, 32, v6
	v_cmp_lt_i32_e32 vcc, v1, v7
	v_cndmask_b32_e32 v1, v6, v1, vcc
	v_lshlrev_b32_e32 v1, 2, v1
	ds_bpermute_b32 v5, v1, v24
	ds_bpermute_b32 v8, v1, v25
	v_xor_b32_e32 v2, 16, v6
	v_cmp_lt_i32_e32 vcc, v2, v7
	v_cndmask_b32_e32 v2, v6, v2, vcc
	v_lshlrev_b32_e32 v2, 2, v2
	s_waitcnt lgkmcnt(1)
	v_add_f32_e32 v5, v24, v5
	s_waitcnt lgkmcnt(0)
	v_add_f32_e32 v8, v25, v8
	ds_bpermute_b32 v24, v2, v5
	ds_bpermute_b32 v25, v2, v8
	v_xor_b32_e32 v3, 8, v6
	v_cmp_lt_i32_e32 vcc, v3, v7
	v_cndmask_b32_e32 v3, v6, v3, vcc
	v_lshlrev_b32_e32 v3, 2, v3
	s_waitcnt lgkmcnt(1)
	v_add_f32_e32 v24, v5, v24
	s_waitcnt lgkmcnt(0)
	v_add_f32_e32 v8, v8, v25
	;; [unrolled: 10-line block ×3, first 2 shown]
	ds_bpermute_b32 v26, v4, v24
	ds_bpermute_b32 v25, v4, v8
	v_xor_b32_e32 v9, 2, v6
	v_cmp_lt_i32_e32 vcc, v9, v7
	v_cndmask_b32_e32 v9, v6, v9, vcc
	v_lshlrev_b32_e32 v5, 2, v9
	v_xor_b32_e32 v9, 1, v6
	v_cmp_lt_i32_e32 vcc, v9, v7
	s_waitcnt lgkmcnt(1)
	v_add_f32_e32 v7, v24, v26
	s_waitcnt lgkmcnt(0)
	v_add_f32_e32 v24, v8, v25
	v_cndmask_b32_e32 v6, v6, v9, vcc
	ds_bpermute_b32 v9, v5, v7
	ds_bpermute_b32 v25, v5, v24
	s_load_dwordx2 s[4:5], s[4:5], 0x38
	s_mul_i32 s3, s14, s7
	v_lshlrev_b32_e32 v8, 2, v6
	s_waitcnt lgkmcnt(0)
	v_add_f32_e32 v6, v7, v9
	v_add_f32_e32 v9, v24, v25
	s_mul_i32 s0, s18, s8
	s_add_i32 s3, s3, s6
	ds_bpermute_b32 v7, v8, v6
	ds_bpermute_b32 v24, v8, v9
	s_add_i32 s0, s3, s0
	s_lshl_b64 s[0:1], s[0:1], 2
	s_add_u32 s4, s4, s0
	v_add_u32_e32 v25, s6, v0
	s_addc_u32 s5, s5, s1
	v_cmp_gt_u32_e32 vcc, 2, v0
	v_cmp_gt_u32_e64 s[0:1], s2, v25
	s_and_b64 s[0:1], vcc, s[0:1]
	s_waitcnt lgkmcnt(1)
	v_add_f32_e32 v6, v6, v7
	s_waitcnt lgkmcnt(0)
	v_add_f32_e32 v7, v9, v24
	s_and_saveexec_b64 s[6:7], s[0:1]
	s_cbranch_execz .LBB227_7
; %bb.6:
	v_cmp_eq_u32_e32 vcc, 1, v0
	v_cndmask_b32_e32 v9, v6, v7, vcc
	v_cmp_eq_u32_e32 vcc, 2, v0
	v_cndmask_b32_e32 v9, v9, v23, vcc
	v_cmp_eq_u32_e32 vcc, 3, v0
	v_cndmask_b32_e32 v9, v9, v22, vcc
	v_cmp_eq_u32_e32 vcc, 4, v0
	v_cndmask_b32_e32 v9, v9, v21, vcc
	v_cmp_eq_u32_e32 vcc, 5, v0
	v_cndmask_b32_e32 v9, v9, v20, vcc
	v_cmp_eq_u32_e32 vcc, 6, v0
	v_cndmask_b32_e32 v9, v9, v19, vcc
	v_cmp_eq_u32_e32 vcc, 7, v0
	v_cndmask_b32_e32 v9, v9, v18, vcc
	v_cmp_eq_u32_e32 vcc, 8, v0
	v_cndmask_b32_e32 v9, v9, v17, vcc
	v_cmp_eq_u32_e32 vcc, 9, v0
	v_cndmask_b32_e32 v9, v9, v16, vcc
	v_cmp_eq_u32_e32 vcc, 10, v0
	v_cndmask_b32_e32 v9, v9, v15, vcc
	v_cmp_eq_u32_e32 vcc, 11, v0
	v_cndmask_b32_e32 v9, v9, v14, vcc
	v_cmp_eq_u32_e32 vcc, 12, v0
	v_cndmask_b32_e32 v9, v9, v13, vcc
	v_cmp_eq_u32_e32 vcc, 13, v0
	v_cndmask_b32_e32 v9, v9, v12, vcc
	v_cmp_eq_u32_e32 vcc, 14, v0
	v_cndmask_b32_e32 v9, v9, v11, vcc
	v_cmp_eq_u32_e32 vcc, 15, v0
	v_cndmask_b32_e32 v9, v9, v10, vcc
	v_lshlrev_b32_e32 v24, 2, v0
	global_store_dword v24, v9, s[4:5]
.LBB227_7:
	s_or_b64 exec, exec, s[6:7]
	ds_bpermute_b32 v9, v1, v23
	ds_bpermute_b32 v24, v1, v22
	s_waitcnt lgkmcnt(1)
	v_add_f32_e32 v9, v23, v9
	s_waitcnt lgkmcnt(0)
	v_add_f32_e32 v22, v22, v24
	ds_bpermute_b32 v23, v2, v9
	ds_bpermute_b32 v24, v2, v22
	s_waitcnt lgkmcnt(1)
	v_add_f32_e32 v9, v9, v23
	s_waitcnt lgkmcnt(0)
	v_add_f32_e32 v22, v22, v24
	;; [unrolled: 6-line block ×6, first 2 shown]
	s_and_saveexec_b64 s[6:7], s[0:1]
	s_cbranch_execz .LBB227_9
; %bb.8:
	v_add_u32_e32 v23, 2, v0
	v_cmp_eq_u32_e32 vcc, 1, v23
	v_cndmask_b32_e32 v24, v6, v7, vcc
	v_cmp_eq_u32_e32 vcc, 2, v23
	v_cndmask_b32_e32 v24, v24, v22, vcc
	;; [unrolled: 2-line block ×15, first 2 shown]
	v_add_u32_e32 v23, s2, v0
	v_mov_b32_e32 v24, 0
	v_lshlrev_b64 v[23:24], 2, v[23:24]
	v_mov_b32_e32 v26, s5
	v_add_co_u32_e32 v23, vcc, s4, v23
	v_addc_co_u32_e32 v24, vcc, v26, v24, vcc
	global_store_dword v[23:24], v25, off
.LBB227_9:
	s_or_b64 exec, exec, s[6:7]
	ds_bpermute_b32 v23, v1, v21
	ds_bpermute_b32 v24, v1, v20
	s_waitcnt lgkmcnt(1)
	v_add_f32_e32 v21, v21, v23
	s_waitcnt lgkmcnt(0)
	v_add_f32_e32 v20, v20, v24
	ds_bpermute_b32 v23, v2, v21
	ds_bpermute_b32 v24, v2, v20
	s_waitcnt lgkmcnt(1)
	v_add_f32_e32 v21, v21, v23
	s_waitcnt lgkmcnt(0)
	v_add_f32_e32 v20, v20, v24
	;; [unrolled: 6-line block ×6, first 2 shown]
	s_and_saveexec_b64 s[6:7], s[0:1]
	s_cbranch_execz .LBB227_11
; %bb.10:
	v_add_u32_e32 v23, 4, v0
	v_cmp_eq_u32_e32 vcc, 1, v23
	v_cndmask_b32_e32 v24, v6, v7, vcc
	v_cmp_eq_u32_e32 vcc, 2, v23
	v_cndmask_b32_e32 v24, v24, v22, vcc
	;; [unrolled: 2-line block ×15, first 2 shown]
	v_lshl_or_b32 v23, s2, 1, v0
	v_mov_b32_e32 v24, 0
	v_lshlrev_b64 v[23:24], 2, v[23:24]
	v_mov_b32_e32 v26, s5
	v_add_co_u32_e32 v23, vcc, s4, v23
	v_addc_co_u32_e32 v24, vcc, v26, v24, vcc
	global_store_dword v[23:24], v25, off
.LBB227_11:
	s_or_b64 exec, exec, s[6:7]
	ds_bpermute_b32 v23, v1, v19
	ds_bpermute_b32 v24, v1, v18
	s_waitcnt lgkmcnt(1)
	v_add_f32_e32 v19, v19, v23
	s_waitcnt lgkmcnt(0)
	v_add_f32_e32 v18, v18, v24
	ds_bpermute_b32 v23, v2, v19
	ds_bpermute_b32 v24, v2, v18
	s_waitcnt lgkmcnt(1)
	v_add_f32_e32 v19, v19, v23
	s_waitcnt lgkmcnt(0)
	v_add_f32_e32 v18, v18, v24
	;; [unrolled: 6-line block ×6, first 2 shown]
	s_and_saveexec_b64 s[6:7], s[0:1]
	s_cbranch_execz .LBB227_13
; %bb.12:
	v_add_u32_e32 v25, 6, v0
	v_cmp_eq_u32_e32 vcc, 1, v25
	v_cndmask_b32_e32 v23, v6, v7, vcc
	v_cmp_eq_u32_e32 vcc, 2, v25
	v_cndmask_b32_e32 v23, v23, v22, vcc
	;; [unrolled: 2-line block ×14, first 2 shown]
	v_mad_u64_u32 v[23:24], s[8:9], s2, 3, v[0:1]
	v_mov_b32_e32 v24, 0
	v_cmp_eq_u32_e32 vcc, 15, v25
	v_lshlrev_b64 v[23:24], 2, v[23:24]
	v_cndmask_b32_e32 v25, v26, v10, vcc
	v_mov_b32_e32 v26, s5
	v_add_co_u32_e32 v23, vcc, s4, v23
	v_addc_co_u32_e32 v24, vcc, v26, v24, vcc
	global_store_dword v[23:24], v25, off
.LBB227_13:
	s_or_b64 exec, exec, s[6:7]
	ds_bpermute_b32 v23, v1, v17
	ds_bpermute_b32 v24, v1, v16
	s_waitcnt lgkmcnt(1)
	v_add_f32_e32 v17, v17, v23
	s_waitcnt lgkmcnt(0)
	v_add_f32_e32 v16, v16, v24
	ds_bpermute_b32 v23, v2, v17
	ds_bpermute_b32 v24, v2, v16
	s_waitcnt lgkmcnt(1)
	v_add_f32_e32 v17, v17, v23
	s_waitcnt lgkmcnt(0)
	v_add_f32_e32 v16, v16, v24
	;; [unrolled: 6-line block ×6, first 2 shown]
	s_and_saveexec_b64 s[6:7], s[0:1]
	s_cbranch_execz .LBB227_15
; %bb.14:
	v_add_u32_e32 v23, 8, v0
	v_cmp_eq_u32_e32 vcc, 1, v23
	v_cndmask_b32_e32 v24, v6, v7, vcc
	v_cmp_eq_u32_e32 vcc, 2, v23
	v_cndmask_b32_e32 v24, v24, v22, vcc
	;; [unrolled: 2-line block ×15, first 2 shown]
	v_lshl_or_b32 v23, s2, 2, v0
	v_mov_b32_e32 v24, 0
	v_lshlrev_b64 v[23:24], 2, v[23:24]
	v_mov_b32_e32 v26, s5
	v_add_co_u32_e32 v23, vcc, s4, v23
	v_addc_co_u32_e32 v24, vcc, v26, v24, vcc
	global_store_dword v[23:24], v25, off
.LBB227_15:
	s_or_b64 exec, exec, s[6:7]
	ds_bpermute_b32 v23, v1, v15
	ds_bpermute_b32 v24, v1, v14
	s_waitcnt lgkmcnt(1)
	v_add_f32_e32 v15, v15, v23
	s_waitcnt lgkmcnt(0)
	v_add_f32_e32 v14, v14, v24
	ds_bpermute_b32 v23, v2, v15
	ds_bpermute_b32 v24, v2, v14
	s_waitcnt lgkmcnt(1)
	v_add_f32_e32 v15, v15, v23
	s_waitcnt lgkmcnt(0)
	v_add_f32_e32 v14, v14, v24
	;; [unrolled: 6-line block ×6, first 2 shown]
	s_and_saveexec_b64 s[6:7], s[0:1]
	s_cbranch_execz .LBB227_17
; %bb.16:
	v_add_u32_e32 v25, 10, v0
	v_cmp_eq_u32_e32 vcc, 1, v25
	v_cndmask_b32_e32 v23, v6, v7, vcc
	v_cmp_eq_u32_e32 vcc, 2, v25
	v_cndmask_b32_e32 v23, v23, v22, vcc
	v_cmp_eq_u32_e32 vcc, 3, v25
	v_cndmask_b32_e32 v23, v23, v9, vcc
	v_cmp_eq_u32_e32 vcc, 4, v25
	v_cndmask_b32_e32 v23, v23, v21, vcc
	v_cmp_eq_u32_e32 vcc, 5, v25
	v_cndmask_b32_e32 v23, v23, v20, vcc
	v_cmp_eq_u32_e32 vcc, 6, v25
	v_cndmask_b32_e32 v23, v23, v19, vcc
	v_cmp_eq_u32_e32 vcc, 7, v25
	v_cndmask_b32_e32 v23, v23, v18, vcc
	v_cmp_eq_u32_e32 vcc, 8, v25
	v_cndmask_b32_e32 v23, v23, v17, vcc
	v_cmp_eq_u32_e32 vcc, 9, v25
	v_cndmask_b32_e32 v23, v23, v16, vcc
	v_cmp_eq_u32_e32 vcc, 10, v25
	v_cndmask_b32_e32 v23, v23, v15, vcc
	v_cmp_eq_u32_e32 vcc, 11, v25
	v_cndmask_b32_e32 v23, v23, v14, vcc
	v_cmp_eq_u32_e32 vcc, 12, v25
	v_cndmask_b32_e32 v23, v23, v13, vcc
	v_cmp_eq_u32_e32 vcc, 13, v25
	v_cndmask_b32_e32 v23, v23, v12, vcc
	v_cmp_eq_u32_e32 vcc, 14, v25
	v_cndmask_b32_e32 v26, v23, v11, vcc
	v_mad_u64_u32 v[23:24], s[8:9], s2, 5, v[0:1]
	v_mov_b32_e32 v24, 0
	v_cmp_eq_u32_e32 vcc, 15, v25
	v_lshlrev_b64 v[23:24], 2, v[23:24]
	v_cndmask_b32_e32 v25, v26, v10, vcc
	v_mov_b32_e32 v26, s5
	v_add_co_u32_e32 v23, vcc, s4, v23
	v_addc_co_u32_e32 v24, vcc, v26, v24, vcc
	global_store_dword v[23:24], v25, off
.LBB227_17:
	s_or_b64 exec, exec, s[6:7]
	ds_bpermute_b32 v23, v1, v13
	ds_bpermute_b32 v24, v1, v12
	s_waitcnt lgkmcnt(1)
	v_add_f32_e32 v13, v13, v23
	s_waitcnt lgkmcnt(0)
	v_add_f32_e32 v12, v12, v24
	ds_bpermute_b32 v23, v2, v13
	ds_bpermute_b32 v24, v2, v12
	s_waitcnt lgkmcnt(1)
	v_add_f32_e32 v13, v13, v23
	s_waitcnt lgkmcnt(0)
	v_add_f32_e32 v12, v12, v24
	;; [unrolled: 6-line block ×6, first 2 shown]
	s_and_saveexec_b64 s[6:7], s[0:1]
	s_cbranch_execz .LBB227_19
; %bb.18:
	v_add_u32_e32 v23, 12, v0
	v_cmp_eq_u32_e32 vcc, 1, v23
	v_cndmask_b32_e32 v24, v6, v7, vcc
	v_cmp_eq_u32_e32 vcc, 2, v23
	v_cndmask_b32_e32 v24, v24, v22, vcc
	v_cmp_eq_u32_e32 vcc, 3, v23
	v_cndmask_b32_e32 v24, v24, v9, vcc
	v_cmp_eq_u32_e32 vcc, 4, v23
	v_cndmask_b32_e32 v24, v24, v21, vcc
	v_cmp_eq_u32_e32 vcc, 5, v23
	v_cndmask_b32_e32 v24, v24, v20, vcc
	v_cmp_eq_u32_e32 vcc, 6, v23
	v_cndmask_b32_e32 v24, v24, v19, vcc
	v_cmp_eq_u32_e32 vcc, 7, v23
	v_cndmask_b32_e32 v24, v24, v18, vcc
	v_cmp_eq_u32_e32 vcc, 8, v23
	v_cndmask_b32_e32 v24, v24, v17, vcc
	v_cmp_eq_u32_e32 vcc, 9, v23
	v_cndmask_b32_e32 v24, v24, v16, vcc
	v_cmp_eq_u32_e32 vcc, 10, v23
	v_cndmask_b32_e32 v24, v24, v15, vcc
	v_cmp_eq_u32_e32 vcc, 11, v23
	v_cndmask_b32_e32 v24, v24, v14, vcc
	v_cmp_eq_u32_e32 vcc, 12, v23
	v_cndmask_b32_e32 v24, v24, v13, vcc
	v_cmp_eq_u32_e32 vcc, 13, v23
	v_cndmask_b32_e32 v24, v24, v12, vcc
	v_cmp_eq_u32_e32 vcc, 14, v23
	v_cndmask_b32_e32 v24, v24, v11, vcc
	v_cmp_eq_u32_e32 vcc, 15, v23
	s_mul_i32 s3, s2, 6
	v_cndmask_b32_e32 v25, v24, v10, vcc
	v_or_b32_e32 v23, s3, v0
	v_mov_b32_e32 v24, 0
	v_lshlrev_b64 v[23:24], 2, v[23:24]
	v_mov_b32_e32 v26, s5
	v_add_co_u32_e32 v23, vcc, s4, v23
	v_addc_co_u32_e32 v24, vcc, v26, v24, vcc
	global_store_dword v[23:24], v25, off
.LBB227_19:
	s_or_b64 exec, exec, s[6:7]
	ds_bpermute_b32 v23, v1, v11
	ds_bpermute_b32 v1, v1, v10
	s_waitcnt lgkmcnt(1)
	v_add_f32_e32 v11, v11, v23
	s_waitcnt lgkmcnt(0)
	v_add_f32_e32 v1, v10, v1
	ds_bpermute_b32 v10, v2, v11
	ds_bpermute_b32 v2, v2, v1
	s_waitcnt lgkmcnt(1)
	v_add_f32_e32 v10, v11, v10
	s_waitcnt lgkmcnt(0)
	v_add_f32_e32 v1, v1, v2
	;; [unrolled: 6-line block ×5, first 2 shown]
	ds_bpermute_b32 v3, v8, v1
	ds_bpermute_b32 v4, v8, v2
	s_and_b64 exec, exec, s[0:1]
	s_cbranch_execz .LBB227_21
; %bb.20:
	s_waitcnt lgkmcnt(1)
	v_add_f32_e32 v1, v1, v3
	v_add_u32_e32 v3, 14, v0
	v_cmp_eq_u32_e32 vcc, 1, v3
	s_waitcnt lgkmcnt(0)
	v_add_f32_e32 v2, v2, v4
	v_cndmask_b32_e32 v4, v6, v7, vcc
	v_cmp_eq_u32_e32 vcc, 2, v3
	v_cndmask_b32_e32 v4, v4, v22, vcc
	v_cmp_eq_u32_e32 vcc, 3, v3
	;; [unrolled: 2-line block ×13, first 2 shown]
	v_cndmask_b32_e32 v4, v4, v1, vcc
	v_mad_u64_u32 v[0:1], s[0:1], s2, 7, v[0:1]
	v_mov_b32_e32 v1, 0
	v_cmp_eq_u32_e32 vcc, 15, v3
	v_lshlrev_b64 v[0:1], 2, v[0:1]
	v_cndmask_b32_e32 v2, v4, v2, vcc
	v_mov_b32_e32 v3, s5
	v_add_co_u32_e32 v0, vcc, s4, v0
	v_addc_co_u32_e32 v1, vcc, v3, v1, vcc
	global_store_dword v[0:1], v2, off
.LBB227_21:
	s_endpgm
	.section	.rodata,"a",@progbits
	.p2align	6, 0x0
	.amdhsa_kernel _ZL13mul_mat_vec_qIL9ggml_type29ELi8ELb0ELb0EEvPKvS2_PKi31ggml_cuda_mm_fusion_args_devicePfj15HIP_vector_typeIjLj3EEjjjS8_jjjS8_jjjj
		.amdhsa_group_segment_fixed_size 0
		.amdhsa_private_segment_fixed_size 0
		.amdhsa_kernarg_size 144
		.amdhsa_user_sgpr_count 6
		.amdhsa_user_sgpr_private_segment_buffer 1
		.amdhsa_user_sgpr_dispatch_ptr 0
		.amdhsa_user_sgpr_queue_ptr 0
		.amdhsa_user_sgpr_kernarg_segment_ptr 1
		.amdhsa_user_sgpr_dispatch_id 0
		.amdhsa_user_sgpr_flat_scratch_init 0
		.amdhsa_user_sgpr_private_segment_size 0
		.amdhsa_uses_dynamic_stack 0
		.amdhsa_system_sgpr_private_segment_wavefront_offset 0
		.amdhsa_system_sgpr_workgroup_id_x 1
		.amdhsa_system_sgpr_workgroup_id_y 1
		.amdhsa_system_sgpr_workgroup_id_z 1
		.amdhsa_system_sgpr_workgroup_info 0
		.amdhsa_system_vgpr_workitem_id 1
		.amdhsa_next_free_vgpr 78
		.amdhsa_next_free_sgpr 32
		.amdhsa_reserve_vcc 1
		.amdhsa_reserve_flat_scratch 0
		.amdhsa_float_round_mode_32 0
		.amdhsa_float_round_mode_16_64 0
		.amdhsa_float_denorm_mode_32 3
		.amdhsa_float_denorm_mode_16_64 3
		.amdhsa_dx10_clamp 1
		.amdhsa_ieee_mode 1
		.amdhsa_fp16_overflow 0
		.amdhsa_exception_fp_ieee_invalid_op 0
		.amdhsa_exception_fp_denorm_src 0
		.amdhsa_exception_fp_ieee_div_zero 0
		.amdhsa_exception_fp_ieee_overflow 0
		.amdhsa_exception_fp_ieee_underflow 0
		.amdhsa_exception_fp_ieee_inexact 0
		.amdhsa_exception_int_div_zero 0
	.end_amdhsa_kernel
	.section	.text._ZL13mul_mat_vec_qIL9ggml_type29ELi8ELb0ELb0EEvPKvS2_PKi31ggml_cuda_mm_fusion_args_devicePfj15HIP_vector_typeIjLj3EEjjjS8_jjjS8_jjjj,"axG",@progbits,_ZL13mul_mat_vec_qIL9ggml_type29ELi8ELb0ELb0EEvPKvS2_PKi31ggml_cuda_mm_fusion_args_devicePfj15HIP_vector_typeIjLj3EEjjjS8_jjjS8_jjjj,comdat
.Lfunc_end227:
	.size	_ZL13mul_mat_vec_qIL9ggml_type29ELi8ELb0ELb0EEvPKvS2_PKi31ggml_cuda_mm_fusion_args_devicePfj15HIP_vector_typeIjLj3EEjjjS8_jjjS8_jjjj, .Lfunc_end227-_ZL13mul_mat_vec_qIL9ggml_type29ELi8ELb0ELb0EEvPKvS2_PKi31ggml_cuda_mm_fusion_args_devicePfj15HIP_vector_typeIjLj3EEjjjS8_jjjS8_jjjj
                                        ; -- End function
	.set _ZL13mul_mat_vec_qIL9ggml_type29ELi8ELb0ELb0EEvPKvS2_PKi31ggml_cuda_mm_fusion_args_devicePfj15HIP_vector_typeIjLj3EEjjjS8_jjjS8_jjjj.num_vgpr, 78
	.set _ZL13mul_mat_vec_qIL9ggml_type29ELi8ELb0ELb0EEvPKvS2_PKi31ggml_cuda_mm_fusion_args_devicePfj15HIP_vector_typeIjLj3EEjjjS8_jjjS8_jjjj.num_agpr, 0
	.set _ZL13mul_mat_vec_qIL9ggml_type29ELi8ELb0ELb0EEvPKvS2_PKi31ggml_cuda_mm_fusion_args_devicePfj15HIP_vector_typeIjLj3EEjjjS8_jjjS8_jjjj.numbered_sgpr, 32
	.set _ZL13mul_mat_vec_qIL9ggml_type29ELi8ELb0ELb0EEvPKvS2_PKi31ggml_cuda_mm_fusion_args_devicePfj15HIP_vector_typeIjLj3EEjjjS8_jjjS8_jjjj.num_named_barrier, 0
	.set _ZL13mul_mat_vec_qIL9ggml_type29ELi8ELb0ELb0EEvPKvS2_PKi31ggml_cuda_mm_fusion_args_devicePfj15HIP_vector_typeIjLj3EEjjjS8_jjjS8_jjjj.private_seg_size, 0
	.set _ZL13mul_mat_vec_qIL9ggml_type29ELi8ELb0ELb0EEvPKvS2_PKi31ggml_cuda_mm_fusion_args_devicePfj15HIP_vector_typeIjLj3EEjjjS8_jjjS8_jjjj.uses_vcc, 1
	.set _ZL13mul_mat_vec_qIL9ggml_type29ELi8ELb0ELb0EEvPKvS2_PKi31ggml_cuda_mm_fusion_args_devicePfj15HIP_vector_typeIjLj3EEjjjS8_jjjS8_jjjj.uses_flat_scratch, 0
	.set _ZL13mul_mat_vec_qIL9ggml_type29ELi8ELb0ELb0EEvPKvS2_PKi31ggml_cuda_mm_fusion_args_devicePfj15HIP_vector_typeIjLj3EEjjjS8_jjjS8_jjjj.has_dyn_sized_stack, 0
	.set _ZL13mul_mat_vec_qIL9ggml_type29ELi8ELb0ELb0EEvPKvS2_PKi31ggml_cuda_mm_fusion_args_devicePfj15HIP_vector_typeIjLj3EEjjjS8_jjjS8_jjjj.has_recursion, 0
	.set _ZL13mul_mat_vec_qIL9ggml_type29ELi8ELb0ELb0EEvPKvS2_PKi31ggml_cuda_mm_fusion_args_devicePfj15HIP_vector_typeIjLj3EEjjjS8_jjjS8_jjjj.has_indirect_call, 0
	.section	.AMDGPU.csdata,"",@progbits
; Kernel info:
; codeLenInByte = 7588
; TotalNumSgprs: 36
; NumVgprs: 78
; ScratchSize: 0
; MemoryBound: 0
; FloatMode: 240
; IeeeMode: 1
; LDSByteSize: 0 bytes/workgroup (compile time only)
; SGPRBlocks: 4
; VGPRBlocks: 19
; NumSGPRsForWavesPerEU: 36
; NumVGPRsForWavesPerEU: 78
; Occupancy: 3
; WaveLimiterHint : 0
; COMPUTE_PGM_RSRC2:SCRATCH_EN: 0
; COMPUTE_PGM_RSRC2:USER_SGPR: 6
; COMPUTE_PGM_RSRC2:TRAP_HANDLER: 0
; COMPUTE_PGM_RSRC2:TGID_X_EN: 1
; COMPUTE_PGM_RSRC2:TGID_Y_EN: 1
; COMPUTE_PGM_RSRC2:TGID_Z_EN: 1
; COMPUTE_PGM_RSRC2:TIDIG_COMP_CNT: 1
	.section	.text._ZL17mul_mat_vec_q_moeIL9ggml_type20ELi2EEvPKvS2_PKiPfj15HIP_vector_typeIjLj3EEjjjjjjjjj,"axG",@progbits,_ZL17mul_mat_vec_q_moeIL9ggml_type20ELi2EEvPKvS2_PKiPfj15HIP_vector_typeIjLj3EEjjjjjjjjj,comdat
	.globl	_ZL17mul_mat_vec_q_moeIL9ggml_type20ELi2EEvPKvS2_PKiPfj15HIP_vector_typeIjLj3EEjjjjjjjjj ; -- Begin function _ZL17mul_mat_vec_q_moeIL9ggml_type20ELi2EEvPKvS2_PKiPfj15HIP_vector_typeIjLj3EEjjjjjjjjj
	.p2align	8
	.type	_ZL17mul_mat_vec_q_moeIL9ggml_type20ELi2EEvPKvS2_PKiPfj15HIP_vector_typeIjLj3EEjjjjjjjjj,@function
_ZL17mul_mat_vec_q_moeIL9ggml_type20ELi2EEvPKvS2_PKiPfj15HIP_vector_typeIjLj3EEjjjjjjjjj: ; @_ZL17mul_mat_vec_q_moeIL9ggml_type20ELi2EEvPKvS2_PKiPfj15HIP_vector_typeIjLj3EEjjjjjjjjj
; %bb.0:
	s_load_dwordx8 s[8:15], s[4:5], 0x30
	s_waitcnt lgkmcnt(0)
	v_cmp_gt_u32_e32 vcc, s15, v1
	s_and_saveexec_b64 s[0:1], vcc
	s_cbranch_execz .LBB228_7
; %bb.1:
	s_load_dword s1, s[4:5], 0x20
	s_load_dword s0, s[4:5], 0x50
	s_load_dwordx8 s[16:23], s[4:5], 0x0
	v_lshrrev_b32_e32 v6, 1, v0
	s_lshl_b32 s6, s6, 1
	s_waitcnt lgkmcnt(0)
	s_lshr_b32 s15, s1, 5
	v_cmp_gt_u32_e32 vcc, s15, v6
	v_mov_b32_e32 v2, 0
	v_mov_b32_e32 v3, 0
	s_and_saveexec_b64 s[24:25], vcc
	s_cbranch_execz .LBB228_5
; %bb.2:
	v_mul_lo_u32 v2, s0, v1
	v_mov_b32_e32 v3, 0
	v_mov_b32_e32 v7, s21
	s_load_dwordx4 s[0:3], s[4:5], 0x24
	v_add_u32_e32 v2, s7, v2
	v_lshlrev_b64 v[4:5], 2, v[2:3]
	s_mul_i32 s26, s6, s9
	v_add_co_u32_e32 v4, vcc, s20, v4
	v_addc_co_u32_e32 v5, vcc, v7, v5, vcc
	global_load_dword v2, v[4:5], off
	v_mul_lo_u32 v4, s10, v1
	v_lshlrev_b32_e32 v5, 2, v0
	s_add_i32 s20, s6, 1
	v_and_b32_e32 v5, 4, v5
	s_mul_i32 s9, s9, s20
	v_lshlrev_b32_e32 v10, 1, v5
	v_mad_u64_u32 v[4:5], s[20:21], v4, 36, 0
	s_waitcnt lgkmcnt(0)
	s_mul_hi_u32 s0, s0, s7
	s_add_i32 s0, s7, s0
	v_lshrrev_b32_e32 v11, 1, v0
	s_lshr_b32 s0, s0, s1
	s_mul_i32 s2, s0, s2
	v_mad_u64_u32 v[4:5], s[0:1], v11, 36, v[4:5]
	s_sub_i32 s0, s7, s2
	s_mul_i32 s0, s0, s13
	s_mul_hi_u32 s1, s0, 36
	s_mul_i32 s0, s0, 36
	s_add_u32 s0, s18, s0
	s_addc_u32 s1, s19, s1
	v_and_b32_e32 v9, 1, v0
	v_mov_b32_e32 v11, s1
	v_add_co_u32_e32 v4, vcc, s0, v4
	s_mov_b64 s[4:5], 0
	s_mov_b32 s3, 0xf6eaddcf
	s_mov_b32 s10, 0x71594535
	v_mov_b32_e32 v7, 0xbfad9881
	v_mov_b32_e32 v8, 0x26190d01
	v_lshlrev_b32_e32 v9, 3, v9
	v_addc_co_u32_e32 v5, vcc, v11, v5, vcc
	s_waitcnt vmcnt(0)
	v_mul_lo_u32 v2, v2, s12
	v_add_u32_e32 v11, s26, v2
	v_add_u32_e32 v12, s9, v2
	v_mov_b32_e32 v2, v3
.LBB228_3:                              ; =>This Inner Loop Header: Depth=1
	v_add_u32_e32 v15, v11, v6
	v_mad_i64_i32 v[15:16], s[0:1], v15, 18, s[16:17]
	v_add_u32_e32 v17, v12, v6
	v_add_co_u32_e32 v13, vcc, v4, v9
	v_mad_i64_i32 v[17:18], s[0:1], v17, 18, s[16:17]
	v_addc_co_u32_e32 v14, vcc, 0, v5, vcc
	global_load_dwordx2 v[19:20], v[13:14], off offset:4
	global_load_dwordx2 v[21:22], v[13:14], off offset:20
	v_add_co_u32_e32 v13, vcc, v15, v10
	v_addc_co_u32_e32 v14, vcc, 0, v16, vcc
	v_add_co_u32_e32 v23, vcc, v17, v10
	v_addc_co_u32_e32 v24, vcc, 0, v18, vcc
	global_load_dwordx2 v[25:26], v[13:14], off offset:2
	global_load_dwordx2 v[27:28], v[23:24], off offset:2
	global_load_ushort v29, v[17:18], off
	global_load_ushort v30, v[15:16], off
	v_add_u32_e32 v6, 32, v6
	v_cmp_le_u32_e64 s[0:1], s15, v6
	s_or_b64 s[4:5], s[0:1], s[4:5]
	s_waitcnt vmcnt(3)
	v_lshrrev_b32_e32 v14, 1, v25
	v_and_b32_e32 v13, 0x7070707, v25
	v_and_b32_e32 v14, 0x4040404, v14
	v_lshrrev_b32_e32 v16, 1, v26
	v_perm_b32 v18, s3, v7, v13
	v_perm_b32 v13, s10, v8, v13
	v_or_b32_e32 v14, 0x3020100, v14
	v_and_b32_e32 v15, 0x7070707, v26
	v_perm_b32 v13, v13, v18, v14
	s_waitcnt vmcnt(2)
	v_lshrrev_b32_e32 v14, 1, v27
	v_and_b32_e32 v16, 0x4040404, v16
	v_and_b32_e32 v17, 0x7070707, v27
	v_perm_b32 v18, s3, v7, v15
	v_perm_b32 v15, s10, v8, v15
	v_or_b32_e32 v16, 0x3020100, v16
	v_and_b32_e32 v14, 0x4040404, v14
	v_perm_b32 v15, v15, v18, v16
	v_perm_b32 v18, s3, v7, v17
	v_perm_b32 v17, s10, v8, v17
	v_or_b32_e32 v14, 0x3020100, v14
	v_perm_b32 v14, v17, v18, v14
	v_lshrrev_b32_e32 v17, 1, v28
	v_and_b32_e32 v16, 0x7070707, v28
	v_and_b32_e32 v17, 0x4040404, v17
	v_ashrrev_i32_e32 v18, 4, v25
	v_ashrrev_i32_e32 v23, 4, v26
	v_perm_b32 v26, s3, v7, v16
	v_perm_b32 v16, s10, v8, v16
	v_or_b32_e32 v17, 0x3020100, v17
	v_perm_b32 v16, v16, v26, v17
	v_and_b32_e32 v17, 0x7070707, v18
	v_lshrrev_b32_e32 v18, 1, v18
	v_and_b32_e32 v18, 0x4040404, v18
	v_ashrrev_i32_e32 v24, 4, v27
	v_perm_b32 v26, s3, v7, v17
	v_perm_b32 v17, s10, v8, v17
	v_or_b32_e32 v18, 0x3020100, v18
	v_perm_b32 v17, v17, v26, v18
	v_and_b32_e32 v18, 0x7070707, v24
	v_lshrrev_b32_e32 v24, 1, v24
	v_and_b32_e32 v24, 0x4040404, v24
	v_perm_b32 v26, s3, v7, v18
	v_perm_b32 v18, s10, v8, v18
	v_or_b32_e32 v24, 0x3020100, v24
	v_perm_b32 v18, v18, v26, v24
	v_and_b32_e32 v24, 0x7070707, v23
	v_lshrrev_b32_e32 v23, 1, v23
	v_and_b32_e32 v23, 0x4040404, v23
	v_ashrrev_i32_e32 v25, 4, v28
	v_perm_b32 v26, s3, v7, v24
	v_perm_b32 v24, s10, v8, v24
	v_or_b32_e32 v23, 0x3020100, v23
	v_perm_b32 v23, v24, v26, v23
	v_and_b32_e32 v24, 0x7070707, v25
	v_lshrrev_b32_e32 v25, 1, v25
	v_and_b32_e32 v25, 0x4040404, v25
	v_perm_b32 v26, s3, v7, v24
	v_perm_b32 v24, s10, v8, v24
	v_or_b32_e32 v25, 0x3020100, v25
	v_perm_b32 v24, v24, v26, v25
	global_load_dword v25, v[4:5], off
	v_dot4_i32_i8 v13, v13, v19, 0
	v_dot4_i32_i8 v14, v14, v19, 0
	;; [unrolled: 1-line block ×6, first 2 shown]
	s_waitcnt vmcnt(1)
	v_cvt_f32_f16_e32 v26, v30
	v_cvt_f32_f16_e32 v27, v29
	v_dot4_i32_i8 v13, v23, v22, v13
	v_dot4_i32_i8 v14, v24, v22, v14
	v_cvt_f32_i32_e32 v13, v13
	v_cvt_f32_i32_e32 v14, v14
	v_add_co_u32_e32 v4, vcc, 0x480, v4
	v_addc_co_u32_e32 v5, vcc, 0, v5, vcc
	s_waitcnt vmcnt(0)
	v_cvt_f32_f16_e32 v25, v25
	v_mul_f32_e32 v15, v26, v25
	v_mul_f32_e32 v16, v27, v25
	v_fmac_f32_e32 v3, v15, v13
	v_fmac_f32_e32 v2, v16, v14
	s_andn2_b64 exec, exec, s[4:5]
	s_cbranch_execnz .LBB228_3
; %bb.4:
	s_or_b64 exec, exec, s[4:5]
.LBB228_5:
	s_or_b64 exec, exec, s[24:25]
	v_mbcnt_lo_u32_b32 v4, -1, 0
	v_mbcnt_hi_u32_b32 v4, -1, v4
	v_and_b32_e32 v5, 64, v4
	v_add_u32_e32 v5, 64, v5
	v_xor_b32_e32 v6, 32, v4
	v_cmp_lt_i32_e32 vcc, v6, v5
	v_cndmask_b32_e32 v6, v4, v6, vcc
	v_lshlrev_b32_e32 v6, 2, v6
	ds_bpermute_b32 v9, v6, v3
	ds_bpermute_b32 v6, v6, v2
	v_xor_b32_e32 v7, 16, v4
	v_cmp_lt_i32_e32 vcc, v7, v5
	v_cndmask_b32_e32 v7, v4, v7, vcc
	v_lshlrev_b32_e32 v7, 2, v7
	s_waitcnt lgkmcnt(1)
	v_add_f32_e32 v3, v3, v9
	s_waitcnt lgkmcnt(0)
	v_add_f32_e32 v2, v2, v6
	ds_bpermute_b32 v9, v7, v3
	ds_bpermute_b32 v6, v7, v2
	v_xor_b32_e32 v8, 8, v4
	v_cmp_lt_i32_e32 vcc, v8, v5
	v_cndmask_b32_e32 v8, v4, v8, vcc
	v_lshlrev_b32_e32 v8, 2, v8
	s_waitcnt lgkmcnt(1)
	v_add_f32_e32 v3, v3, v9
	s_waitcnt lgkmcnt(0)
	v_add_f32_e32 v2, v2, v6
	;; [unrolled: 10-line block ×5, first 2 shown]
	ds_bpermute_b32 v3, v5, v2
	ds_bpermute_b32 v5, v5, v4
	v_add_u32_e32 v6, s6, v0
	v_cmp_gt_u32_e32 vcc, 2, v0
	v_cmp_gt_u32_e64 s[0:1], s8, v6
	s_and_b64 s[0:1], vcc, s[0:1]
	s_and_b64 exec, exec, s[0:1]
	s_cbranch_execz .LBB228_7
; %bb.6:
	v_mul_lo_u32 v1, s11, v1
	v_cmp_eq_u32_e32 vcc, 1, v0
	s_mul_i32 s0, s14, s7
	v_or_b32_e32 v0, s6, v0
	v_add3_u32 v0, v0, v1, s0
	v_mov_b32_e32 v1, 0
	v_lshlrev_b64 v[0:1], 2, v[0:1]
	s_waitcnt lgkmcnt(1)
	v_add_f32_e32 v2, v2, v3
	s_waitcnt lgkmcnt(0)
	v_add_f32_e32 v3, v4, v5
	v_cndmask_b32_e32 v2, v2, v3, vcc
	v_mov_b32_e32 v3, s23
	v_add_co_u32_e32 v0, vcc, s22, v0
	v_addc_co_u32_e32 v1, vcc, v3, v1, vcc
	global_store_dword v[0:1], v2, off
.LBB228_7:
	s_endpgm
	.section	.rodata,"a",@progbits
	.p2align	6, 0x0
	.amdhsa_kernel _ZL17mul_mat_vec_q_moeIL9ggml_type20ELi2EEvPKvS2_PKiPfj15HIP_vector_typeIjLj3EEjjjjjjjjj
		.amdhsa_group_segment_fixed_size 0
		.amdhsa_private_segment_fixed_size 0
		.amdhsa_kernarg_size 84
		.amdhsa_user_sgpr_count 6
		.amdhsa_user_sgpr_private_segment_buffer 1
		.amdhsa_user_sgpr_dispatch_ptr 0
		.amdhsa_user_sgpr_queue_ptr 0
		.amdhsa_user_sgpr_kernarg_segment_ptr 1
		.amdhsa_user_sgpr_dispatch_id 0
		.amdhsa_user_sgpr_flat_scratch_init 0
		.amdhsa_user_sgpr_private_segment_size 0
		.amdhsa_uses_dynamic_stack 0
		.amdhsa_system_sgpr_private_segment_wavefront_offset 0
		.amdhsa_system_sgpr_workgroup_id_x 1
		.amdhsa_system_sgpr_workgroup_id_y 1
		.amdhsa_system_sgpr_workgroup_id_z 0
		.amdhsa_system_sgpr_workgroup_info 0
		.amdhsa_system_vgpr_workitem_id 1
		.amdhsa_next_free_vgpr 31
		.amdhsa_next_free_sgpr 27
		.amdhsa_reserve_vcc 1
		.amdhsa_reserve_flat_scratch 0
		.amdhsa_float_round_mode_32 0
		.amdhsa_float_round_mode_16_64 0
		.amdhsa_float_denorm_mode_32 3
		.amdhsa_float_denorm_mode_16_64 3
		.amdhsa_dx10_clamp 1
		.amdhsa_ieee_mode 1
		.amdhsa_fp16_overflow 0
		.amdhsa_exception_fp_ieee_invalid_op 0
		.amdhsa_exception_fp_denorm_src 0
		.amdhsa_exception_fp_ieee_div_zero 0
		.amdhsa_exception_fp_ieee_overflow 0
		.amdhsa_exception_fp_ieee_underflow 0
		.amdhsa_exception_fp_ieee_inexact 0
		.amdhsa_exception_int_div_zero 0
	.end_amdhsa_kernel
	.section	.text._ZL17mul_mat_vec_q_moeIL9ggml_type20ELi2EEvPKvS2_PKiPfj15HIP_vector_typeIjLj3EEjjjjjjjjj,"axG",@progbits,_ZL17mul_mat_vec_q_moeIL9ggml_type20ELi2EEvPKvS2_PKiPfj15HIP_vector_typeIjLj3EEjjjjjjjjj,comdat
.Lfunc_end228:
	.size	_ZL17mul_mat_vec_q_moeIL9ggml_type20ELi2EEvPKvS2_PKiPfj15HIP_vector_typeIjLj3EEjjjjjjjjj, .Lfunc_end228-_ZL17mul_mat_vec_q_moeIL9ggml_type20ELi2EEvPKvS2_PKiPfj15HIP_vector_typeIjLj3EEjjjjjjjjj
                                        ; -- End function
	.set _ZL17mul_mat_vec_q_moeIL9ggml_type20ELi2EEvPKvS2_PKiPfj15HIP_vector_typeIjLj3EEjjjjjjjjj.num_vgpr, 31
	.set _ZL17mul_mat_vec_q_moeIL9ggml_type20ELi2EEvPKvS2_PKiPfj15HIP_vector_typeIjLj3EEjjjjjjjjj.num_agpr, 0
	.set _ZL17mul_mat_vec_q_moeIL9ggml_type20ELi2EEvPKvS2_PKiPfj15HIP_vector_typeIjLj3EEjjjjjjjjj.numbered_sgpr, 27
	.set _ZL17mul_mat_vec_q_moeIL9ggml_type20ELi2EEvPKvS2_PKiPfj15HIP_vector_typeIjLj3EEjjjjjjjjj.num_named_barrier, 0
	.set _ZL17mul_mat_vec_q_moeIL9ggml_type20ELi2EEvPKvS2_PKiPfj15HIP_vector_typeIjLj3EEjjjjjjjjj.private_seg_size, 0
	.set _ZL17mul_mat_vec_q_moeIL9ggml_type20ELi2EEvPKvS2_PKiPfj15HIP_vector_typeIjLj3EEjjjjjjjjj.uses_vcc, 1
	.set _ZL17mul_mat_vec_q_moeIL9ggml_type20ELi2EEvPKvS2_PKiPfj15HIP_vector_typeIjLj3EEjjjjjjjjj.uses_flat_scratch, 0
	.set _ZL17mul_mat_vec_q_moeIL9ggml_type20ELi2EEvPKvS2_PKiPfj15HIP_vector_typeIjLj3EEjjjjjjjjj.has_dyn_sized_stack, 0
	.set _ZL17mul_mat_vec_q_moeIL9ggml_type20ELi2EEvPKvS2_PKiPfj15HIP_vector_typeIjLj3EEjjjjjjjjj.has_recursion, 0
	.set _ZL17mul_mat_vec_q_moeIL9ggml_type20ELi2EEvPKvS2_PKiPfj15HIP_vector_typeIjLj3EEjjjjjjjjj.has_indirect_call, 0
	.section	.AMDGPU.csdata,"",@progbits
; Kernel info:
; codeLenInByte = 1416
; TotalNumSgprs: 31
; NumVgprs: 31
; ScratchSize: 0
; MemoryBound: 0
; FloatMode: 240
; IeeeMode: 1
; LDSByteSize: 0 bytes/workgroup (compile time only)
; SGPRBlocks: 3
; VGPRBlocks: 7
; NumSGPRsForWavesPerEU: 31
; NumVGPRsForWavesPerEU: 31
; Occupancy: 8
; WaveLimiterHint : 1
; COMPUTE_PGM_RSRC2:SCRATCH_EN: 0
; COMPUTE_PGM_RSRC2:USER_SGPR: 6
; COMPUTE_PGM_RSRC2:TRAP_HANDLER: 0
; COMPUTE_PGM_RSRC2:TGID_X_EN: 1
; COMPUTE_PGM_RSRC2:TGID_Y_EN: 1
; COMPUTE_PGM_RSRC2:TGID_Z_EN: 0
; COMPUTE_PGM_RSRC2:TIDIG_COMP_CNT: 1
	.section	.text._ZL13mul_mat_vec_qIL9ggml_type20ELi1ELb1ELb1EEvPKvS2_PKi31ggml_cuda_mm_fusion_args_devicePfj15HIP_vector_typeIjLj3EEjjjS8_jjjS8_jjjj,"axG",@progbits,_ZL13mul_mat_vec_qIL9ggml_type20ELi1ELb1ELb1EEvPKvS2_PKi31ggml_cuda_mm_fusion_args_devicePfj15HIP_vector_typeIjLj3EEjjjS8_jjjS8_jjjj,comdat
	.globl	_ZL13mul_mat_vec_qIL9ggml_type20ELi1ELb1ELb1EEvPKvS2_PKi31ggml_cuda_mm_fusion_args_devicePfj15HIP_vector_typeIjLj3EEjjjS8_jjjS8_jjjj ; -- Begin function _ZL13mul_mat_vec_qIL9ggml_type20ELi1ELb1ELb1EEvPKvS2_PKi31ggml_cuda_mm_fusion_args_devicePfj15HIP_vector_typeIjLj3EEjjjS8_jjjS8_jjjj
	.p2align	8
	.type	_ZL13mul_mat_vec_qIL9ggml_type20ELi1ELb1ELb1EEvPKvS2_PKi31ggml_cuda_mm_fusion_args_devicePfj15HIP_vector_typeIjLj3EEjjjS8_jjjS8_jjjj,@function
_ZL13mul_mat_vec_qIL9ggml_type20ELi1ELb1ELb1EEvPKvS2_PKi31ggml_cuda_mm_fusion_args_devicePfj15HIP_vector_typeIjLj3EEjjjS8_jjjS8_jjjj: ; @_ZL13mul_mat_vec_qIL9ggml_type20ELi1ELb1ELb1EEvPKvS2_PKi31ggml_cuda_mm_fusion_args_devicePfj15HIP_vector_typeIjLj3EEjjjS8_jjjS8_jjjj
; %bb.0:
	s_load_dwordx8 s[12:19], s[4:5], 0x0
	s_load_dwordx4 s[28:31], s[4:5], 0x20
	s_load_dwordx4 s[36:39], s[4:5], 0x40
	;; [unrolled: 1-line block ×3, first 2 shown]
	s_mov_b32 s34, s7
	s_waitcnt lgkmcnt(0)
	s_cmp_lg_u64 s[16:17], 0
	s_cselect_b64 s[0:1], -1, 0
	s_cmp_eq_u64 s[16:17], 0
	s_mov_b64 s[2:3], 0
	s_cbranch_scc1 .LBB229_5
; %bb.1:
	s_mov_b32 s35, 0
	s_lshl_b64 s[10:11], s[34:35], 2
	s_add_u32 s10, s16, s10
	s_addc_u32 s11, s17, s11
	s_load_dword s35, s[10:11], 0x0
	s_load_dword s33, s[4:5], 0x50
	s_load_dword s42, s[4:5], 0x78
	s_andn2_b64 vcc, exec, s[2:3]
	s_cbranch_vccnz .LBB229_3
.LBB229_2:
	s_load_dwordx2 s[2:3], s[4:5], 0x5c
	s_waitcnt lgkmcnt(0)
	s_mul_hi_u32 s2, s2, s34
	s_add_i32 s2, s34, s2
	s_lshr_b32 s35, s2, s3
.LBB229_3:
	s_andn2_b64 vcc, exec, s[0:1]
	s_cbranch_vccnz .LBB229_6
; %bb.4:
	s_mul_hi_u32 s0, s37, s34
	s_add_i32 s0, s34, s0
	s_lshr_b32 s0, s0, s38
	s_mul_i32 s0, s0, s39
	s_sub_i32 s37, s34, s0
	s_waitcnt lgkmcnt(0)
	s_mov_b32 s43, s35
	s_branch .LBB229_7
.LBB229_5:
                                        ; implicit-def: $sgpr35
	s_load_dword s33, s[4:5], 0x50
	s_load_dword s42, s[4:5], 0x78
	s_branch .LBB229_2
.LBB229_6:
	s_mov_b32 s43, s34
	s_mov_b32 s37, s34
.LBB229_7:
	s_load_dword s9, s[4:5], 0x58
	s_load_dwordx4 s[24:27], s[4:5], 0x80
	s_lshl_b32 s16, s6, 1
	s_cmp_eq_u64 s[18:19], 0
	s_cselect_b64 s[0:1], -1, 0
	v_mov_b32_e32 v17, 0
	s_and_b64 vcc, exec, s[0:1]
	v_cmp_gt_u32_e64 s[2:3], 2, v0
	v_cmp_eq_u32_e64 s[6:7], 0, v1
	v_add_u32_e32 v16, s16, v0
	v_mov_b32_e32 v18, 0
	s_cbranch_vccnz .LBB229_11
; %bb.8:
	s_waitcnt lgkmcnt(0)
	v_cmp_gt_u32_e32 vcc, s9, v16
	s_and_b64 s[2:3], s[2:3], vcc
	s_mov_b32 s11, 0
	s_and_b64 s[6:7], s[2:3], s[6:7]
	v_mov_b32_e32 v18, 0
	s_and_saveexec_b64 s[2:3], s[6:7]
	s_cbranch_execz .LBB229_10
; %bb.9:
	s_mul_i32 s10, s26, s8
	s_lshl_b64 s[6:7], s[10:11], 2
	s_add_u32 s17, s18, s6
	s_mul_i32 s10, s43, s22
	s_addc_u32 s18, s19, s7
	s_lshl_b64 s[6:7], s[10:11], 2
	s_add_u32 s10, s17, s6
	s_addc_u32 s11, s18, s7
	s_ashr_i32 s17, s16, 31
	s_lshl_b64 s[6:7], s[16:17], 2
	s_add_u32 s6, s10, s6
	s_addc_u32 s7, s11, s7
	v_lshlrev_b32_e32 v2, 2, v0
	global_load_dword v18, v2, s[6:7]
.LBB229_10:
	s_or_b64 exec, exec, s[2:3]
.LBB229_11:
	s_cmp_lg_u64 s[28:29], 0
	s_cselect_b64 s[38:39], -1, 0
	s_cmp_eq_u64 s[28:29], 0
	s_cselect_b64 s[18:19], -1, 0
	s_cmp_lg_u64 s[30:31], 0
	s_cselect_b64 s[2:3], -1, 0
	s_and_b64 s[6:7], s[2:3], s[38:39]
	s_andn2_b64 vcc, exec, s[6:7]
	s_waitcnt lgkmcnt(0)
	v_cmp_gt_u32_e64 s[6:7], s9, v16
	s_cbranch_vccnz .LBB229_15
; %bb.12:
	v_cmp_gt_u32_e32 vcc, 2, v0
	v_cmp_eq_u32_e64 s[10:11], 0, v1
	s_and_b64 s[6:7], vcc, s[6:7]
	s_mov_b32 s41, 0
	s_and_b64 s[10:11], s[6:7], s[10:11]
	v_mov_b32_e32 v17, 0
	s_and_saveexec_b64 s[6:7], s[10:11]
	s_cbranch_execz .LBB229_14
; %bb.13:
	s_mul_i32 s40, s26, s8
	s_lshl_b64 s[10:11], s[40:41], 2
	s_add_u32 s17, s30, s10
	s_mul_i32 s40, s43, s22
	s_addc_u32 s27, s31, s11
	s_lshl_b64 s[10:11], s[40:41], 2
	s_add_u32 s30, s17, s10
	s_addc_u32 s27, s27, s11
	s_ashr_i32 s17, s16, 31
	s_lshl_b64 s[10:11], s[16:17], 2
	s_add_u32 s10, s30, s10
	s_addc_u32 s11, s27, s11
	v_lshlrev_b32_e32 v2, 2, v0
	global_load_dword v17, v2, s[10:11]
.LBB229_14:
	s_or_b64 exec, exec, s[6:7]
.LBB229_15:
	v_lshlrev_b32_e32 v6, 6, v1
	v_add_u16_e32 v2, v6, v0
	v_lshrrev_b16_e32 v20, 1, v2
	v_mov_b32_e32 v4, 0
	v_cndmask_b32_e64 v2, 0, 1, s[38:39]
	s_lshr_b32 s17, s36, 5
	v_mov_b32_e32 v5, v4
	v_cmp_ne_u32_e64 s[6:7], 1, v2
	v_mov_b32_e32 v2, v4
	v_cmp_gt_u32_e32 vcc, s17, v20
	v_lshlrev_b32_e32 v15, 2, v0
	v_mov_b32_e32 v19, v4
	v_mov_b32_e32 v3, v5
	s_and_saveexec_b64 s[30:31], vcc
	s_cbranch_execz .LBB229_23
; %bb.16:
	s_mul_i32 s11, s37, s21
	s_mul_hi_u32 s21, s23, s8
	s_add_i32 s21, s8, s21
	s_lshr_b32 s21, s21, s42
	s_mul_i32 s20, s35, s20
	s_mul_i32 s21, s21, s24
	s_add_i32 s23, s16, 1
	s_mul_i32 s10, s25, s8
	s_add_i32 s21, s20, s21
	s_mul_i32 s20, s16, s33
	s_mul_i32 s33, s33, s23
	s_add_i32 s20, s21, s20
	s_add_i32 s21, s21, s33
	s_mul_hi_u32 s24, s10, 36
	s_mul_i32 s10, s10, 36
	s_add_u32 s10, s14, s10
	s_mul_hi_u32 s23, s11, 36
	s_mul_i32 s11, s11, 36
	s_addc_u32 s14, s15, s24
	v_add_u32_e32 v3, v6, v0
	s_add_u32 s10, s10, s11
	v_and_b32_e32 v5, 1, v0
	v_lshrrev_b32_e32 v3, 1, v3
	s_addc_u32 s11, s14, s23
	v_lshlrev_b32_e32 v21, 3, v5
	v_mad_u64_u32 v[5:6], s[10:11], v3, 36, s[10:11]
	v_and_b32_e32 v4, 4, v15
	v_mov_b32_e32 v2, 0
	v_mov_b32_e32 v3, v2
	s_mov_b64 s[14:15], 0
	v_lshlrev_b32_e32 v22, 1, v4
	s_mov_b32 s23, 0xf6eaddcf
	s_mov_b32 s24, 0x71594535
	v_mov_b32_e32 v23, 0xbfad9881
	v_mov_b32_e32 v24, 0x26190d01
	;; [unrolled: 1-line block ×4, first 2 shown]
	s_branch .LBB229_18
.LBB229_17:                             ;   in Loop: Header=BB229_18 Depth=1
	s_waitcnt vmcnt(3)
	v_ashrrev_i32_e32 v28, 4, v11
	v_and_b32_e32 v29, 0x7070707, v11
	v_lshrrev_b32_e32 v11, 1, v11
	v_and_b32_e32 v31, 0x7070707, v28
	v_and_b32_e32 v11, 0x4040404, v11
	v_lshrrev_b32_e32 v28, 1, v28
	v_perm_b32 v30, s23, v23, v29
	v_perm_b32 v29, s24, v24, v29
	v_or_b32_e32 v11, 0x3020100, v11
	v_and_b32_e32 v28, 0x4040404, v28
	v_perm_b32 v32, s23, v23, v31
	v_perm_b32 v31, s24, v24, v31
	;; [unrolled: 1-line block ×3, first 2 shown]
	v_or_b32_e32 v28, 0x3020100, v28
	v_perm_b32 v28, v31, v32, v28
	v_dot4_i32_i8 v11, v11, v7, 0
	v_dot4_i32_i8 v11, v28, v9, v11
	v_ashrrev_i32_e32 v28, 4, v12
	v_and_b32_e32 v29, 0x7070707, v12
	v_lshrrev_b32_e32 v12, 1, v12
	v_and_b32_e32 v31, 0x7070707, v28
	v_and_b32_e32 v12, 0x4040404, v12
	v_lshrrev_b32_e32 v28, 1, v28
	v_perm_b32 v30, s23, v23, v29
	v_perm_b32 v29, s24, v24, v29
	v_or_b32_e32 v12, 0x3020100, v12
	v_and_b32_e32 v28, 0x4040404, v28
	v_perm_b32 v32, s23, v23, v31
	v_perm_b32 v31, s24, v24, v31
	;; [unrolled: 1-line block ×3, first 2 shown]
	v_or_b32_e32 v28, 0x3020100, v28
	v_perm_b32 v28, v31, v32, v28
	v_dot4_i32_i8 v11, v12, v8, v11
	v_dot4_i32_i8 v11, v28, v10, v11
	s_waitcnt vmcnt(2)
	v_cvt_f32_f16_e32 v12, v26
	s_waitcnt vmcnt(1)
	v_ashrrev_i32_e32 v26, 4, v13
	v_and_b32_e32 v28, 0x7070707, v13
	v_lshrrev_b32_e32 v13, 1, v13
	v_and_b32_e32 v30, 0x7070707, v26
	v_and_b32_e32 v13, 0x4040404, v13
	v_lshrrev_b32_e32 v26, 1, v26
	v_perm_b32 v29, s23, v23, v28
	v_perm_b32 v28, s24, v24, v28
	v_or_b32_e32 v13, 0x3020100, v13
	v_and_b32_e32 v26, 0x4040404, v26
	v_perm_b32 v31, s23, v23, v30
	v_perm_b32 v30, s24, v24, v30
	;; [unrolled: 1-line block ×3, first 2 shown]
	v_or_b32_e32 v26, 0x3020100, v26
	v_perm_b32 v26, v30, v31, v26
	v_dot4_i32_i8 v7, v13, v7, 0
	v_dot4_i32_i8 v7, v26, v9, v7
	v_ashrrev_i32_e32 v9, 4, v14
	v_and_b32_e32 v13, 0x7070707, v14
	v_lshrrev_b32_e32 v14, 1, v14
	v_and_b32_e32 v28, 0x7070707, v9
	v_and_b32_e32 v14, 0x4040404, v14
	v_lshrrev_b32_e32 v9, 1, v9
	v_perm_b32 v26, s23, v23, v13
	v_perm_b32 v13, s24, v24, v13
	v_or_b32_e32 v14, 0x3020100, v14
	v_and_b32_e32 v9, 0x4040404, v9
	v_perm_b32 v29, s23, v23, v28
	v_perm_b32 v28, s24, v24, v28
	;; [unrolled: 1-line block ×3, first 2 shown]
	v_or_b32_e32 v9, 0x3020100, v9
	v_perm_b32 v9, v28, v29, v9
	v_dot4_i32_i8 v7, v13, v8, v7
	v_dot4_i32_i8 v7, v9, v10, v7
	s_waitcnt vmcnt(0)
	v_cvt_f32_f16_e32 v8, v27
	v_cvt_f32_i32_e32 v11, v11
	v_cvt_f32_i32_e32 v7, v7
	v_add_u32_e32 v20, 64, v20
	v_mul_f32_e32 v9, v12, v25
	v_mul_f32_e32 v8, v8, v25
	v_add_co_u32_e32 v5, vcc, 0x900, v5
	v_cmp_le_u32_e64 s[10:11], s17, v20
	v_fmac_f32_e32 v19, v9, v11
	v_fmac_f32_e32 v4, v8, v7
	s_or_b64 s[14:15], s[10:11], s[14:15]
	v_addc_co_u32_e32 v6, vcc, 0, v6, vcc
	s_andn2_b64 exec, exec, s[14:15]
	s_cbranch_execz .LBB229_22
.LBB229_18:                             ; =>This Inner Loop Header: Depth=1
	v_add_u32_e32 v13, s20, v20
	v_add_co_u32_e32 v11, vcc, v5, v21
	v_mad_i64_i32 v[27:28], s[10:11], v13, 18, s[12:13]
	v_addc_co_u32_e32 v12, vcc, 0, v6, vcc
	global_load_dwordx2 v[7:8], v[11:12], off offset:4
	global_load_dwordx2 v[9:10], v[11:12], off offset:20
	global_load_dword v14, v[5:6], off
	v_add_co_u32_e32 v29, vcc, v27, v22
	v_addc_co_u32_e32 v30, vcc, 0, v28, vcc
	global_load_dwordx2 v[11:12], v[29:30], off offset:2
	global_load_ushort v26, v[27:28], off
	s_and_b64 vcc, exec, s[6:7]
	s_waitcnt vmcnt(2)
	v_cvt_f32_f16_e32 v25, v14
	s_cbranch_vccnz .LBB229_20
; %bb.19:                               ;   in Loop: Header=BB229_18 Depth=1
	v_mad_i64_i32 v[13:14], s[10:11], v13, 18, s[28:29]
	v_add_co_u32_e32 v27, vcc, v13, v22
	v_addc_co_u32_e32 v28, vcc, 0, v14, vcc
	global_load_dwordx2 v[27:28], v[27:28], off offset:2
	s_nop 0
	global_load_ushort v13, v[13:14], off
	s_waitcnt vmcnt(1)
	v_ashrrev_i32_e32 v29, 4, v27
	v_and_b32_e32 v30, 0x7070707, v27
	v_lshrrev_b32_e32 v27, 1, v27
	v_and_b32_e32 v32, 0x7070707, v29
	v_and_b32_e32 v27, 0x4040404, v27
	v_lshrrev_b32_e32 v29, 1, v29
	v_perm_b32 v31, s23, v23, v30
	v_perm_b32 v30, s24, v24, v30
	v_or_b32_e32 v27, 0x3020100, v27
	v_and_b32_e32 v29, 0x4040404, v29
	v_perm_b32 v33, s23, v23, v32
	v_perm_b32 v32, s24, v24, v32
	;; [unrolled: 1-line block ×3, first 2 shown]
	v_or_b32_e32 v29, 0x3020100, v29
	v_perm_b32 v29, v32, v33, v29
	v_dot4_i32_i8 v27, v27, v7, 0
	v_dot4_i32_i8 v27, v29, v9, v27
	v_ashrrev_i32_e32 v29, 4, v28
	v_and_b32_e32 v30, 0x7070707, v28
	v_lshrrev_b32_e32 v28, 1, v28
	v_and_b32_e32 v32, 0x7070707, v29
	v_and_b32_e32 v28, 0x4040404, v28
	v_lshrrev_b32_e32 v29, 1, v29
	v_perm_b32 v31, s23, v23, v30
	v_perm_b32 v30, s24, v24, v30
	v_or_b32_e32 v28, 0x3020100, v28
	v_and_b32_e32 v29, 0x4040404, v29
	v_perm_b32 v33, s23, v23, v32
	v_perm_b32 v32, s24, v24, v32
	v_perm_b32 v28, v30, v31, v28
	v_or_b32_e32 v29, 0x3020100, v29
	v_perm_b32 v29, v32, v33, v29
	v_dot4_i32_i8 v27, v28, v8, v27
	v_dot4_i32_i8 v27, v29, v10, v27
	s_waitcnt vmcnt(0)
	v_cvt_f32_f16_e32 v13, v13
	v_cvt_f32_i32_e32 v14, v27
	v_mul_f32_e32 v13, v25, v13
	v_fma_f32 v2, v13, v14, v2
.LBB229_20:                             ;   in Loop: Header=BB229_18 Depth=1
	v_add_u32_e32 v28, s21, v20
	v_mad_i64_i32 v[29:30], s[10:11], v28, 18, s[12:13]
	v_add_co_u32_e32 v31, vcc, v29, v22
	v_addc_co_u32_e32 v32, vcc, 0, v30, vcc
	global_load_dwordx2 v[13:14], v[31:32], off offset:2
	global_load_ushort v27, v[29:30], off
	s_and_b64 vcc, exec, s[6:7]
	s_cbranch_vccnz .LBB229_17
; %bb.21:                               ;   in Loop: Header=BB229_18 Depth=1
	v_mad_i64_i32 v[28:29], s[10:11], v28, 18, s[28:29]
	v_add_co_u32_e32 v30, vcc, v28, v22
	v_addc_co_u32_e32 v31, vcc, 0, v29, vcc
	global_load_dwordx2 v[30:31], v[30:31], off offset:2
	s_nop 0
	global_load_ushort v28, v[28:29], off
	s_waitcnt vmcnt(1)
	v_ashrrev_i32_e32 v32, 4, v30
	v_and_b32_e32 v33, 0x7070707, v30
	v_lshrrev_b32_e32 v30, 1, v30
	v_and_b32_e32 v35, 0x7070707, v32
	v_and_b32_e32 v30, 0x4040404, v30
	v_lshrrev_b32_e32 v32, 1, v32
	v_perm_b32 v34, s23, v23, v33
	v_perm_b32 v33, s24, v24, v33
	v_or_b32_e32 v30, 0x3020100, v30
	v_and_b32_e32 v32, 0x4040404, v32
	v_perm_b32 v36, s23, v23, v35
	v_perm_b32 v35, s24, v24, v35
	;; [unrolled: 1-line block ×3, first 2 shown]
	v_or_b32_e32 v32, 0x3020100, v32
	v_perm_b32 v32, v35, v36, v32
	v_dot4_i32_i8 v30, v30, v7, 0
	v_dot4_i32_i8 v30, v32, v9, v30
	v_ashrrev_i32_e32 v32, 4, v31
	v_and_b32_e32 v33, 0x7070707, v31
	v_lshrrev_b32_e32 v31, 1, v31
	v_and_b32_e32 v35, 0x7070707, v32
	v_and_b32_e32 v31, 0x4040404, v31
	v_lshrrev_b32_e32 v32, 1, v32
	v_perm_b32 v34, s23, v23, v33
	v_perm_b32 v33, s24, v24, v33
	v_or_b32_e32 v31, 0x3020100, v31
	v_and_b32_e32 v32, 0x4040404, v32
	v_perm_b32 v36, s23, v23, v35
	v_perm_b32 v35, s24, v24, v35
	;; [unrolled: 1-line block ×3, first 2 shown]
	v_or_b32_e32 v32, 0x3020100, v32
	v_perm_b32 v32, v35, v36, v32
	v_dot4_i32_i8 v30, v31, v8, v30
	v_dot4_i32_i8 v30, v32, v10, v30
	s_waitcnt vmcnt(0)
	v_cvt_f32_f16_e32 v28, v28
	v_cvt_f32_i32_e32 v29, v30
	v_mul_f32_e32 v28, v25, v28
	v_fma_f32 v3, v28, v29, v3
	s_branch .LBB229_17
.LBB229_22:
	s_or_b64 exec, exec, s[14:15]
.LBB229_23:
	s_or_b64 exec, exec, s[30:31]
	s_load_dword s17, s[4:5], 0x30
	v_cmp_eq_u32_e64 s[10:11], 0, v1
	v_cmp_ne_u32_e32 vcc, 0, v1
	s_and_saveexec_b64 s[12:13], vcc
	s_cbranch_execz .LBB229_28
; %bb.24:
	v_lshl_or_b32 v1, v1, 9, v15
	v_add_u32_e32 v5, 0xfffffe00, v1
	s_mov_b64 s[14:15], -1
	s_and_b64 vcc, exec, s[18:19]
	ds_write_b32 v5, v19
	s_cbranch_vccz .LBB229_26
; %bb.25:
	ds_write_b32 v5, v4 offset:256
	s_mov_b64 s[14:15], 0
.LBB229_26:
	s_andn2_b64 vcc, exec, s[14:15]
	s_cbranch_vccnz .LBB229_28
; %bb.27:
	ds_write_b32 v5, v4 offset:256
	ds_write2st64_b32 v1, v2, v3 offset1:1
.LBB229_28:
	s_or_b64 exec, exec, s[12:13]
	s_waitcnt vmcnt(0) lgkmcnt(0)
	s_barrier
	s_and_saveexec_b64 s[12:13], s[10:11]
	s_cbranch_execz .LBB229_61
; %bb.29:
	ds_read_b32 v6, v15
	s_and_b64 vcc, exec, s[6:7]
	v_or_b32_e32 v5, 0x200, v15
	s_cbranch_vccnz .LBB229_31
; %bb.30:
	ds_read_b32 v1, v5
	s_waitcnt lgkmcnt(0)
	v_add_f32_e32 v2, v2, v1
.LBB229_31:
	v_mbcnt_lo_u32_b32 v1, -1, 0
	v_mbcnt_hi_u32_b32 v7, -1, v1
	v_and_b32_e32 v1, 64, v7
	v_add_u32_e32 v12, 64, v1
	v_xor_b32_e32 v1, 32, v7
	v_cmp_lt_i32_e32 vcc, v1, v12
	v_cndmask_b32_e32 v1, v7, v1, vcc
	v_lshlrev_b32_e32 v1, 2, v1
	s_waitcnt lgkmcnt(0)
	v_add_f32_e32 v6, v19, v6
	ds_bpermute_b32 v9, v1, v6
	v_xor_b32_e32 v8, 16, v7
	v_cmp_lt_i32_e32 vcc, v8, v12
	v_cndmask_b32_e32 v8, v7, v8, vcc
	v_lshlrev_b32_e32 v8, 2, v8
	s_waitcnt lgkmcnt(0)
	v_add_f32_e32 v6, v6, v9
	ds_bpermute_b32 v10, v8, v6
	;; [unrolled: 7-line block ×6, first 2 shown]
	s_and_b64 vcc, exec, s[6:7]
	s_cbranch_vccnz .LBB229_33
; %bb.32:
	ds_bpermute_b32 v13, v1, v2
	s_waitcnt lgkmcnt(0)
	v_add_f32_e32 v2, v2, v13
	ds_bpermute_b32 v13, v8, v2
	s_waitcnt lgkmcnt(0)
	v_add_f32_e32 v2, v2, v13
	;; [unrolled: 3-line block ×6, first 2 shown]
.LBB229_33:
	ds_read_b32 v13, v15 offset:256
	s_and_b64 vcc, exec, s[6:7]
	s_cbranch_vccnz .LBB229_35
; %bb.34:
	ds_read_b32 v5, v5 offset:256
	s_waitcnt lgkmcnt(0)
	v_add_f32_e32 v3, v3, v5
.LBB229_35:
	s_waitcnt lgkmcnt(0)
	v_add_f32_e32 v4, v4, v13
	ds_bpermute_b32 v5, v1, v4
	s_and_b64 vcc, exec, s[6:7]
	s_waitcnt lgkmcnt(0)
	v_add_f32_e32 v4, v4, v5
	ds_bpermute_b32 v5, v8, v4
	s_waitcnt lgkmcnt(0)
	v_add_f32_e32 v4, v4, v5
	ds_bpermute_b32 v5, v9, v4
	;; [unrolled: 3-line block ×5, first 2 shown]
	s_cbranch_vccnz .LBB229_37
; %bb.36:
	ds_bpermute_b32 v1, v1, v3
	s_waitcnt lgkmcnt(0)
	v_add_f32_e32 v1, v3, v1
	ds_bpermute_b32 v3, v8, v1
	s_waitcnt lgkmcnt(0)
	v_add_f32_e32 v1, v1, v3
	;; [unrolled: 3-line block ×6, first 2 shown]
.LBB229_37:
	v_cmp_gt_u32_e32 vcc, s9, v16
	v_cmp_gt_u32_e64 s[10:11], 2, v0
	s_and_b64 s[10:11], s[10:11], vcc
	s_and_b64 exec, exec, s[10:11]
	s_cbranch_execz .LBB229_61
; %bb.38:
	v_add_f32_e32 v1, v6, v7
	s_waitcnt lgkmcnt(0)
	v_add_f32_e32 v4, v4, v5
	v_cmp_eq_u32_e64 s[10:11], 1, v0
	v_cndmask_b32_e64 v0, v1, v4, s[10:11]
	v_add_f32_e32 v1, v18, v0
	s_and_b64 vcc, exec, s[6:7]
	v_cndmask_b32_e64 v0, v1, v0, s[0:1]
	s_cbranch_vccnz .LBB229_60
; %bb.39:
	v_cndmask_b32_e64 v1, v2, v3, s[10:11]
	v_add_f32_e32 v2, v17, v1
	v_cndmask_b32_e64 v1, v1, v2, s[2:3]
	s_cmp_lt_i32 s17, 2
	s_mov_b64 s[0:1], 0
	s_cbranch_scc1 .LBB229_43
; %bb.40:
	s_cmp_gt_i32 s17, 2
	s_cbranch_scc0 .LBB229_44
; %bb.41:
	s_cmp_eq_u32 s17, 3
	s_cbranch_scc0 .LBB229_45
; %bb.42:
	v_max_f32_e32 v2, v1, v1
	v_min_f32_e32 v2, 0x40e00000, v2
	v_mul_f32_e32 v3, 0xbfd9db23, v2
	s_mov_b32 s2, 0x3fb8aa3b
	v_mul_f32_e32 v4, 0x3fb8aa3b, v3
	v_fma_f32 v5, v3, s2, -v4
	v_rndne_f32_e32 v6, v4
	v_fmac_f32_e32 v5, 0x32a5705f, v3
	v_sub_f32_e32 v4, v4, v6
	v_add_f32_e32 v4, v4, v5
	v_exp_f32_e32 v4, v4
	v_cvt_i32_f32_e32 v5, v6
	s_mov_b32 s2, 0xc2ce8ed0
	v_cmp_ngt_f32_e32 vcc, s2, v3
	s_mov_b32 s2, 0x42b17218
	v_ldexp_f32 v4, v4, v5
	v_cndmask_b32_e32 v4, 0, v4, vcc
	v_mov_b32_e32 v5, 0x7f800000
	v_cmp_nlt_f32_e32 vcc, s2, v3
	v_cndmask_b32_e32 v3, v5, v4, vcc
	v_add_f32_e32 v3, 1.0, v3
	v_div_scale_f32 v4, s[2:3], v3, v3, v2
	v_div_scale_f32 v5, vcc, v2, v3, v2
	s_mov_b64 s[2:3], 0
	v_rcp_f32_e32 v6, v4
	v_fma_f32 v7, -v4, v6, 1.0
	v_fmac_f32_e32 v6, v7, v6
	v_mul_f32_e32 v7, v5, v6
	v_fma_f32 v8, -v4, v7, v5
	v_fmac_f32_e32 v7, v8, v6
	v_fma_f32 v4, -v4, v7, v5
	v_div_fmas_f32 v4, v4, v6, v7
	v_max_f32_e32 v5, v0, v0
	v_min_f32_e32 v5, 0x40e00000, v5
	v_max_f32_e32 v5, 0xc0e00000, v5
	v_add_f32_e32 v5, 1.0, v5
	v_div_fixup_f32 v2, v4, v3, v2
	v_mul_f32_e32 v2, v5, v2
	s_branch .LBB229_46
.LBB229_43:
                                        ; implicit-def: $vgpr2
	s_mov_b64 s[2:3], 0
	s_cbranch_execnz .LBB229_50
	s_branch .LBB229_51
.LBB229_44:
	s_mov_b64 s[6:7], -1
	s_mov_b64 s[2:3], 0
                                        ; implicit-def: $vgpr2
	s_branch .LBB229_47
.LBB229_45:
	s_mov_b64 s[2:3], -1
                                        ; implicit-def: $vgpr2
.LBB229_46:
	s_mov_b64 s[6:7], 0
.LBB229_47:
	s_and_b64 vcc, exec, s[6:7]
	s_cbranch_vccz .LBB229_49
; %bb.48:
	v_mul_f32_e32 v2, 0xbfb8aa3b, v1
	s_mov_b32 s6, 0xbfb8aa3b
	v_rndne_f32_e32 v3, v2
	v_sub_f32_e32 v4, v2, v3
	v_fma_f32 v2, v1, s6, -v2
	v_fmac_f32_e32 v2, 0xb2a5705f, v1
	v_add_f32_e32 v2, v4, v2
	v_exp_f32_e32 v2, v2
	v_cvt_i32_f32_e32 v3, v3
	s_mov_b32 s6, 0x42ce8ed0
	v_cmp_nlt_f32_e32 vcc, s6, v1
	s_mov_b32 s6, 0xc2b17218
	v_ldexp_f32 v2, v2, v3
	v_cndmask_b32_e32 v2, 0, v2, vcc
	v_mov_b32_e32 v3, 0x7f800000
	v_cmp_ngt_f32_e32 vcc, s6, v1
	v_cndmask_b32_e32 v2, v3, v2, vcc
	v_add_f32_e32 v2, 1.0, v2
	v_div_scale_f32 v3, s[6:7], v2, v2, v1
	v_div_scale_f32 v4, vcc, v1, v2, v1
	v_rcp_f32_e32 v5, v3
	v_fma_f32 v6, -v3, v5, 1.0
	v_fmac_f32_e32 v5, v6, v5
	v_mul_f32_e32 v6, v4, v5
	v_fma_f32 v7, -v3, v6, v4
	v_fmac_f32_e32 v6, v7, v5
	v_fma_f32 v3, -v3, v6, v4
	v_div_fmas_f32 v3, v3, v5, v6
	v_div_fixup_f32 v2, v3, v2, v1
	v_mul_f32_e32 v2, v0, v2
.LBB229_49:
	s_branch .LBB229_51
.LBB229_50:
	s_cmp_lg_u32 s17, 1
	s_mov_b64 s[0:1], -1
	s_cselect_b64 s[2:3], -1, 0
.LBB229_51:
	s_andn2_b64 vcc, exec, s[2:3]
	s_cbranch_vccz .LBB229_53
; %bb.52:
	s_andn2_b64 vcc, exec, s[0:1]
	s_cbranch_vccz .LBB229_54
	s_branch .LBB229_59
.LBB229_53:
	v_mul_f32_e32 v2, v1, v0
	s_cbranch_execnz .LBB229_59
.LBB229_54:
	v_mul_f32_e32 v3, 0x3d372713, v1
	v_mul_f32_e32 v2, 0x3f4c422a, v1
	v_fma_f32 v3, v1, v3, 1.0
	v_mul_f32_e32 v2, v2, v3
	s_mov_b32 s0, 0x3f200000
	v_cmp_nlt_f32_e64 s[0:1], |v2|, s0
                                        ; implicit-def: $vgpr3
	s_and_saveexec_b64 s[2:3], s[0:1]
	s_xor_b64 s[0:1], exec, s[2:3]
	s_cbranch_execz .LBB229_56
; %bb.55:
	v_add_f32_e64 v3, |v2|, |v2|
	v_mul_f32_e32 v4, 0x3fb8aa3b, v3
	s_mov_b32 s2, 0x3fb8aa3b
	v_rndne_f32_e32 v5, v4
	v_sub_f32_e32 v6, v4, v5
	v_fma_f32 v4, v3, s2, -v4
	v_fmac_f32_e32 v4, 0x32a5705f, v3
	v_add_f32_e32 v4, v6, v4
	v_exp_f32_e32 v4, v4
	v_cvt_i32_f32_e32 v5, v5
	s_mov_b32 s2, 0xc2ce8ed0
	v_cmp_ngt_f32_e32 vcc, s2, v3
	s_mov_b32 s2, 0x42b17218
	v_ldexp_f32 v4, v4, v5
	v_cndmask_b32_e32 v4, 0, v4, vcc
	v_mov_b32_e32 v5, 0x7f800000
	v_cmp_nlt_f32_e32 vcc, s2, v3
	v_cndmask_b32_e32 v3, v5, v4, vcc
	v_add_f32_e32 v3, 1.0, v3
	v_rcp_f32_e32 v3, v3
	v_fma_f32 v3, v3, -2.0, 1.0
.LBB229_56:
	s_andn2_saveexec_b64 s[0:1], s[0:1]
	s_cbranch_execz .LBB229_58
; %bb.57:
	v_mul_f32_e32 v3, v2, v2
	v_mov_b32_e32 v4, 0x3ca908c9
	v_fmac_f32_e32 v4, 0xbbbac73d, v3
	v_mov_b32_e32 v5, 0xbd5c1c4e
	v_fmac_f32_e32 v5, v3, v4
	;; [unrolled: 2-line block ×4, first 2 shown]
	v_mul_f32_e64 v4, |v2|, v5
	v_fma_f32 v3, v3, v4, |v2|
.LBB229_58:
	s_or_b64 exec, exec, s[0:1]
	s_brev_b32 s0, -2
	v_bfi_b32 v2, s0, v3, v2
	v_mul_f32_e32 v1, 0.5, v1
	v_add_f32_e32 v2, 1.0, v2
	v_mul_f32_e32 v1, v1, v2
	v_mul_f32_e32 v2, v0, v1
.LBB229_59:
	v_mov_b32_e32 v0, v2
.LBB229_60:
	s_load_dwordx2 s[0:1], s[4:5], 0x38
	s_mul_i32 s3, s22, s34
	s_mul_i32 s2, s26, s8
	s_add_i32 s3, s3, s16
	s_add_i32 s2, s3, s2
	s_mov_b32 s3, 0
	s_lshl_b64 s[2:3], s[2:3], 2
	s_waitcnt lgkmcnt(0)
	s_add_u32 s0, s0, s2
	s_addc_u32 s1, s1, s3
	global_store_dword v15, v0, s[0:1]
.LBB229_61:
	s_endpgm
	.section	.rodata,"a",@progbits
	.p2align	6, 0x0
	.amdhsa_kernel _ZL13mul_mat_vec_qIL9ggml_type20ELi1ELb1ELb1EEvPKvS2_PKi31ggml_cuda_mm_fusion_args_devicePfj15HIP_vector_typeIjLj3EEjjjS8_jjjS8_jjjj
		.amdhsa_group_segment_fixed_size 1024
		.amdhsa_private_segment_fixed_size 0
		.amdhsa_kernarg_size 144
		.amdhsa_user_sgpr_count 6
		.amdhsa_user_sgpr_private_segment_buffer 1
		.amdhsa_user_sgpr_dispatch_ptr 0
		.amdhsa_user_sgpr_queue_ptr 0
		.amdhsa_user_sgpr_kernarg_segment_ptr 1
		.amdhsa_user_sgpr_dispatch_id 0
		.amdhsa_user_sgpr_flat_scratch_init 0
		.amdhsa_user_sgpr_private_segment_size 0
		.amdhsa_uses_dynamic_stack 0
		.amdhsa_system_sgpr_private_segment_wavefront_offset 0
		.amdhsa_system_sgpr_workgroup_id_x 1
		.amdhsa_system_sgpr_workgroup_id_y 1
		.amdhsa_system_sgpr_workgroup_id_z 1
		.amdhsa_system_sgpr_workgroup_info 0
		.amdhsa_system_vgpr_workitem_id 1
		.amdhsa_next_free_vgpr 37
		.amdhsa_next_free_sgpr 44
		.amdhsa_reserve_vcc 1
		.amdhsa_reserve_flat_scratch 0
		.amdhsa_float_round_mode_32 0
		.amdhsa_float_round_mode_16_64 0
		.amdhsa_float_denorm_mode_32 3
		.amdhsa_float_denorm_mode_16_64 3
		.amdhsa_dx10_clamp 1
		.amdhsa_ieee_mode 1
		.amdhsa_fp16_overflow 0
		.amdhsa_exception_fp_ieee_invalid_op 0
		.amdhsa_exception_fp_denorm_src 0
		.amdhsa_exception_fp_ieee_div_zero 0
		.amdhsa_exception_fp_ieee_overflow 0
		.amdhsa_exception_fp_ieee_underflow 0
		.amdhsa_exception_fp_ieee_inexact 0
		.amdhsa_exception_int_div_zero 0
	.end_amdhsa_kernel
	.section	.text._ZL13mul_mat_vec_qIL9ggml_type20ELi1ELb1ELb1EEvPKvS2_PKi31ggml_cuda_mm_fusion_args_devicePfj15HIP_vector_typeIjLj3EEjjjS8_jjjS8_jjjj,"axG",@progbits,_ZL13mul_mat_vec_qIL9ggml_type20ELi1ELb1ELb1EEvPKvS2_PKi31ggml_cuda_mm_fusion_args_devicePfj15HIP_vector_typeIjLj3EEjjjS8_jjjS8_jjjj,comdat
.Lfunc_end229:
	.size	_ZL13mul_mat_vec_qIL9ggml_type20ELi1ELb1ELb1EEvPKvS2_PKi31ggml_cuda_mm_fusion_args_devicePfj15HIP_vector_typeIjLj3EEjjjS8_jjjS8_jjjj, .Lfunc_end229-_ZL13mul_mat_vec_qIL9ggml_type20ELi1ELb1ELb1EEvPKvS2_PKi31ggml_cuda_mm_fusion_args_devicePfj15HIP_vector_typeIjLj3EEjjjS8_jjjS8_jjjj
                                        ; -- End function
	.set _ZL13mul_mat_vec_qIL9ggml_type20ELi1ELb1ELb1EEvPKvS2_PKi31ggml_cuda_mm_fusion_args_devicePfj15HIP_vector_typeIjLj3EEjjjS8_jjjS8_jjjj.num_vgpr, 37
	.set _ZL13mul_mat_vec_qIL9ggml_type20ELi1ELb1ELb1EEvPKvS2_PKi31ggml_cuda_mm_fusion_args_devicePfj15HIP_vector_typeIjLj3EEjjjS8_jjjS8_jjjj.num_agpr, 0
	.set _ZL13mul_mat_vec_qIL9ggml_type20ELi1ELb1ELb1EEvPKvS2_PKi31ggml_cuda_mm_fusion_args_devicePfj15HIP_vector_typeIjLj3EEjjjS8_jjjS8_jjjj.numbered_sgpr, 44
	.set _ZL13mul_mat_vec_qIL9ggml_type20ELi1ELb1ELb1EEvPKvS2_PKi31ggml_cuda_mm_fusion_args_devicePfj15HIP_vector_typeIjLj3EEjjjS8_jjjS8_jjjj.num_named_barrier, 0
	.set _ZL13mul_mat_vec_qIL9ggml_type20ELi1ELb1ELb1EEvPKvS2_PKi31ggml_cuda_mm_fusion_args_devicePfj15HIP_vector_typeIjLj3EEjjjS8_jjjS8_jjjj.private_seg_size, 0
	.set _ZL13mul_mat_vec_qIL9ggml_type20ELi1ELb1ELb1EEvPKvS2_PKi31ggml_cuda_mm_fusion_args_devicePfj15HIP_vector_typeIjLj3EEjjjS8_jjjS8_jjjj.uses_vcc, 1
	.set _ZL13mul_mat_vec_qIL9ggml_type20ELi1ELb1ELb1EEvPKvS2_PKi31ggml_cuda_mm_fusion_args_devicePfj15HIP_vector_typeIjLj3EEjjjS8_jjjS8_jjjj.uses_flat_scratch, 0
	.set _ZL13mul_mat_vec_qIL9ggml_type20ELi1ELb1ELb1EEvPKvS2_PKi31ggml_cuda_mm_fusion_args_devicePfj15HIP_vector_typeIjLj3EEjjjS8_jjjS8_jjjj.has_dyn_sized_stack, 0
	.set _ZL13mul_mat_vec_qIL9ggml_type20ELi1ELb1ELb1EEvPKvS2_PKi31ggml_cuda_mm_fusion_args_devicePfj15HIP_vector_typeIjLj3EEjjjS8_jjjS8_jjjj.has_recursion, 0
	.set _ZL13mul_mat_vec_qIL9ggml_type20ELi1ELb1ELb1EEvPKvS2_PKi31ggml_cuda_mm_fusion_args_devicePfj15HIP_vector_typeIjLj3EEjjjS8_jjjS8_jjjj.has_indirect_call, 0
	.section	.AMDGPU.csdata,"",@progbits
; Kernel info:
; codeLenInByte = 3772
; TotalNumSgprs: 48
; NumVgprs: 37
; ScratchSize: 0
; MemoryBound: 0
; FloatMode: 240
; IeeeMode: 1
; LDSByteSize: 1024 bytes/workgroup (compile time only)
; SGPRBlocks: 5
; VGPRBlocks: 9
; NumSGPRsForWavesPerEU: 48
; NumVGPRsForWavesPerEU: 37
; Occupancy: 6
; WaveLimiterHint : 0
; COMPUTE_PGM_RSRC2:SCRATCH_EN: 0
; COMPUTE_PGM_RSRC2:USER_SGPR: 6
; COMPUTE_PGM_RSRC2:TRAP_HANDLER: 0
; COMPUTE_PGM_RSRC2:TGID_X_EN: 1
; COMPUTE_PGM_RSRC2:TGID_Y_EN: 1
; COMPUTE_PGM_RSRC2:TGID_Z_EN: 1
; COMPUTE_PGM_RSRC2:TIDIG_COMP_CNT: 1
	.section	.text._ZL13mul_mat_vec_qIL9ggml_type20ELi1ELb0ELb1EEvPKvS2_PKi31ggml_cuda_mm_fusion_args_devicePfj15HIP_vector_typeIjLj3EEjjjS8_jjjS8_jjjj,"axG",@progbits,_ZL13mul_mat_vec_qIL9ggml_type20ELi1ELb0ELb1EEvPKvS2_PKi31ggml_cuda_mm_fusion_args_devicePfj15HIP_vector_typeIjLj3EEjjjS8_jjjS8_jjjj,comdat
	.globl	_ZL13mul_mat_vec_qIL9ggml_type20ELi1ELb0ELb1EEvPKvS2_PKi31ggml_cuda_mm_fusion_args_devicePfj15HIP_vector_typeIjLj3EEjjjS8_jjjS8_jjjj ; -- Begin function _ZL13mul_mat_vec_qIL9ggml_type20ELi1ELb0ELb1EEvPKvS2_PKi31ggml_cuda_mm_fusion_args_devicePfj15HIP_vector_typeIjLj3EEjjjS8_jjjS8_jjjj
	.p2align	8
	.type	_ZL13mul_mat_vec_qIL9ggml_type20ELi1ELb0ELb1EEvPKvS2_PKi31ggml_cuda_mm_fusion_args_devicePfj15HIP_vector_typeIjLj3EEjjjS8_jjjS8_jjjj,@function
_ZL13mul_mat_vec_qIL9ggml_type20ELi1ELb0ELb1EEvPKvS2_PKi31ggml_cuda_mm_fusion_args_devicePfj15HIP_vector_typeIjLj3EEjjjS8_jjjS8_jjjj: ; @_ZL13mul_mat_vec_qIL9ggml_type20ELi1ELb0ELb1EEvPKvS2_PKi31ggml_cuda_mm_fusion_args_devicePfj15HIP_vector_typeIjLj3EEjjjS8_jjjS8_jjjj
; %bb.0:
	s_load_dwordx2 s[0:1], s[4:5], 0x10
	s_load_dwordx4 s[16:19], s[4:5], 0x40
	s_mov_b32 s10, s7
	s_mov_b64 s[14:15], 0
	s_waitcnt lgkmcnt(0)
	s_cmp_lg_u64 s[0:1], 0
	s_cselect_b64 s[12:13], -1, 0
	s_cmp_eq_u64 s[0:1], 0
	s_cbranch_scc1 .LBB230_5
; %bb.1:
	s_mov_b32 s11, 0
	s_lshl_b64 s[2:3], s[10:11], 2
	s_add_u32 s0, s0, s2
	s_addc_u32 s1, s1, s3
	s_load_dword s21, s[0:1], 0x0
	s_nop 0
	s_load_dwordx4 s[0:3], s[4:5], 0x68
	s_load_dword s20, s[4:5], 0x50
	s_andn2_b64 vcc, exec, s[14:15]
	s_cbranch_vccnz .LBB230_3
.LBB230_2:
	s_load_dwordx2 s[14:15], s[4:5], 0x5c
	s_waitcnt lgkmcnt(0)
	s_mul_hi_u32 s7, s14, s10
	s_add_i32 s7, s10, s7
	s_lshr_b32 s21, s7, s15
.LBB230_3:
	s_load_dword s22, s[4:5], 0x78
	s_andn2_b64 vcc, exec, s[12:13]
	s_cbranch_vccnz .LBB230_6
; %bb.4:
	s_mul_hi_u32 s7, s17, s10
	s_add_i32 s7, s10, s7
	s_lshr_b32 s7, s7, s18
	s_mul_i32 s7, s7, s19
	s_sub_i32 s23, s10, s7
	s_branch .LBB230_7
.LBB230_5:
                                        ; implicit-def: $sgpr21
	s_load_dwordx4 s[0:3], s[4:5], 0x68
	s_load_dword s20, s[4:5], 0x50
	s_branch .LBB230_2
.LBB230_6:
	s_mov_b32 s23, s10
.LBB230_7:
	s_load_dwordx4 s[12:15], s[4:5], 0x80
	v_lshlrev_b32_e32 v2, 6, v1
	v_add_u16_e32 v3, v2, v0
	s_lshr_b32 s11, s16, 5
	v_lshrrev_b16_e32 v7, 1, v3
	s_lshl_b32 s9, s6, 1
	v_cmp_gt_u32_e32 vcc, s11, v7
	v_mov_b32_e32 v6, 0
	v_lshlrev_b32_e32 v4, 2, v0
	v_mov_b32_e32 v5, 0
	s_and_saveexec_b64 s[6:7], vcc
	s_cbranch_execz .LBB230_11
; %bb.8:
	s_waitcnt lgkmcnt(0)
	s_mul_hi_u32 s3, s3, s8
	s_add_i32 s3, s8, s3
	s_lshr_b32 s3, s3, s22
	s_load_dwordx4 s[16:19], s[4:5], 0x0
	s_mul_i32 s0, s21, s0
	s_mul_i32 s3, s3, s12
	s_add_i32 s12, s0, s3
	s_mul_i32 s0, s9, s20
	s_add_i32 s3, s12, s0
	s_add_i32 s0, s9, 1
	s_mul_i32 s13, s13, s8
	s_mul_i32 s20, s20, s0
	s_add_i32 s12, s12, s20
	s_mul_hi_u32 s0, s13, 36
	s_mul_i32 s13, s13, 36
	s_mul_i32 s1, s23, s1
	s_waitcnt lgkmcnt(0)
	s_add_u32 s13, s18, s13
	s_mul_hi_u32 s15, s1, 36
	s_mul_i32 s1, s1, 36
	s_addc_u32 s18, s19, s0
	v_add_u32_e32 v2, v2, v0
	s_add_u32 s0, s13, s1
	v_and_b32_e32 v3, 1, v0
	v_lshrrev_b32_e32 v2, 1, v2
	s_addc_u32 s1, s18, s15
	v_lshlrev_b32_e32 v8, 3, v3
	v_mad_u64_u32 v[2:3], s[0:1], v2, 36, s[0:1]
	v_and_b32_e32 v6, 4, v4
	v_mov_b32_e32 v5, 0
	s_mov_b64 s[0:1], 0
	v_lshlrev_b32_e32 v9, 1, v6
	s_mov_b32 s13, 0xf6eaddcf
	v_mov_b32_e32 v10, 0xbfad9881
	s_mov_b32 s15, 0x71594535
	v_mov_b32_e32 v11, 0x26190d01
	v_mov_b32_e32 v6, 0
.LBB230_9:                              ; =>This Inner Loop Header: Depth=1
	v_add_u32_e32 v14, s3, v7
	v_mad_i64_i32 v[14:15], s[18:19], v14, 18, s[16:17]
	v_add_u32_e32 v16, s12, v7
	v_add_co_u32_e32 v12, vcc, v2, v8
	v_mad_i64_i32 v[16:17], s[18:19], v16, 18, s[16:17]
	v_addc_co_u32_e32 v13, vcc, 0, v3, vcc
	v_add_co_u32_e32 v18, vcc, v14, v9
	v_addc_co_u32_e32 v19, vcc, 0, v15, vcc
	v_add_co_u32_e32 v20, vcc, v16, v9
	v_addc_co_u32_e32 v21, vcc, 0, v17, vcc
	global_load_dwordx2 v[22:23], v[18:19], off offset:2
	global_load_dwordx2 v[24:25], v[20:21], off offset:2
	global_load_ushort v26, v[16:17], off
	global_load_ushort v27, v[14:15], off
	v_add_u32_e32 v7, 64, v7
	s_waitcnt vmcnt(3)
	v_lshrrev_b32_e32 v15, 1, v22
	v_and_b32_e32 v14, 0x7070707, v22
	v_lshrrev_b32_e32 v17, 1, v23
	v_and_b32_e32 v15, 0x4040404, v15
	v_and_b32_e32 v16, 0x7070707, v23
	v_perm_b32 v20, s13, v10, v14
	v_perm_b32 v14, s15, v11, v14
	v_or_b32_e32 v15, 0x3020100, v15
	v_and_b32_e32 v17, 0x4040404, v17
	s_waitcnt vmcnt(2)
	v_lshrrev_b32_e32 v19, 1, v24
	v_perm_b32 v20, v14, v20, v15
	v_perm_b32 v15, s13, v10, v16
	;; [unrolled: 1-line block ×3, first 2 shown]
	v_or_b32_e32 v17, 0x3020100, v17
	v_and_b32_e32 v18, 0x7070707, v24
	v_perm_b32 v21, v16, v15, v17
	v_lshrrev_b32_e32 v15, 1, v25
	v_and_b32_e32 v19, 0x4040404, v19
	v_and_b32_e32 v14, 0x7070707, v25
	v_ashrrev_i32_e32 v16, 4, v22
	v_ashrrev_i32_e32 v22, 4, v24
	v_perm_b32 v24, s13, v10, v18
	v_perm_b32 v18, s15, v11, v18
	v_or_b32_e32 v19, 0x3020100, v19
	v_and_b32_e32 v15, 0x4040404, v15
	v_perm_b32 v18, v18, v24, v19
	v_perm_b32 v19, s13, v10, v14
	;; [unrolled: 1-line block ×3, first 2 shown]
	v_and_b32_e32 v24, 0x7070707, v16
	v_lshrrev_b32_e32 v16, 1, v16
	v_or_b32_e32 v15, 0x3020100, v15
	v_perm_b32 v19, v14, v19, v15
	v_lshrrev_b32_e32 v15, 1, v22
	v_and_b32_e32 v16, 0x4040404, v16
	v_ashrrev_i32_e32 v17, 4, v23
	v_and_b32_e32 v14, 0x7070707, v22
	v_perm_b32 v22, s13, v10, v24
	v_perm_b32 v24, s15, v11, v24
	v_or_b32_e32 v16, 0x3020100, v16
	v_and_b32_e32 v15, 0x4040404, v15
	v_ashrrev_i32_e32 v23, 4, v25
	v_perm_b32 v22, v24, v22, v16
	v_and_b32_e32 v16, 0x7070707, v17
	v_lshrrev_b32_e32 v17, 1, v17
	v_perm_b32 v24, s13, v10, v14
	v_perm_b32 v14, s15, v11, v14
	v_or_b32_e32 v15, 0x3020100, v15
	v_perm_b32 v24, v14, v24, v15
	v_lshrrev_b32_e32 v15, 1, v23
	v_and_b32_e32 v17, 0x4040404, v17
	v_and_b32_e32 v14, 0x7070707, v23
	v_perm_b32 v23, s13, v10, v16
	v_perm_b32 v16, s15, v11, v16
	v_or_b32_e32 v17, 0x3020100, v17
	v_and_b32_e32 v15, 0x4040404, v15
	v_perm_b32 v23, v16, v23, v17
	v_perm_b32 v16, s13, v10, v14
	;; [unrolled: 1-line block ×3, first 2 shown]
	v_or_b32_e32 v15, 0x3020100, v15
	v_perm_b32 v25, v14, v16, v15
	global_load_dwordx2 v[14:15], v[12:13], off offset:4
	global_load_dwordx2 v[16:17], v[12:13], off offset:20
                                        ; kill: killed $vgpr12 killed $vgpr13
	s_nop 0
	global_load_dword v12, v[2:3], off
	s_waitcnt vmcnt(3)
	v_cvt_f32_f16_e32 v13, v27
	v_cvt_f32_f16_e32 v26, v26
	v_add_co_u32_e32 v2, vcc, 0x900, v2
	v_addc_co_u32_e32 v3, vcc, 0, v3, vcc
	v_cmp_le_u32_e32 vcc, s11, v7
	s_or_b64 s[0:1], vcc, s[0:1]
	s_waitcnt vmcnt(2)
	v_dot4_i32_i8 v20, v20, v14, 0
	v_dot4_i32_i8 v14, v18, v14, 0
	s_waitcnt vmcnt(1)
	v_dot4_i32_i8 v18, v22, v16, v20
	v_dot4_i32_i8 v14, v24, v16, v14
	;; [unrolled: 1-line block ×4, first 2 shown]
	s_waitcnt vmcnt(0)
	v_cvt_f32_f16_e32 v12, v12
	v_dot4_i32_i8 v15, v23, v17, v16
	v_dot4_i32_i8 v14, v25, v17, v14
	v_cvt_f32_i32_e32 v15, v15
	v_cvt_f32_i32_e32 v14, v14
	v_mul_f32_e32 v13, v13, v12
	v_mul_f32_e32 v12, v26, v12
	v_fmac_f32_e32 v5, v13, v15
	v_fmac_f32_e32 v6, v12, v14
	s_andn2_b64 exec, exec, s[0:1]
	s_cbranch_execnz .LBB230_9
; %bb.10:
	s_or_b64 exec, exec, s[0:1]
.LBB230_11:
	s_or_b64 exec, exec, s[6:7]
	v_cmp_eq_u32_e32 vcc, 0, v1
	s_waitcnt lgkmcnt(0)
	v_cmp_ne_u32_e64 s[0:1], 0, v1
	s_and_saveexec_b64 s[6:7], s[0:1]
; %bb.12:
	v_lshl_or_b32 v1, v1, 9, v4
	v_add_u32_e32 v1, 0xfffffe00, v1
	ds_write2st64_b32 v1, v5, v6 offset1:1
; %bb.13:
	s_or_b64 exec, exec, s[6:7]
	s_waitcnt lgkmcnt(0)
	s_barrier
	s_and_saveexec_b64 s[0:1], vcc
	s_cbranch_execz .LBB230_16
; %bb.14:
	v_mbcnt_lo_u32_b32 v1, -1, 0
	v_mbcnt_hi_u32_b32 v3, -1, v1
	v_and_b32_e32 v1, 64, v3
	v_add_u32_e32 v7, 64, v1
	v_xor_b32_e32 v1, 32, v3
	v_cmp_lt_i32_e32 vcc, v1, v7
	v_cndmask_b32_e32 v1, v3, v1, vcc
	v_lshlrev_b32_e32 v8, 2, v1
	v_xor_b32_e32 v1, 16, v3
	v_cmp_lt_i32_e32 vcc, v1, v7
	v_cndmask_b32_e32 v1, v3, v1, vcc
	v_lshlrev_b32_e32 v9, 2, v1
	ds_read2st64_b32 v[1:2], v4 offset1:1
	v_xor_b32_e32 v10, 8, v3
	v_cmp_lt_i32_e32 vcc, v10, v7
	v_cndmask_b32_e32 v10, v3, v10, vcc
	v_lshlrev_b32_e32 v10, 2, v10
	s_waitcnt lgkmcnt(0)
	v_add_f32_e32 v1, v5, v1
	v_add_f32_e32 v2, v6, v2
	ds_bpermute_b32 v5, v8, v1
	ds_bpermute_b32 v6, v8, v2
	v_xor_b32_e32 v11, 4, v3
	v_cmp_lt_i32_e32 vcc, v11, v7
	v_cndmask_b32_e32 v8, v3, v11, vcc
	s_waitcnt lgkmcnt(1)
	v_add_f32_e32 v1, v1, v5
	s_waitcnt lgkmcnt(0)
	v_add_f32_e32 v2, v2, v6
	ds_bpermute_b32 v5, v9, v1
	ds_bpermute_b32 v6, v9, v2
	v_lshlrev_b32_e32 v8, 2, v8
	v_xor_b32_e32 v9, 2, v3
	v_cmp_lt_i32_e32 vcc, v9, v7
	s_waitcnt lgkmcnt(1)
	v_add_f32_e32 v1, v1, v5
	s_waitcnt lgkmcnt(0)
	v_add_f32_e32 v2, v2, v6
	ds_bpermute_b32 v5, v10, v1
	ds_bpermute_b32 v6, v10, v2
	v_cndmask_b32_e32 v9, v3, v9, vcc
	s_load_dword s0, s[4:5], 0x58
	s_mov_b32 s3, 0
	s_waitcnt lgkmcnt(0)
	v_add_f32_e32 v1, v1, v5
	v_add_f32_e32 v2, v2, v6
	ds_bpermute_b32 v5, v8, v1
	ds_bpermute_b32 v6, v8, v2
	v_lshlrev_b32_e32 v8, 2, v9
	v_xor_b32_e32 v9, 1, v3
	v_cmp_lt_i32_e32 vcc, v9, v7
	s_waitcnt lgkmcnt(1)
	v_add_f32_e32 v1, v1, v5
	s_waitcnt lgkmcnt(0)
	v_add_f32_e32 v6, v2, v6
	ds_bpermute_b32 v5, v8, v1
	ds_bpermute_b32 v8, v8, v6
	v_cndmask_b32_e32 v2, v3, v9, vcc
	v_lshlrev_b32_e32 v7, 2, v2
	s_waitcnt lgkmcnt(1)
	v_add_f32_e32 v1, v1, v5
	s_waitcnt lgkmcnt(0)
	v_add_f32_e32 v3, v6, v8
	ds_bpermute_b32 v2, v7, v1
	ds_bpermute_b32 v5, v7, v3
	v_or_b32_e32 v6, s9, v0
	v_cmp_gt_u32_e32 vcc, s0, v6
	v_cmp_gt_u32_e64 s[0:1], 2, v0
	s_and_b64 s[0:1], s[0:1], vcc
	s_and_b64 exec, exec, s[0:1]
	s_cbranch_execz .LBB230_16
; %bb.15:
	s_load_dwordx2 s[0:1], s[4:5], 0x38
	s_mul_i32 s2, s2, s10
	s_add_i32 s2, s2, s9
	s_mul_i32 s4, s14, s8
	s_add_i32 s2, s2, s4
	s_lshl_b64 s[2:3], s[2:3], 2
	s_waitcnt lgkmcnt(0)
	s_add_u32 s0, s0, s2
	v_add_f32_e32 v3, v3, v5
	v_add_f32_e32 v1, v1, v2
	v_cmp_eq_u32_e32 vcc, 1, v0
	s_addc_u32 s1, s1, s3
	v_cndmask_b32_e32 v0, v1, v3, vcc
	global_store_dword v4, v0, s[0:1]
.LBB230_16:
	s_endpgm
	.section	.rodata,"a",@progbits
	.p2align	6, 0x0
	.amdhsa_kernel _ZL13mul_mat_vec_qIL9ggml_type20ELi1ELb0ELb1EEvPKvS2_PKi31ggml_cuda_mm_fusion_args_devicePfj15HIP_vector_typeIjLj3EEjjjS8_jjjS8_jjjj
		.amdhsa_group_segment_fixed_size 512
		.amdhsa_private_segment_fixed_size 0
		.amdhsa_kernarg_size 144
		.amdhsa_user_sgpr_count 6
		.amdhsa_user_sgpr_private_segment_buffer 1
		.amdhsa_user_sgpr_dispatch_ptr 0
		.amdhsa_user_sgpr_queue_ptr 0
		.amdhsa_user_sgpr_kernarg_segment_ptr 1
		.amdhsa_user_sgpr_dispatch_id 0
		.amdhsa_user_sgpr_flat_scratch_init 0
		.amdhsa_user_sgpr_private_segment_size 0
		.amdhsa_uses_dynamic_stack 0
		.amdhsa_system_sgpr_private_segment_wavefront_offset 0
		.amdhsa_system_sgpr_workgroup_id_x 1
		.amdhsa_system_sgpr_workgroup_id_y 1
		.amdhsa_system_sgpr_workgroup_id_z 1
		.amdhsa_system_sgpr_workgroup_info 0
		.amdhsa_system_vgpr_workitem_id 1
		.amdhsa_next_free_vgpr 28
		.amdhsa_next_free_sgpr 24
		.amdhsa_reserve_vcc 1
		.amdhsa_reserve_flat_scratch 0
		.amdhsa_float_round_mode_32 0
		.amdhsa_float_round_mode_16_64 0
		.amdhsa_float_denorm_mode_32 3
		.amdhsa_float_denorm_mode_16_64 3
		.amdhsa_dx10_clamp 1
		.amdhsa_ieee_mode 1
		.amdhsa_fp16_overflow 0
		.amdhsa_exception_fp_ieee_invalid_op 0
		.amdhsa_exception_fp_denorm_src 0
		.amdhsa_exception_fp_ieee_div_zero 0
		.amdhsa_exception_fp_ieee_overflow 0
		.amdhsa_exception_fp_ieee_underflow 0
		.amdhsa_exception_fp_ieee_inexact 0
		.amdhsa_exception_int_div_zero 0
	.end_amdhsa_kernel
	.section	.text._ZL13mul_mat_vec_qIL9ggml_type20ELi1ELb0ELb1EEvPKvS2_PKi31ggml_cuda_mm_fusion_args_devicePfj15HIP_vector_typeIjLj3EEjjjS8_jjjS8_jjjj,"axG",@progbits,_ZL13mul_mat_vec_qIL9ggml_type20ELi1ELb0ELb1EEvPKvS2_PKi31ggml_cuda_mm_fusion_args_devicePfj15HIP_vector_typeIjLj3EEjjjS8_jjjS8_jjjj,comdat
.Lfunc_end230:
	.size	_ZL13mul_mat_vec_qIL9ggml_type20ELi1ELb0ELb1EEvPKvS2_PKi31ggml_cuda_mm_fusion_args_devicePfj15HIP_vector_typeIjLj3EEjjjS8_jjjS8_jjjj, .Lfunc_end230-_ZL13mul_mat_vec_qIL9ggml_type20ELi1ELb0ELb1EEvPKvS2_PKi31ggml_cuda_mm_fusion_args_devicePfj15HIP_vector_typeIjLj3EEjjjS8_jjjS8_jjjj
                                        ; -- End function
	.set _ZL13mul_mat_vec_qIL9ggml_type20ELi1ELb0ELb1EEvPKvS2_PKi31ggml_cuda_mm_fusion_args_devicePfj15HIP_vector_typeIjLj3EEjjjS8_jjjS8_jjjj.num_vgpr, 28
	.set _ZL13mul_mat_vec_qIL9ggml_type20ELi1ELb0ELb1EEvPKvS2_PKi31ggml_cuda_mm_fusion_args_devicePfj15HIP_vector_typeIjLj3EEjjjS8_jjjS8_jjjj.num_agpr, 0
	.set _ZL13mul_mat_vec_qIL9ggml_type20ELi1ELb0ELb1EEvPKvS2_PKi31ggml_cuda_mm_fusion_args_devicePfj15HIP_vector_typeIjLj3EEjjjS8_jjjS8_jjjj.numbered_sgpr, 24
	.set _ZL13mul_mat_vec_qIL9ggml_type20ELi1ELb0ELb1EEvPKvS2_PKi31ggml_cuda_mm_fusion_args_devicePfj15HIP_vector_typeIjLj3EEjjjS8_jjjS8_jjjj.num_named_barrier, 0
	.set _ZL13mul_mat_vec_qIL9ggml_type20ELi1ELb0ELb1EEvPKvS2_PKi31ggml_cuda_mm_fusion_args_devicePfj15HIP_vector_typeIjLj3EEjjjS8_jjjS8_jjjj.private_seg_size, 0
	.set _ZL13mul_mat_vec_qIL9ggml_type20ELi1ELb0ELb1EEvPKvS2_PKi31ggml_cuda_mm_fusion_args_devicePfj15HIP_vector_typeIjLj3EEjjjS8_jjjS8_jjjj.uses_vcc, 1
	.set _ZL13mul_mat_vec_qIL9ggml_type20ELi1ELb0ELb1EEvPKvS2_PKi31ggml_cuda_mm_fusion_args_devicePfj15HIP_vector_typeIjLj3EEjjjS8_jjjS8_jjjj.uses_flat_scratch, 0
	.set _ZL13mul_mat_vec_qIL9ggml_type20ELi1ELb0ELb1EEvPKvS2_PKi31ggml_cuda_mm_fusion_args_devicePfj15HIP_vector_typeIjLj3EEjjjS8_jjjS8_jjjj.has_dyn_sized_stack, 0
	.set _ZL13mul_mat_vec_qIL9ggml_type20ELi1ELb0ELb1EEvPKvS2_PKi31ggml_cuda_mm_fusion_args_devicePfj15HIP_vector_typeIjLj3EEjjjS8_jjjS8_jjjj.has_recursion, 0
	.set _ZL13mul_mat_vec_qIL9ggml_type20ELi1ELb0ELb1EEvPKvS2_PKi31ggml_cuda_mm_fusion_args_devicePfj15HIP_vector_typeIjLj3EEjjjS8_jjjS8_jjjj.has_indirect_call, 0
	.section	.AMDGPU.csdata,"",@progbits
; Kernel info:
; codeLenInByte = 1600
; TotalNumSgprs: 28
; NumVgprs: 28
; ScratchSize: 0
; MemoryBound: 0
; FloatMode: 240
; IeeeMode: 1
; LDSByteSize: 512 bytes/workgroup (compile time only)
; SGPRBlocks: 3
; VGPRBlocks: 6
; NumSGPRsForWavesPerEU: 28
; NumVGPRsForWavesPerEU: 28
; Occupancy: 9
; WaveLimiterHint : 0
; COMPUTE_PGM_RSRC2:SCRATCH_EN: 0
; COMPUTE_PGM_RSRC2:USER_SGPR: 6
; COMPUTE_PGM_RSRC2:TRAP_HANDLER: 0
; COMPUTE_PGM_RSRC2:TGID_X_EN: 1
; COMPUTE_PGM_RSRC2:TGID_Y_EN: 1
; COMPUTE_PGM_RSRC2:TGID_Z_EN: 1
; COMPUTE_PGM_RSRC2:TIDIG_COMP_CNT: 1
	.section	.text._ZL13mul_mat_vec_qIL9ggml_type20ELi1ELb1ELb0EEvPKvS2_PKi31ggml_cuda_mm_fusion_args_devicePfj15HIP_vector_typeIjLj3EEjjjS8_jjjS8_jjjj,"axG",@progbits,_ZL13mul_mat_vec_qIL9ggml_type20ELi1ELb1ELb0EEvPKvS2_PKi31ggml_cuda_mm_fusion_args_devicePfj15HIP_vector_typeIjLj3EEjjjS8_jjjS8_jjjj,comdat
	.globl	_ZL13mul_mat_vec_qIL9ggml_type20ELi1ELb1ELb0EEvPKvS2_PKi31ggml_cuda_mm_fusion_args_devicePfj15HIP_vector_typeIjLj3EEjjjS8_jjjS8_jjjj ; -- Begin function _ZL13mul_mat_vec_qIL9ggml_type20ELi1ELb1ELb0EEvPKvS2_PKi31ggml_cuda_mm_fusion_args_devicePfj15HIP_vector_typeIjLj3EEjjjS8_jjjS8_jjjj
	.p2align	8
	.type	_ZL13mul_mat_vec_qIL9ggml_type20ELi1ELb1ELb0EEvPKvS2_PKi31ggml_cuda_mm_fusion_args_devicePfj15HIP_vector_typeIjLj3EEjjjS8_jjjS8_jjjj,@function
_ZL13mul_mat_vec_qIL9ggml_type20ELi1ELb1ELb0EEvPKvS2_PKi31ggml_cuda_mm_fusion_args_devicePfj15HIP_vector_typeIjLj3EEjjjS8_jjjS8_jjjj: ; @_ZL13mul_mat_vec_qIL9ggml_type20ELi1ELb1ELb0EEvPKvS2_PKi31ggml_cuda_mm_fusion_args_devicePfj15HIP_vector_typeIjLj3EEjjjS8_jjjS8_jjjj
; %bb.0:
	s_load_dwordx8 s[16:23], s[4:5], 0x0
	s_load_dwordx4 s[36:39], s[4:5], 0x20
	s_load_dwordx4 s[12:15], s[4:5], 0x40
	;; [unrolled: 1-line block ×3, first 2 shown]
	s_mov_b32 s34, s7
	s_waitcnt lgkmcnt(0)
	s_cmp_lg_u64 s[20:21], 0
	s_cselect_b64 s[0:1], -1, 0
	s_cmp_eq_u64 s[20:21], 0
	s_mov_b64 s[2:3], 0
	s_cbranch_scc1 .LBB231_5
; %bb.1:
	s_mov_b32 s35, 0
	s_lshl_b64 s[10:11], s[34:35], 2
	s_add_u32 s10, s20, s10
	s_addc_u32 s11, s21, s11
	s_load_dword s9, s[10:11], 0x0
	s_load_dword s33, s[4:5], 0x50
	;; [unrolled: 1-line block ×3, first 2 shown]
	s_andn2_b64 vcc, exec, s[2:3]
	s_cbranch_vccnz .LBB231_3
.LBB231_2:
	s_load_dwordx2 s[2:3], s[4:5], 0x5c
	s_waitcnt lgkmcnt(0)
	s_mul_hi_u32 s2, s2, s34
	s_add_i32 s2, s34, s2
	s_lshr_b32 s9, s2, s3
.LBB231_3:
	s_andn2_b64 vcc, exec, s[0:1]
	s_cbranch_vccnz .LBB231_6
; %bb.4:
	s_mul_hi_u32 s0, s13, s34
	s_add_i32 s0, s34, s0
	s_lshr_b32 s0, s0, s14
	s_mul_i32 s0, s0, s15
	s_sub_i32 s40, s34, s0
	s_waitcnt lgkmcnt(0)
	s_mov_b32 s2, s9
	s_branch .LBB231_7
.LBB231_5:
                                        ; implicit-def: $sgpr9
	s_load_dword s33, s[4:5], 0x50
	s_load_dword s35, s[4:5], 0x78
	s_branch .LBB231_2
.LBB231_6:
	s_mov_b32 s2, s34
	s_mov_b32 s40, s34
.LBB231_7:
	s_load_dwordx4 s[28:31], s[4:5], 0x80
	s_cmp_lg_u64 s[22:23], 0
	v_or_b32_e32 v2, v0, v1
	s_cselect_b64 s[0:1], -1, 0
	v_cmp_eq_u32_e32 vcc, 0, v2
	s_mov_b32 s15, 0
	s_and_b64 s[20:21], s[0:1], vcc
	v_mov_b32_e32 v11, 0
	s_mul_i32 s10, s2, s26
	v_lshlrev_b32_e32 v10, 2, v0
	v_mov_b32_e32 v12, 0
	s_and_saveexec_b64 s[2:3], s[20:21]
	s_cbranch_execz .LBB231_9
; %bb.8:
	s_waitcnt lgkmcnt(0)
	s_mul_i32 s14, s30, s8
	s_lshl_b64 s[20:21], s[14:15], 2
	s_add_u32 s7, s22, s20
	s_mov_b32 s11, s15
	s_addc_u32 s13, s23, s21
	s_lshl_b64 s[14:15], s[10:11], 2
	s_add_u32 s11, s7, s14
	s_addc_u32 s13, s13, s15
	s_ashr_i32 s7, s6, 31
	s_lshl_b64 s[14:15], s[6:7], 2
	s_add_u32 s14, s11, s14
	s_addc_u32 s15, s13, s15
	global_load_dword v12, v10, s[14:15]
.LBB231_9:
	s_or_b64 exec, exec, s[2:3]
	s_cmp_lg_u64 s[36:37], 0
	s_cselect_b64 s[14:15], -1, 0
	s_cmp_lg_u64 s[38:39], 0
	s_cselect_b64 s[2:3], -1, 0
	s_and_b64 s[20:21], s[2:3], s[14:15]
	s_and_b64 s[22:23], s[20:21], vcc
	s_and_saveexec_b64 s[20:21], s[22:23]
	s_cbranch_execz .LBB231_11
; %bb.10:
	s_waitcnt lgkmcnt(0)
	s_mul_i32 s22, s30, s8
	s_mov_b32 s23, 0
	s_lshl_b64 s[42:43], s[22:23], 2
	s_add_u32 s7, s38, s42
	s_mov_b32 s11, s23
	s_addc_u32 s13, s39, s43
	s_lshl_b64 s[10:11], s[10:11], 2
	s_add_u32 s22, s7, s10
	s_addc_u32 s13, s13, s11
	s_ashr_i32 s7, s6, 31
	s_lshl_b64 s[10:11], s[6:7], 2
	s_add_u32 s10, s22, s10
	s_addc_u32 s11, s13, s11
	global_load_dword v11, v10, s[10:11]
.LBB231_11:
	s_or_b64 exec, exec, s[20:21]
	v_lshlrev_b32_e32 v2, 6, v1
	v_add_u16_e32 v3, v2, v0
	s_lshr_b32 s7, s12, 5
	v_lshrrev_b16_e32 v15, 1, v3
	v_cndmask_b32_e64 v3, 0, 1, s[14:15]
	v_cmp_gt_u32_e32 vcc, s7, v15
	v_mov_b32_e32 v14, 0
	v_cmp_ne_u32_e64 s[12:13], 1, v3
	v_mov_b32_e32 v13, 0
	s_and_saveexec_b64 s[20:21], vcc
	s_cbranch_execz .LBB231_17
; %bb.12:
	s_mul_hi_u32 s22, s27, s8
	s_add_i32 s22, s8, s22
	s_waitcnt lgkmcnt(0)
	s_lshr_b32 s22, s22, s35
	s_mul_i32 s33, s33, s6
	s_mul_i32 s22, s22, s28
	;; [unrolled: 1-line block ×4, first 2 shown]
	s_add_i32 s22, s22, s33
	s_add_i32 s9, s9, s22
	s_mul_hi_u32 s23, s10, 36
	s_mul_i32 s10, s10, 36
	s_mul_i32 s11, s40, s25
	s_add_u32 s10, s18, s10
	s_mul_hi_u32 s22, s11, 36
	s_mul_i32 s11, s11, 36
	s_addc_u32 s18, s19, s23
	v_add_u32_e32 v2, v2, v0
	s_add_u32 s10, s10, s11
	v_and_b32_e32 v3, 1, v0
	v_lshrrev_b32_e32 v2, 1, v2
	s_addc_u32 s11, s18, s22
	v_lshlrev_b32_e32 v16, 3, v3
	v_mad_u64_u32 v[2:3], s[10:11], v2, 36, s[10:11]
	v_and_b32_e32 v4, 4, v10
	v_mov_b32_e32 v14, 0
	s_mov_b64 s[18:19], 0
	v_lshlrev_b32_e32 v17, 1, v4
	s_mov_b32 s22, 0xf6eaddcf
	s_mov_b32 s23, 0x71594535
	v_mov_b32_e32 v18, 0xbfad9881
	v_mov_b32_e32 v19, 0x26190d01
	;; [unrolled: 1-line block ×3, first 2 shown]
	s_branch .LBB231_14
.LBB231_13:                             ;   in Loop: Header=BB231_14 Depth=1
	s_waitcnt vmcnt(3)
	v_ashrrev_i32_e32 v22, 4, v8
	v_and_b32_e32 v23, 0x7070707, v8
	v_lshrrev_b32_e32 v8, 1, v8
	v_and_b32_e32 v25, 0x7070707, v22
	v_and_b32_e32 v8, 0x4040404, v8
	v_lshrrev_b32_e32 v22, 1, v22
	v_perm_b32 v24, s22, v18, v23
	v_perm_b32 v23, s23, v19, v23
	v_or_b32_e32 v8, 0x3020100, v8
	v_and_b32_e32 v22, 0x4040404, v22
	v_perm_b32 v26, s22, v18, v25
	v_perm_b32 v25, s23, v19, v25
	;; [unrolled: 1-line block ×3, first 2 shown]
	v_or_b32_e32 v22, 0x3020100, v22
	v_perm_b32 v22, v25, v26, v22
	s_waitcnt vmcnt(2)
	v_dot4_i32_i8 v4, v8, v4, 0
	s_waitcnt vmcnt(1)
	v_dot4_i32_i8 v4, v22, v6, v4
	v_ashrrev_i32_e32 v6, 4, v9
	v_and_b32_e32 v8, 0x7070707, v9
	v_lshrrev_b32_e32 v9, 1, v9
	v_and_b32_e32 v23, 0x7070707, v6
	v_and_b32_e32 v9, 0x4040404, v9
	v_lshrrev_b32_e32 v6, 1, v6
	v_perm_b32 v22, s22, v18, v8
	v_perm_b32 v8, s23, v19, v8
	v_or_b32_e32 v9, 0x3020100, v9
	v_and_b32_e32 v6, 0x4040404, v6
	v_perm_b32 v24, s22, v18, v23
	v_perm_b32 v23, s23, v19, v23
	;; [unrolled: 1-line block ×3, first 2 shown]
	v_or_b32_e32 v6, 0x3020100, v6
	v_perm_b32 v6, v23, v24, v6
	v_dot4_i32_i8 v4, v8, v5, v4
	v_dot4_i32_i8 v4, v6, v7, v4
	s_waitcnt vmcnt(0)
	v_cvt_f32_f16_e32 v5, v20
	v_cvt_f32_i32_e32 v4, v4
	v_add_u32_e32 v15, 64, v15
	v_add_co_u32_e32 v2, vcc, 0x900, v2
	v_mul_f32_e32 v5, v5, v21
	v_cmp_le_u32_e64 s[10:11], s7, v15
	v_fmac_f32_e32 v14, v5, v4
	s_or_b64 s[18:19], s[10:11], s[18:19]
	v_addc_co_u32_e32 v3, vcc, 0, v3, vcc
	s_andn2_b64 exec, exec, s[18:19]
	s_cbranch_execz .LBB231_16
.LBB231_14:                             ; =>This Inner Loop Header: Depth=1
	v_add_u32_e32 v22, s9, v15
	v_mad_i64_i32 v[23:24], s[10:11], v22, 18, s[16:17]
	v_add_co_u32_e32 v25, vcc, v2, v16
	v_addc_co_u32_e32 v26, vcc, 0, v3, vcc
	v_add_co_u32_e32 v27, vcc, v23, v17
	v_addc_co_u32_e32 v28, vcc, 0, v24, vcc
	global_load_dword v21, v[2:3], off
	global_load_dwordx2 v[8:9], v[27:28], off offset:2
	global_load_dwordx2 v[4:5], v[25:26], off offset:4
	;; [unrolled: 1-line block ×3, first 2 shown]
	global_load_ushort v20, v[23:24], off
	s_and_b64 vcc, exec, s[12:13]
	s_waitcnt vmcnt(4)
	v_cvt_f32_f16_e32 v21, v21
	s_cbranch_vccnz .LBB231_13
; %bb.15:                               ;   in Loop: Header=BB231_14 Depth=1
	v_mad_i64_i32 v[22:23], s[10:11], v22, 18, s[36:37]
	v_add_co_u32_e32 v24, vcc, v22, v17
	v_addc_co_u32_e32 v25, vcc, 0, v23, vcc
	global_load_dwordx2 v[24:25], v[24:25], off offset:2
	s_nop 0
	global_load_ushort v22, v[22:23], off
	s_waitcnt vmcnt(1)
	v_ashrrev_i32_e32 v26, 4, v24
	v_and_b32_e32 v27, 0x7070707, v24
	v_lshrrev_b32_e32 v24, 1, v24
	v_and_b32_e32 v29, 0x7070707, v26
	v_and_b32_e32 v24, 0x4040404, v24
	v_lshrrev_b32_e32 v26, 1, v26
	v_perm_b32 v28, s22, v18, v27
	v_perm_b32 v27, s23, v19, v27
	v_or_b32_e32 v24, 0x3020100, v24
	v_and_b32_e32 v26, 0x4040404, v26
	v_perm_b32 v30, s22, v18, v29
	v_perm_b32 v29, s23, v19, v29
	;; [unrolled: 1-line block ×3, first 2 shown]
	v_or_b32_e32 v26, 0x3020100, v26
	v_perm_b32 v26, v29, v30, v26
	v_dot4_i32_i8 v24, v24, v4, 0
	v_dot4_i32_i8 v24, v26, v6, v24
	v_ashrrev_i32_e32 v26, 4, v25
	v_and_b32_e32 v27, 0x7070707, v25
	v_lshrrev_b32_e32 v25, 1, v25
	v_and_b32_e32 v29, 0x7070707, v26
	v_and_b32_e32 v25, 0x4040404, v25
	v_lshrrev_b32_e32 v26, 1, v26
	v_perm_b32 v28, s22, v18, v27
	v_perm_b32 v27, s23, v19, v27
	v_or_b32_e32 v25, 0x3020100, v25
	v_and_b32_e32 v26, 0x4040404, v26
	v_perm_b32 v30, s22, v18, v29
	v_perm_b32 v29, s23, v19, v29
	;; [unrolled: 1-line block ×3, first 2 shown]
	v_or_b32_e32 v26, 0x3020100, v26
	v_perm_b32 v26, v29, v30, v26
	v_dot4_i32_i8 v24, v25, v5, v24
	v_dot4_i32_i8 v24, v26, v7, v24
	s_waitcnt vmcnt(0)
	v_cvt_f32_f16_e32 v22, v22
	v_cvt_f32_i32_e32 v23, v24
	v_mul_f32_e32 v22, v21, v22
	v_fmac_f32_e32 v13, v22, v23
	s_branch .LBB231_13
.LBB231_16:
	s_or_b64 exec, exec, s[18:19]
.LBB231_17:
	s_or_b64 exec, exec, s[20:21]
	s_load_dword s7, s[4:5], 0x30
	v_cmp_eq_u32_e64 s[10:11], 0, v1
	v_cmp_ne_u32_e32 vcc, 0, v1
	s_and_saveexec_b64 s[16:17], vcc
	s_cbranch_execz .LBB231_21
; %bb.18:
	s_and_b64 vcc, exec, s[14:15]
	s_cbranch_vccz .LBB231_20
; %bb.19:
	v_lshl_add_u32 v2, v1, 8, v10
	ds_write_b32 v2, v13
.LBB231_20:
	v_lshlrev_b32_e32 v1, 8, v1
	s_waitcnt lgkmcnt(0)
	s_movk_i32 s9, 0xff00
	v_add3_u32 v1, v1, v10, s9
	ds_write_b32 v1, v14
.LBB231_21:
	s_or_b64 exec, exec, s[16:17]
	s_waitcnt vmcnt(0) lgkmcnt(0)
	s_barrier
	s_and_saveexec_b64 s[14:15], s[10:11]
	s_cbranch_execz .LBB231_50
; %bb.22:
	ds_read_b32 v2, v10
	s_and_b64 vcc, exec, s[12:13]
	s_cbranch_vccnz .LBB231_24
; %bb.23:
	ds_read_b32 v1, v10 offset:256
	s_waitcnt lgkmcnt(0)
	v_add_f32_e32 v13, v13, v1
.LBB231_24:
	v_mbcnt_lo_u32_b32 v1, -1, 0
	v_mbcnt_hi_u32_b32 v3, -1, v1
	v_and_b32_e32 v1, 64, v3
	v_add_u32_e32 v4, 64, v1
	v_xor_b32_e32 v1, 32, v3
	v_cmp_lt_i32_e32 vcc, v1, v4
	v_cndmask_b32_e32 v1, v3, v1, vcc
	v_lshlrev_b32_e32 v1, 2, v1
	s_waitcnt lgkmcnt(0)
	v_add_f32_e32 v5, v14, v2
	ds_bpermute_b32 v6, v1, v5
	v_xor_b32_e32 v2, 16, v3
	v_cmp_lt_i32_e32 vcc, v2, v4
	v_cndmask_b32_e32 v2, v3, v2, vcc
	v_lshlrev_b32_e32 v2, 2, v2
	s_waitcnt lgkmcnt(0)
	v_add_f32_e32 v6, v5, v6
	ds_bpermute_b32 v7, v2, v6
	;; [unrolled: 7-line block ×6, first 2 shown]
	s_and_b64 vcc, exec, s[12:13]
	s_cbranch_vccnz .LBB231_26
; %bb.25:
	ds_bpermute_b32 v1, v1, v13
	s_waitcnt lgkmcnt(0)
	v_add_f32_e32 v1, v13, v1
	ds_bpermute_b32 v2, v2, v1
	s_waitcnt lgkmcnt(0)
	v_add_f32_e32 v1, v1, v2
	;; [unrolled: 3-line block ×6, first 2 shown]
.LBB231_26:
	v_cmp_eq_u32_e32 vcc, 0, v0
	s_and_b64 exec, exec, vcc
	s_cbranch_execz .LBB231_50
; %bb.27:
	s_waitcnt lgkmcnt(0)
	v_add_f32_e32 v0, v3, v4
	v_add_f32_e32 v1, v12, v0
	s_and_b64 vcc, exec, s[12:13]
	v_cndmask_b32_e64 v0, v0, v1, s[0:1]
	s_cbranch_vccnz .LBB231_49
; %bb.28:
	v_add_f32_e32 v1, v11, v13
	v_cndmask_b32_e64 v1, v13, v1, s[2:3]
	s_cmp_lt_i32 s7, 2
	s_mov_b64 s[0:1], 0
	s_cbranch_scc1 .LBB231_32
; %bb.29:
	s_cmp_gt_i32 s7, 2
	s_cbranch_scc0 .LBB231_33
; %bb.30:
	s_cmp_eq_u32 s7, 3
	s_cbranch_scc0 .LBB231_34
; %bb.31:
	v_max_f32_e32 v2, v1, v1
	v_min_f32_e32 v2, 0x40e00000, v2
	v_mul_f32_e32 v3, 0xbfd9db23, v2
	s_mov_b32 s2, 0x3fb8aa3b
	v_mul_f32_e32 v4, 0x3fb8aa3b, v3
	v_fma_f32 v5, v3, s2, -v4
	v_rndne_f32_e32 v6, v4
	v_fmac_f32_e32 v5, 0x32a5705f, v3
	v_sub_f32_e32 v4, v4, v6
	v_add_f32_e32 v4, v4, v5
	v_exp_f32_e32 v4, v4
	v_cvt_i32_f32_e32 v5, v6
	s_mov_b32 s2, 0xc2ce8ed0
	v_cmp_ngt_f32_e32 vcc, s2, v3
	s_mov_b32 s2, 0x42b17218
	v_ldexp_f32 v4, v4, v5
	v_cndmask_b32_e32 v4, 0, v4, vcc
	v_mov_b32_e32 v5, 0x7f800000
	v_cmp_nlt_f32_e32 vcc, s2, v3
	v_cndmask_b32_e32 v3, v5, v4, vcc
	v_add_f32_e32 v3, 1.0, v3
	v_div_scale_f32 v4, s[2:3], v3, v3, v2
	v_div_scale_f32 v5, vcc, v2, v3, v2
	s_mov_b64 s[2:3], 0
	v_rcp_f32_e32 v6, v4
	v_fma_f32 v7, -v4, v6, 1.0
	v_fmac_f32_e32 v6, v7, v6
	v_mul_f32_e32 v7, v5, v6
	v_fma_f32 v8, -v4, v7, v5
	v_fmac_f32_e32 v7, v8, v6
	v_fma_f32 v4, -v4, v7, v5
	v_div_fmas_f32 v4, v4, v6, v7
	v_max_f32_e32 v5, v0, v0
	v_min_f32_e32 v5, 0x40e00000, v5
	v_max_f32_e32 v5, 0xc0e00000, v5
	v_add_f32_e32 v5, 1.0, v5
	v_div_fixup_f32 v2, v4, v3, v2
	v_mul_f32_e32 v2, v5, v2
	s_branch .LBB231_35
.LBB231_32:
                                        ; implicit-def: $vgpr2
	s_mov_b64 s[2:3], 0
	s_cbranch_execnz .LBB231_39
	s_branch .LBB231_40
.LBB231_33:
	s_mov_b64 s[10:11], -1
	s_mov_b64 s[2:3], 0
                                        ; implicit-def: $vgpr2
	s_branch .LBB231_36
.LBB231_34:
	s_mov_b64 s[2:3], -1
                                        ; implicit-def: $vgpr2
.LBB231_35:
	s_mov_b64 s[10:11], 0
.LBB231_36:
	s_and_b64 vcc, exec, s[10:11]
	s_cbranch_vccz .LBB231_38
; %bb.37:
	v_mul_f32_e32 v2, 0xbfb8aa3b, v1
	s_mov_b32 s9, 0xbfb8aa3b
	v_rndne_f32_e32 v3, v2
	v_sub_f32_e32 v4, v2, v3
	v_fma_f32 v2, v1, s9, -v2
	v_fmac_f32_e32 v2, 0xb2a5705f, v1
	v_add_f32_e32 v2, v4, v2
	v_exp_f32_e32 v2, v2
	v_cvt_i32_f32_e32 v3, v3
	s_mov_b32 s9, 0x42ce8ed0
	v_cmp_nlt_f32_e32 vcc, s9, v1
	s_mov_b32 s9, 0xc2b17218
	v_ldexp_f32 v2, v2, v3
	v_cndmask_b32_e32 v2, 0, v2, vcc
	v_mov_b32_e32 v3, 0x7f800000
	v_cmp_ngt_f32_e32 vcc, s9, v1
	v_cndmask_b32_e32 v2, v3, v2, vcc
	v_add_f32_e32 v2, 1.0, v2
	v_div_scale_f32 v3, s[10:11], v2, v2, v1
	v_div_scale_f32 v4, vcc, v1, v2, v1
	v_rcp_f32_e32 v5, v3
	v_fma_f32 v6, -v3, v5, 1.0
	v_fmac_f32_e32 v5, v6, v5
	v_mul_f32_e32 v6, v4, v5
	v_fma_f32 v7, -v3, v6, v4
	v_fmac_f32_e32 v6, v7, v5
	v_fma_f32 v3, -v3, v6, v4
	v_div_fmas_f32 v3, v3, v5, v6
	v_div_fixup_f32 v2, v3, v2, v1
	v_mul_f32_e32 v2, v0, v2
.LBB231_38:
	s_branch .LBB231_40
.LBB231_39:
	s_cmp_lg_u32 s7, 1
	s_mov_b64 s[0:1], -1
	s_cselect_b64 s[2:3], -1, 0
.LBB231_40:
	s_andn2_b64 vcc, exec, s[2:3]
	s_cbranch_vccz .LBB231_42
; %bb.41:
	s_andn2_b64 vcc, exec, s[0:1]
	s_cbranch_vccz .LBB231_43
	s_branch .LBB231_48
.LBB231_42:
	v_mul_f32_e32 v2, v1, v0
	s_cbranch_execnz .LBB231_48
.LBB231_43:
	v_mul_f32_e32 v3, 0x3d372713, v1
	v_mul_f32_e32 v2, 0x3f4c422a, v1
	v_fma_f32 v3, v1, v3, 1.0
	v_mul_f32_e32 v2, v2, v3
	s_mov_b32 s0, 0x3f200000
	v_cmp_nlt_f32_e64 s[0:1], |v2|, s0
                                        ; implicit-def: $vgpr3
	s_and_saveexec_b64 s[2:3], s[0:1]
	s_xor_b64 s[0:1], exec, s[2:3]
	s_cbranch_execz .LBB231_45
; %bb.44:
	v_add_f32_e64 v3, |v2|, |v2|
	v_mul_f32_e32 v4, 0x3fb8aa3b, v3
	s_mov_b32 s2, 0x3fb8aa3b
	v_rndne_f32_e32 v5, v4
	v_sub_f32_e32 v6, v4, v5
	v_fma_f32 v4, v3, s2, -v4
	v_fmac_f32_e32 v4, 0x32a5705f, v3
	v_add_f32_e32 v4, v6, v4
	v_exp_f32_e32 v4, v4
	v_cvt_i32_f32_e32 v5, v5
	s_mov_b32 s2, 0xc2ce8ed0
	v_cmp_ngt_f32_e32 vcc, s2, v3
	s_mov_b32 s2, 0x42b17218
	v_ldexp_f32 v4, v4, v5
	v_cndmask_b32_e32 v4, 0, v4, vcc
	v_mov_b32_e32 v5, 0x7f800000
	v_cmp_nlt_f32_e32 vcc, s2, v3
	v_cndmask_b32_e32 v3, v5, v4, vcc
	v_add_f32_e32 v3, 1.0, v3
	v_rcp_f32_e32 v3, v3
	v_fma_f32 v3, v3, -2.0, 1.0
.LBB231_45:
	s_andn2_saveexec_b64 s[0:1], s[0:1]
	s_cbranch_execz .LBB231_47
; %bb.46:
	v_mul_f32_e32 v3, v2, v2
	v_mov_b32_e32 v4, 0x3ca908c9
	v_fmac_f32_e32 v4, 0xbbbac73d, v3
	v_mov_b32_e32 v5, 0xbd5c1c4e
	v_fmac_f32_e32 v5, v3, v4
	;; [unrolled: 2-line block ×4, first 2 shown]
	v_mul_f32_e64 v4, |v2|, v5
	v_fma_f32 v3, v3, v4, |v2|
.LBB231_47:
	s_or_b64 exec, exec, s[0:1]
	s_brev_b32 s0, -2
	v_bfi_b32 v2, s0, v3, v2
	v_mul_f32_e32 v1, 0.5, v1
	v_add_f32_e32 v2, 1.0, v2
	v_mul_f32_e32 v1, v1, v2
	v_mul_f32_e32 v2, v0, v1
.LBB231_48:
	v_mov_b32_e32 v0, v2
.LBB231_49:
	s_load_dwordx2 s[0:1], s[4:5], 0x38
	s_mul_i32 s3, s26, s34
	s_mul_i32 s2, s30, s8
	s_add_i32 s3, s3, s6
	s_add_i32 s2, s3, s2
	s_mov_b32 s3, 0
	s_lshl_b64 s[2:3], s[2:3], 2
	s_waitcnt lgkmcnt(0)
	s_add_u32 s0, s0, s2
	s_addc_u32 s1, s1, s3
	global_store_dword v10, v0, s[0:1]
.LBB231_50:
	s_endpgm
	.section	.rodata,"a",@progbits
	.p2align	6, 0x0
	.amdhsa_kernel _ZL13mul_mat_vec_qIL9ggml_type20ELi1ELb1ELb0EEvPKvS2_PKi31ggml_cuda_mm_fusion_args_devicePfj15HIP_vector_typeIjLj3EEjjjS8_jjjS8_jjjj
		.amdhsa_group_segment_fixed_size 512
		.amdhsa_private_segment_fixed_size 0
		.amdhsa_kernarg_size 144
		.amdhsa_user_sgpr_count 6
		.amdhsa_user_sgpr_private_segment_buffer 1
		.amdhsa_user_sgpr_dispatch_ptr 0
		.amdhsa_user_sgpr_queue_ptr 0
		.amdhsa_user_sgpr_kernarg_segment_ptr 1
		.amdhsa_user_sgpr_dispatch_id 0
		.amdhsa_user_sgpr_flat_scratch_init 0
		.amdhsa_user_sgpr_private_segment_size 0
		.amdhsa_uses_dynamic_stack 0
		.amdhsa_system_sgpr_private_segment_wavefront_offset 0
		.amdhsa_system_sgpr_workgroup_id_x 1
		.amdhsa_system_sgpr_workgroup_id_y 1
		.amdhsa_system_sgpr_workgroup_id_z 1
		.amdhsa_system_sgpr_workgroup_info 0
		.amdhsa_system_vgpr_workitem_id 1
		.amdhsa_next_free_vgpr 31
		.amdhsa_next_free_sgpr 44
		.amdhsa_reserve_vcc 1
		.amdhsa_reserve_flat_scratch 0
		.amdhsa_float_round_mode_32 0
		.amdhsa_float_round_mode_16_64 0
		.amdhsa_float_denorm_mode_32 3
		.amdhsa_float_denorm_mode_16_64 3
		.amdhsa_dx10_clamp 1
		.amdhsa_ieee_mode 1
		.amdhsa_fp16_overflow 0
		.amdhsa_exception_fp_ieee_invalid_op 0
		.amdhsa_exception_fp_denorm_src 0
		.amdhsa_exception_fp_ieee_div_zero 0
		.amdhsa_exception_fp_ieee_overflow 0
		.amdhsa_exception_fp_ieee_underflow 0
		.amdhsa_exception_fp_ieee_inexact 0
		.amdhsa_exception_int_div_zero 0
	.end_amdhsa_kernel
	.section	.text._ZL13mul_mat_vec_qIL9ggml_type20ELi1ELb1ELb0EEvPKvS2_PKi31ggml_cuda_mm_fusion_args_devicePfj15HIP_vector_typeIjLj3EEjjjS8_jjjS8_jjjj,"axG",@progbits,_ZL13mul_mat_vec_qIL9ggml_type20ELi1ELb1ELb0EEvPKvS2_PKi31ggml_cuda_mm_fusion_args_devicePfj15HIP_vector_typeIjLj3EEjjjS8_jjjS8_jjjj,comdat
.Lfunc_end231:
	.size	_ZL13mul_mat_vec_qIL9ggml_type20ELi1ELb1ELb0EEvPKvS2_PKi31ggml_cuda_mm_fusion_args_devicePfj15HIP_vector_typeIjLj3EEjjjS8_jjjS8_jjjj, .Lfunc_end231-_ZL13mul_mat_vec_qIL9ggml_type20ELi1ELb1ELb0EEvPKvS2_PKi31ggml_cuda_mm_fusion_args_devicePfj15HIP_vector_typeIjLj3EEjjjS8_jjjS8_jjjj
                                        ; -- End function
	.set _ZL13mul_mat_vec_qIL9ggml_type20ELi1ELb1ELb0EEvPKvS2_PKi31ggml_cuda_mm_fusion_args_devicePfj15HIP_vector_typeIjLj3EEjjjS8_jjjS8_jjjj.num_vgpr, 31
	.set _ZL13mul_mat_vec_qIL9ggml_type20ELi1ELb1ELb0EEvPKvS2_PKi31ggml_cuda_mm_fusion_args_devicePfj15HIP_vector_typeIjLj3EEjjjS8_jjjS8_jjjj.num_agpr, 0
	.set _ZL13mul_mat_vec_qIL9ggml_type20ELi1ELb1ELb0EEvPKvS2_PKi31ggml_cuda_mm_fusion_args_devicePfj15HIP_vector_typeIjLj3EEjjjS8_jjjS8_jjjj.numbered_sgpr, 44
	.set _ZL13mul_mat_vec_qIL9ggml_type20ELi1ELb1ELb0EEvPKvS2_PKi31ggml_cuda_mm_fusion_args_devicePfj15HIP_vector_typeIjLj3EEjjjS8_jjjS8_jjjj.num_named_barrier, 0
	.set _ZL13mul_mat_vec_qIL9ggml_type20ELi1ELb1ELb0EEvPKvS2_PKi31ggml_cuda_mm_fusion_args_devicePfj15HIP_vector_typeIjLj3EEjjjS8_jjjS8_jjjj.private_seg_size, 0
	.set _ZL13mul_mat_vec_qIL9ggml_type20ELi1ELb1ELb0EEvPKvS2_PKi31ggml_cuda_mm_fusion_args_devicePfj15HIP_vector_typeIjLj3EEjjjS8_jjjS8_jjjj.uses_vcc, 1
	.set _ZL13mul_mat_vec_qIL9ggml_type20ELi1ELb1ELb0EEvPKvS2_PKi31ggml_cuda_mm_fusion_args_devicePfj15HIP_vector_typeIjLj3EEjjjS8_jjjS8_jjjj.uses_flat_scratch, 0
	.set _ZL13mul_mat_vec_qIL9ggml_type20ELi1ELb1ELb0EEvPKvS2_PKi31ggml_cuda_mm_fusion_args_devicePfj15HIP_vector_typeIjLj3EEjjjS8_jjjS8_jjjj.has_dyn_sized_stack, 0
	.set _ZL13mul_mat_vec_qIL9ggml_type20ELi1ELb1ELb0EEvPKvS2_PKi31ggml_cuda_mm_fusion_args_devicePfj15HIP_vector_typeIjLj3EEjjjS8_jjjS8_jjjj.has_recursion, 0
	.set _ZL13mul_mat_vec_qIL9ggml_type20ELi1ELb1ELb0EEvPKvS2_PKi31ggml_cuda_mm_fusion_args_devicePfj15HIP_vector_typeIjLj3EEjjjS8_jjjS8_jjjj.has_indirect_call, 0
	.section	.AMDGPU.csdata,"",@progbits
; Kernel info:
; codeLenInByte = 2728
; TotalNumSgprs: 48
; NumVgprs: 31
; ScratchSize: 0
; MemoryBound: 0
; FloatMode: 240
; IeeeMode: 1
; LDSByteSize: 512 bytes/workgroup (compile time only)
; SGPRBlocks: 5
; VGPRBlocks: 7
; NumSGPRsForWavesPerEU: 48
; NumVGPRsForWavesPerEU: 31
; Occupancy: 8
; WaveLimiterHint : 0
; COMPUTE_PGM_RSRC2:SCRATCH_EN: 0
; COMPUTE_PGM_RSRC2:USER_SGPR: 6
; COMPUTE_PGM_RSRC2:TRAP_HANDLER: 0
; COMPUTE_PGM_RSRC2:TGID_X_EN: 1
; COMPUTE_PGM_RSRC2:TGID_Y_EN: 1
; COMPUTE_PGM_RSRC2:TGID_Z_EN: 1
; COMPUTE_PGM_RSRC2:TIDIG_COMP_CNT: 1
	.section	.text._ZL13mul_mat_vec_qIL9ggml_type20ELi1ELb0ELb0EEvPKvS2_PKi31ggml_cuda_mm_fusion_args_devicePfj15HIP_vector_typeIjLj3EEjjjS8_jjjS8_jjjj,"axG",@progbits,_ZL13mul_mat_vec_qIL9ggml_type20ELi1ELb0ELb0EEvPKvS2_PKi31ggml_cuda_mm_fusion_args_devicePfj15HIP_vector_typeIjLj3EEjjjS8_jjjS8_jjjj,comdat
	.globl	_ZL13mul_mat_vec_qIL9ggml_type20ELi1ELb0ELb0EEvPKvS2_PKi31ggml_cuda_mm_fusion_args_devicePfj15HIP_vector_typeIjLj3EEjjjS8_jjjS8_jjjj ; -- Begin function _ZL13mul_mat_vec_qIL9ggml_type20ELi1ELb0ELb0EEvPKvS2_PKi31ggml_cuda_mm_fusion_args_devicePfj15HIP_vector_typeIjLj3EEjjjS8_jjjS8_jjjj
	.p2align	8
	.type	_ZL13mul_mat_vec_qIL9ggml_type20ELi1ELb0ELb0EEvPKvS2_PKi31ggml_cuda_mm_fusion_args_devicePfj15HIP_vector_typeIjLj3EEjjjS8_jjjS8_jjjj,@function
_ZL13mul_mat_vec_qIL9ggml_type20ELi1ELb0ELb0EEvPKvS2_PKi31ggml_cuda_mm_fusion_args_devicePfj15HIP_vector_typeIjLj3EEjjjS8_jjjS8_jjjj: ; @_ZL13mul_mat_vec_qIL9ggml_type20ELi1ELb0ELb0EEvPKvS2_PKi31ggml_cuda_mm_fusion_args_devicePfj15HIP_vector_typeIjLj3EEjjjS8_jjjS8_jjjj
; %bb.0:
	s_load_dwordx2 s[0:1], s[4:5], 0x10
	s_load_dwordx4 s[16:19], s[4:5], 0x40
	s_mov_b32 s10, s7
	s_mov_b64 s[14:15], 0
	s_waitcnt lgkmcnt(0)
	s_cmp_lg_u64 s[0:1], 0
	s_cselect_b64 s[12:13], -1, 0
	s_cmp_eq_u64 s[0:1], 0
	s_cbranch_scc1 .LBB232_5
; %bb.1:
	s_mov_b32 s11, 0
	s_lshl_b64 s[2:3], s[10:11], 2
	s_add_u32 s0, s0, s2
	s_addc_u32 s1, s1, s3
	s_load_dword s9, s[0:1], 0x0
	s_nop 0
	s_load_dwordx4 s[0:3], s[4:5], 0x68
	s_load_dword s11, s[4:5], 0x50
	s_andn2_b64 vcc, exec, s[14:15]
	s_cbranch_vccnz .LBB232_3
.LBB232_2:
	s_load_dwordx2 s[14:15], s[4:5], 0x5c
	s_waitcnt lgkmcnt(0)
	s_mul_hi_u32 s7, s14, s10
	s_add_i32 s7, s10, s7
	s_lshr_b32 s9, s7, s15
.LBB232_3:
	s_load_dword s22, s[4:5], 0x78
	s_andn2_b64 vcc, exec, s[12:13]
	s_cbranch_vccnz .LBB232_6
; %bb.4:
	s_mul_hi_u32 s7, s17, s10
	s_add_i32 s7, s10, s7
	s_lshr_b32 s7, s7, s18
	s_mul_i32 s7, s7, s19
	s_sub_i32 s23, s10, s7
	s_branch .LBB232_7
.LBB232_5:
                                        ; implicit-def: $sgpr9
	s_load_dwordx4 s[0:3], s[4:5], 0x68
	s_load_dword s11, s[4:5], 0x50
	s_branch .LBB232_2
.LBB232_6:
	s_mov_b32 s23, s10
.LBB232_7:
	s_load_dwordx4 s[12:15], s[4:5], 0x80
	v_lshlrev_b32_e32 v2, 6, v1
	v_add_u16_e32 v3, v2, v0
	s_lshr_b32 s7, s16, 5
	v_lshrrev_b16_e32 v6, 1, v3
	v_cmp_gt_u32_e32 vcc, s7, v6
	v_mov_b32_e32 v4, 0
	v_lshlrev_b32_e32 v5, 2, v0
	s_and_saveexec_b64 s[20:21], vcc
	s_cbranch_execz .LBB232_11
; %bb.8:
	s_waitcnt lgkmcnt(0)
	s_mul_hi_u32 s3, s3, s8
	s_load_dwordx4 s[16:19], s[4:5], 0x0
	s_add_i32 s3, s8, s3
	s_lshr_b32 s3, s3, s22
	s_mul_i32 s11, s11, s6
	s_mul_i32 s3, s3, s12
	;; [unrolled: 1-line block ×4, first 2 shown]
	s_add_i32 s3, s3, s11
	s_add_i32 s3, s0, s3
	s_mul_hi_u32 s0, s13, 36
	s_mul_i32 s13, s13, 36
	s_mul_i32 s1, s23, s1
	s_waitcnt lgkmcnt(0)
	s_add_u32 s11, s18, s13
	s_mul_hi_u32 s9, s1, 36
	s_mul_i32 s1, s1, 36
	s_addc_u32 s12, s19, s0
	v_add_u32_e32 v2, v2, v0
	s_add_u32 s0, s11, s1
	v_and_b32_e32 v3, 1, v0
	v_lshrrev_b32_e32 v2, 1, v2
	s_addc_u32 s1, s12, s9
	v_lshlrev_b32_e32 v7, 3, v3
	v_mad_u64_u32 v[2:3], s[0:1], v2, 36, s[0:1]
	v_and_b32_e32 v8, 4, v5
	v_mov_b32_e32 v4, 0
	s_mov_b64 s[0:1], 0
	v_lshlrev_b32_e32 v8, 1, v8
	s_mov_b32 s9, 0xf6eaddcf
	v_mov_b32_e32 v9, 0xbfad9881
	s_mov_b32 s11, 0x71594535
	v_mov_b32_e32 v10, 0x26190d01
.LBB232_9:                              ; =>This Inner Loop Header: Depth=1
	v_add_u32_e32 v13, s3, v6
	v_mad_i64_i32 v[13:14], s[12:13], v13, 18, s[16:17]
	v_add_co_u32_e32 v11, vcc, v2, v7
	v_addc_co_u32_e32 v12, vcc, 0, v3, vcc
	global_load_dword v21, v[2:3], off
	global_load_dwordx2 v[15:16], v[11:12], off offset:4
	global_load_dwordx2 v[17:18], v[11:12], off offset:20
	v_add_co_u32_e32 v11, vcc, v13, v8
	v_addc_co_u32_e32 v12, vcc, 0, v14, vcc
	global_load_dwordx2 v[19:20], v[11:12], off offset:2
	global_load_ushort v22, v[13:14], off
	v_add_co_u32_e32 v2, vcc, 0x900, v2
	v_add_u32_e32 v6, 64, v6
	v_addc_co_u32_e32 v3, vcc, 0, v3, vcc
	v_cmp_le_u32_e32 vcc, s7, v6
	s_or_b64 s[0:1], vcc, s[0:1]
	s_waitcnt vmcnt(4)
	v_cvt_f32_f16_e32 v11, v21
	s_waitcnt vmcnt(1)
	v_ashrrev_i32_e32 v13, 4, v19
	v_and_b32_e32 v14, 0x7070707, v19
	v_lshrrev_b32_e32 v19, 1, v19
	v_and_b32_e32 v19, 0x4040404, v19
	v_perm_b32 v21, s9, v9, v14
	v_perm_b32 v14, s11, v10, v14
	v_or_b32_e32 v19, 0x3020100, v19
	v_perm_b32 v14, v14, v21, v19
	v_ashrrev_i32_e32 v19, 4, v20
	v_and_b32_e32 v21, 0x7070707, v20
	v_lshrrev_b32_e32 v20, 1, v20
	v_and_b32_e32 v20, 0x4040404, v20
	s_waitcnt vmcnt(0)
	v_cvt_f32_f16_e32 v12, v22
	v_perm_b32 v22, s9, v9, v21
	v_perm_b32 v21, s11, v10, v21
	v_or_b32_e32 v20, 0x3020100, v20
	v_perm_b32 v20, v21, v22, v20
	v_and_b32_e32 v21, 0x7070707, v13
	v_lshrrev_b32_e32 v13, 1, v13
	v_and_b32_e32 v13, 0x4040404, v13
	v_perm_b32 v22, s9, v9, v21
	v_perm_b32 v21, s11, v10, v21
	v_or_b32_e32 v13, 0x3020100, v13
	v_perm_b32 v13, v21, v22, v13
	v_and_b32_e32 v21, 0x7070707, v19
	v_lshrrev_b32_e32 v19, 1, v19
	v_and_b32_e32 v19, 0x4040404, v19
	v_dot4_i32_i8 v14, v14, v15, 0
	v_perm_b32 v22, s9, v9, v21
	v_perm_b32 v21, s11, v10, v21
	v_or_b32_e32 v19, 0x3020100, v19
	v_dot4_i32_i8 v13, v13, v17, v14
	v_perm_b32 v15, v21, v22, v19
	v_dot4_i32_i8 v13, v20, v16, v13
	v_dot4_i32_i8 v13, v15, v18, v13
	v_cvt_f32_i32_e32 v13, v13
	v_mul_f32_e32 v11, v12, v11
	v_fmac_f32_e32 v4, v11, v13
	s_andn2_b64 exec, exec, s[0:1]
	s_cbranch_execnz .LBB232_9
; %bb.10:
	s_or_b64 exec, exec, s[0:1]
.LBB232_11:
	s_or_b64 exec, exec, s[20:21]
	v_cmp_eq_u32_e32 vcc, 0, v1
	s_waitcnt lgkmcnt(0)
	v_cmp_ne_u32_e64 s[0:1], 0, v1
	s_and_saveexec_b64 s[12:13], s[0:1]
; %bb.12:
	v_lshlrev_b32_e32 v1, 8, v1
	s_movk_i32 s0, 0xff00
	v_add3_u32 v1, v1, v5, s0
	ds_write_b32 v1, v4
; %bb.13:
	s_or_b64 exec, exec, s[12:13]
	s_waitcnt lgkmcnt(0)
	s_barrier
	s_and_saveexec_b64 s[0:1], vcc
	s_cbranch_execz .LBB232_16
; %bb.14:
	v_mbcnt_lo_u32_b32 v2, -1, 0
	ds_read_b32 v1, v5
	v_mbcnt_hi_u32_b32 v2, -1, v2
	v_and_b32_e32 v3, 64, v2
	v_add_u32_e32 v3, 64, v3
	v_xor_b32_e32 v5, 32, v2
	v_cmp_lt_i32_e32 vcc, v5, v3
	v_cndmask_b32_e32 v5, v2, v5, vcc
	v_lshlrev_b32_e32 v5, 2, v5
	s_waitcnt lgkmcnt(0)
	v_add_f32_e32 v1, v4, v1
	ds_bpermute_b32 v4, v5, v1
	v_xor_b32_e32 v5, 16, v2
	v_cmp_lt_i32_e32 vcc, v5, v3
	v_cndmask_b32_e32 v5, v2, v5, vcc
	v_lshlrev_b32_e32 v5, 2, v5
	s_waitcnt lgkmcnt(0)
	v_add_f32_e32 v1, v1, v4
	ds_bpermute_b32 v4, v5, v1
	;; [unrolled: 7-line block ×6, first 2 shown]
	s_mov_b32 s1, 0
	v_cmp_eq_u32_e32 vcc, 0, v0
	s_and_b64 exec, exec, vcc
	s_cbranch_execz .LBB232_16
; %bb.15:
	s_load_dwordx2 s[4:5], s[4:5], 0x38
	s_mul_i32 s0, s2, s10
	s_add_i32 s0, s0, s6
	s_mul_i32 s2, s14, s8
	s_add_i32 s0, s0, s2
	s_lshl_b64 s[0:1], s[0:1], 2
	s_waitcnt lgkmcnt(0)
	s_add_u32 s0, s4, s0
	v_add_f32_e32 v0, v1, v2
	s_addc_u32 s1, s5, s1
	v_mov_b32_e32 v1, 0
	global_store_dword v1, v0, s[0:1]
.LBB232_16:
	s_endpgm
	.section	.rodata,"a",@progbits
	.p2align	6, 0x0
	.amdhsa_kernel _ZL13mul_mat_vec_qIL9ggml_type20ELi1ELb0ELb0EEvPKvS2_PKi31ggml_cuda_mm_fusion_args_devicePfj15HIP_vector_typeIjLj3EEjjjS8_jjjS8_jjjj
		.amdhsa_group_segment_fixed_size 256
		.amdhsa_private_segment_fixed_size 0
		.amdhsa_kernarg_size 144
		.amdhsa_user_sgpr_count 6
		.amdhsa_user_sgpr_private_segment_buffer 1
		.amdhsa_user_sgpr_dispatch_ptr 0
		.amdhsa_user_sgpr_queue_ptr 0
		.amdhsa_user_sgpr_kernarg_segment_ptr 1
		.amdhsa_user_sgpr_dispatch_id 0
		.amdhsa_user_sgpr_flat_scratch_init 0
		.amdhsa_user_sgpr_private_segment_size 0
		.amdhsa_uses_dynamic_stack 0
		.amdhsa_system_sgpr_private_segment_wavefront_offset 0
		.amdhsa_system_sgpr_workgroup_id_x 1
		.amdhsa_system_sgpr_workgroup_id_y 1
		.amdhsa_system_sgpr_workgroup_id_z 1
		.amdhsa_system_sgpr_workgroup_info 0
		.amdhsa_system_vgpr_workitem_id 1
		.amdhsa_next_free_vgpr 23
		.amdhsa_next_free_sgpr 24
		.amdhsa_reserve_vcc 1
		.amdhsa_reserve_flat_scratch 0
		.amdhsa_float_round_mode_32 0
		.amdhsa_float_round_mode_16_64 0
		.amdhsa_float_denorm_mode_32 3
		.amdhsa_float_denorm_mode_16_64 3
		.amdhsa_dx10_clamp 1
		.amdhsa_ieee_mode 1
		.amdhsa_fp16_overflow 0
		.amdhsa_exception_fp_ieee_invalid_op 0
		.amdhsa_exception_fp_denorm_src 0
		.amdhsa_exception_fp_ieee_div_zero 0
		.amdhsa_exception_fp_ieee_overflow 0
		.amdhsa_exception_fp_ieee_underflow 0
		.amdhsa_exception_fp_ieee_inexact 0
		.amdhsa_exception_int_div_zero 0
	.end_amdhsa_kernel
	.section	.text._ZL13mul_mat_vec_qIL9ggml_type20ELi1ELb0ELb0EEvPKvS2_PKi31ggml_cuda_mm_fusion_args_devicePfj15HIP_vector_typeIjLj3EEjjjS8_jjjS8_jjjj,"axG",@progbits,_ZL13mul_mat_vec_qIL9ggml_type20ELi1ELb0ELb0EEvPKvS2_PKi31ggml_cuda_mm_fusion_args_devicePfj15HIP_vector_typeIjLj3EEjjjS8_jjjS8_jjjj,comdat
.Lfunc_end232:
	.size	_ZL13mul_mat_vec_qIL9ggml_type20ELi1ELb0ELb0EEvPKvS2_PKi31ggml_cuda_mm_fusion_args_devicePfj15HIP_vector_typeIjLj3EEjjjS8_jjjS8_jjjj, .Lfunc_end232-_ZL13mul_mat_vec_qIL9ggml_type20ELi1ELb0ELb0EEvPKvS2_PKi31ggml_cuda_mm_fusion_args_devicePfj15HIP_vector_typeIjLj3EEjjjS8_jjjS8_jjjj
                                        ; -- End function
	.set _ZL13mul_mat_vec_qIL9ggml_type20ELi1ELb0ELb0EEvPKvS2_PKi31ggml_cuda_mm_fusion_args_devicePfj15HIP_vector_typeIjLj3EEjjjS8_jjjS8_jjjj.num_vgpr, 23
	.set _ZL13mul_mat_vec_qIL9ggml_type20ELi1ELb0ELb0EEvPKvS2_PKi31ggml_cuda_mm_fusion_args_devicePfj15HIP_vector_typeIjLj3EEjjjS8_jjjS8_jjjj.num_agpr, 0
	.set _ZL13mul_mat_vec_qIL9ggml_type20ELi1ELb0ELb0EEvPKvS2_PKi31ggml_cuda_mm_fusion_args_devicePfj15HIP_vector_typeIjLj3EEjjjS8_jjjS8_jjjj.numbered_sgpr, 24
	.set _ZL13mul_mat_vec_qIL9ggml_type20ELi1ELb0ELb0EEvPKvS2_PKi31ggml_cuda_mm_fusion_args_devicePfj15HIP_vector_typeIjLj3EEjjjS8_jjjS8_jjjj.num_named_barrier, 0
	.set _ZL13mul_mat_vec_qIL9ggml_type20ELi1ELb0ELb0EEvPKvS2_PKi31ggml_cuda_mm_fusion_args_devicePfj15HIP_vector_typeIjLj3EEjjjS8_jjjS8_jjjj.private_seg_size, 0
	.set _ZL13mul_mat_vec_qIL9ggml_type20ELi1ELb0ELb0EEvPKvS2_PKi31ggml_cuda_mm_fusion_args_devicePfj15HIP_vector_typeIjLj3EEjjjS8_jjjS8_jjjj.uses_vcc, 1
	.set _ZL13mul_mat_vec_qIL9ggml_type20ELi1ELb0ELb0EEvPKvS2_PKi31ggml_cuda_mm_fusion_args_devicePfj15HIP_vector_typeIjLj3EEjjjS8_jjjS8_jjjj.uses_flat_scratch, 0
	.set _ZL13mul_mat_vec_qIL9ggml_type20ELi1ELb0ELb0EEvPKvS2_PKi31ggml_cuda_mm_fusion_args_devicePfj15HIP_vector_typeIjLj3EEjjjS8_jjjS8_jjjj.has_dyn_sized_stack, 0
	.set _ZL13mul_mat_vec_qIL9ggml_type20ELi1ELb0ELb0EEvPKvS2_PKi31ggml_cuda_mm_fusion_args_devicePfj15HIP_vector_typeIjLj3EEjjjS8_jjjS8_jjjj.has_recursion, 0
	.set _ZL13mul_mat_vec_qIL9ggml_type20ELi1ELb0ELb0EEvPKvS2_PKi31ggml_cuda_mm_fusion_args_devicePfj15HIP_vector_typeIjLj3EEjjjS8_jjjS8_jjjj.has_indirect_call, 0
	.section	.AMDGPU.csdata,"",@progbits
; Kernel info:
; codeLenInByte = 1140
; TotalNumSgprs: 28
; NumVgprs: 23
; ScratchSize: 0
; MemoryBound: 0
; FloatMode: 240
; IeeeMode: 1
; LDSByteSize: 256 bytes/workgroup (compile time only)
; SGPRBlocks: 3
; VGPRBlocks: 5
; NumSGPRsForWavesPerEU: 28
; NumVGPRsForWavesPerEU: 23
; Occupancy: 10
; WaveLimiterHint : 0
; COMPUTE_PGM_RSRC2:SCRATCH_EN: 0
; COMPUTE_PGM_RSRC2:USER_SGPR: 6
; COMPUTE_PGM_RSRC2:TRAP_HANDLER: 0
; COMPUTE_PGM_RSRC2:TGID_X_EN: 1
; COMPUTE_PGM_RSRC2:TGID_Y_EN: 1
; COMPUTE_PGM_RSRC2:TGID_Z_EN: 1
; COMPUTE_PGM_RSRC2:TIDIG_COMP_CNT: 1
	.section	.text._ZL13mul_mat_vec_qIL9ggml_type20ELi2ELb0ELb0EEvPKvS2_PKi31ggml_cuda_mm_fusion_args_devicePfj15HIP_vector_typeIjLj3EEjjjS8_jjjS8_jjjj,"axG",@progbits,_ZL13mul_mat_vec_qIL9ggml_type20ELi2ELb0ELb0EEvPKvS2_PKi31ggml_cuda_mm_fusion_args_devicePfj15HIP_vector_typeIjLj3EEjjjS8_jjjS8_jjjj,comdat
	.globl	_ZL13mul_mat_vec_qIL9ggml_type20ELi2ELb0ELb0EEvPKvS2_PKi31ggml_cuda_mm_fusion_args_devicePfj15HIP_vector_typeIjLj3EEjjjS8_jjjS8_jjjj ; -- Begin function _ZL13mul_mat_vec_qIL9ggml_type20ELi2ELb0ELb0EEvPKvS2_PKi31ggml_cuda_mm_fusion_args_devicePfj15HIP_vector_typeIjLj3EEjjjS8_jjjS8_jjjj
	.p2align	8
	.type	_ZL13mul_mat_vec_qIL9ggml_type20ELi2ELb0ELb0EEvPKvS2_PKi31ggml_cuda_mm_fusion_args_devicePfj15HIP_vector_typeIjLj3EEjjjS8_jjjS8_jjjj,@function
_ZL13mul_mat_vec_qIL9ggml_type20ELi2ELb0ELb0EEvPKvS2_PKi31ggml_cuda_mm_fusion_args_devicePfj15HIP_vector_typeIjLj3EEjjjS8_jjjS8_jjjj: ; @_ZL13mul_mat_vec_qIL9ggml_type20ELi2ELb0ELb0EEvPKvS2_PKi31ggml_cuda_mm_fusion_args_devicePfj15HIP_vector_typeIjLj3EEjjjS8_jjjS8_jjjj
; %bb.0:
	v_lshlrev_b32_e32 v2, 6, v1
	s_load_dword s9, s[4:5], 0x40
	s_load_dwordx4 s[0:3], s[4:5], 0x50
	s_load_dword s25, s[4:5], 0x60
	s_load_dwordx4 s[12:15], s[4:5], 0x68
	;; [unrolled: 2-line block ×3, first 2 shown]
	v_add_u16_e32 v2, v2, v0
	s_waitcnt lgkmcnt(0)
	s_lshr_b32 s9, s9, 5
	v_lshrrev_b16_e32 v8, 1, v2
	s_lshl_b32 s6, s6, 1
	v_cmp_gt_u32_e32 vcc, s9, v8
	v_mov_b32_e32 v6, 0
	v_mov_b32_e32 v7, 0
	;; [unrolled: 1-line block ×4, first 2 shown]
	s_and_saveexec_b64 s[10:11], vcc
	s_cbranch_execz .LBB233_4
; %bb.1:
	s_load_dwordx4 s[20:23], s[4:5], 0x0
	s_mul_i32 s17, s17, s8
	s_mul_hi_u32 s19, s17, 36
	s_mul_i32 s17, s17, 36
	s_mul_i32 s13, s13, s7
	s_waitcnt lgkmcnt(0)
	s_add_u32 s17, s22, s17
	s_addc_u32 s19, s23, s19
	s_mul_hi_u32 s23, s13, 36
	s_mul_i32 s13, s13, 36
	s_add_u32 s22, s17, s13
	s_mul_hi_u32 s3, s3, s7
	s_addc_u32 s23, s19, s23
	s_add_i32 s3, s7, s3
	s_lshr_b32 s3, s3, s25
	s_mul_i32 s3, s3, s12
	s_mul_hi_u32 s12, s15, s8
	s_add_i32 s12, s8, s12
	s_lshr_b32 s12, s12, s24
	s_mul_i32 s12, s12, s16
	v_lshlrev_b32_e32 v3, 1, v0
	s_add_i32 s13, s6, 1
	v_and_b32_e32 v5, 2, v3
	s_add_i32 s12, s12, s3
	s_mul_i32 s3, s6, s0
	s_mul_i32 s0, s0, s13
	v_and_b32_e32 v3, 1, v0
	v_lshrrev_b16_e32 v2, 1, v2
	s_add_i32 s3, s12, s3
	s_add_i32 s0, s12, s0
	v_lshlrev_b32_e32 v9, 3, v3
	v_mad_u64_u32 v[2:3], s[12:13], v2, 36, s[22:23]
	v_lshlrev_b32_e32 v6, 1, v5
	v_mov_b32_e32 v4, 0
	s_mov_b64 s[12:13], 0
	v_lshlrev_b32_e32 v10, 1, v6
	s_mov_b32 s15, 0xf6eaddcf
	v_mov_b32_e32 v11, 0xbfad9881
	s_mov_b32 s16, 0x71594535
	v_mov_b32_e32 v12, 0x26190d01
	v_lshlrev_b32_e32 v13, 2, v5
	v_mov_b32_e32 v5, 0
	v_mov_b32_e32 v6, 0
	v_mov_b32_e32 v7, 0
.LBB233_2:                              ; =>This Inner Loop Header: Depth=1
	v_add_u32_e32 v16, s3, v8
	v_mad_i64_i32 v[16:17], s[24:25], v16, 18, s[20:21]
	v_add_u32_e32 v18, s0, v8
	v_add_co_u32_e32 v14, vcc, v2, v9
	v_mad_i64_i32 v[18:19], s[24:25], v18, 18, s[20:21]
	v_addc_co_u32_e32 v15, vcc, 0, v3, vcc
	v_add_u32_e32 v20, s1, v8
	v_mad_u64_u32 v[20:21], s[24:25], v20, 36, s[22:23]
	v_add_co_u32_e32 v22, vcc, v16, v10
	v_addc_co_u32_e32 v23, vcc, 0, v17, vcc
	v_add_co_u32_e32 v24, vcc, v18, v10
	v_addc_co_u32_e32 v25, vcc, 0, v19, vcc
	v_add_co_u32_e32 v26, vcc, v20, v13
	global_load_dword v32, v[2:3], off
	v_addc_co_u32_e32 v27, vcc, 0, v21, vcc
	global_load_dword v33, v[20:21], off
	global_load_dwordx2 v[28:29], v[22:23], off offset:2
	global_load_dwordx2 v[30:31], v[24:25], off offset:2
	global_load_ushort v34, v[18:19], off
	global_load_ushort v35, v[16:17], off
                                        ; kill: killed $vgpr22 killed $vgpr23
                                        ; kill: killed $vgpr18 killed $vgpr19
                                        ; kill: killed $vgpr20 killed $vgpr21
                                        ; kill: killed $vgpr24 killed $vgpr25
                                        ; kill: killed $vgpr16 killed $vgpr17
	s_nop 0
	global_load_dwordx2 v[16:17], v[26:27], off offset:4
	v_add_co_u32_e32 v2, vcc, 0x900, v2
	v_add_u32_e32 v8, 64, v8
	v_addc_co_u32_e32 v3, vcc, 0, v3, vcc
	v_cmp_le_u32_e32 vcc, s9, v8
	s_or_b64 s[12:13], vcc, s[12:13]
	s_waitcnt vmcnt(5)
	v_cvt_f32_f16_e32 v19, v33
	s_waitcnt vmcnt(4)
	v_lshrrev_b32_e32 v21, 1, v28
	v_and_b32_e32 v20, 0x7070707, v28
	v_and_b32_e32 v21, 0x4040404, v21
	v_lshrrev_b32_e32 v23, 1, v29
	v_perm_b32 v25, s15, v11, v20
	v_perm_b32 v20, s16, v12, v20
	v_or_b32_e32 v21, 0x3020100, v21
	v_and_b32_e32 v22, 0x7070707, v29
	v_perm_b32 v25, v20, v25, v21
	s_waitcnt vmcnt(3)
	v_lshrrev_b32_e32 v20, 1, v30
	v_and_b32_e32 v23, 0x4040404, v23
	v_and_b32_e32 v24, 0x7070707, v30
	v_perm_b32 v21, s15, v11, v22
	v_perm_b32 v22, s16, v12, v22
	v_or_b32_e32 v23, 0x3020100, v23
	v_and_b32_e32 v20, 0x4040404, v20
	v_perm_b32 v22, v22, v21, v23
	v_perm_b32 v23, s15, v11, v24
	;; [unrolled: 1-line block ×3, first 2 shown]
	v_or_b32_e32 v20, 0x3020100, v20
	v_perm_b32 v23, v24, v23, v20
	v_lshrrev_b32_e32 v20, 1, v31
	v_and_b32_e32 v21, 0x7070707, v31
	v_and_b32_e32 v20, 0x4040404, v20
	v_ashrrev_i32_e32 v24, 4, v28
	v_perm_b32 v33, s15, v11, v21
	v_perm_b32 v21, s16, v12, v21
	v_or_b32_e32 v20, 0x3020100, v20
	v_perm_b32 v33, v21, v33, v20
	v_lshrrev_b32_e32 v21, 1, v24
	v_and_b32_e32 v20, 0x7070707, v24
	v_and_b32_e32 v21, 0x4040404, v21
	v_ashrrev_i32_e32 v28, 4, v29
	v_ashrrev_i32_e32 v29, 4, v30
	v_perm_b32 v24, s15, v11, v20
	v_perm_b32 v20, s16, v12, v20
	v_or_b32_e32 v21, 0x3020100, v21
	v_perm_b32 v24, v20, v24, v21
	v_lshrrev_b32_e32 v21, 1, v29
	v_and_b32_e32 v20, 0x7070707, v29
	v_and_b32_e32 v21, 0x4040404, v21
	v_perm_b32 v29, s15, v11, v20
	v_perm_b32 v20, s16, v12, v20
	v_or_b32_e32 v21, 0x3020100, v21
	v_perm_b32 v29, v20, v29, v21
	v_lshrrev_b32_e32 v21, 1, v28
	v_and_b32_e32 v20, 0x7070707, v28
	v_and_b32_e32 v21, 0x4040404, v21
	v_cvt_f32_f16_e32 v18, v32
	v_ashrrev_i32_e32 v30, 4, v31
	s_waitcnt vmcnt(1)
	v_cvt_f32_f16_e32 v31, v35
	v_cvt_f32_f16_e32 v32, v34
	v_perm_b32 v28, s15, v11, v20
	v_perm_b32 v20, s16, v12, v20
	v_or_b32_e32 v21, 0x3020100, v21
	v_perm_b32 v28, v20, v28, v21
	v_lshrrev_b32_e32 v21, 1, v30
	v_and_b32_e32 v20, 0x7070707, v30
	v_and_b32_e32 v21, 0x4040404, v21
	v_perm_b32 v30, s15, v11, v20
	v_perm_b32 v20, s16, v12, v20
	v_or_b32_e32 v21, 0x3020100, v21
	v_perm_b32 v30, v20, v30, v21
	v_mul_f32_e32 v34, v31, v18
	v_mul_f32_e32 v35, v32, v18
	;; [unrolled: 1-line block ×4, first 2 shown]
	global_load_dwordx2 v[18:19], v[14:15], off offset:4
	global_load_dwordx2 v[20:21], v[26:27], off offset:20
                                        ; kill: killed $vgpr26 killed $vgpr27
	s_nop 0
	global_load_dwordx2 v[14:15], v[14:15], off offset:20
	s_waitcnt vmcnt(2)
	v_dot4_i32_i8 v26, v25, v18, 0
	v_dot4_i32_i8 v25, v25, v16, 0
	;; [unrolled: 1-line block ×4, first 2 shown]
	s_waitcnt vmcnt(0)
	v_dot4_i32_i8 v26, v24, v14, v26
	v_dot4_i32_i8 v24, v24, v20, v25
	;; [unrolled: 1-line block ×12, first 2 shown]
	v_cvt_f32_i32_e32 v17, v17
	v_cvt_f32_i32_e32 v14, v14
	;; [unrolled: 1-line block ×4, first 2 shown]
	v_fmac_f32_e32 v7, v34, v17
	v_fmac_f32_e32 v6, v35, v14
	v_fmac_f32_e32 v5, v31, v15
	v_fmac_f32_e32 v4, v32, v16
	s_andn2_b64 exec, exec, s[12:13]
	s_cbranch_execnz .LBB233_2
; %bb.3:
	s_or_b64 exec, exec, s[12:13]
.LBB233_4:
	s_or_b64 exec, exec, s[10:11]
	v_cmp_eq_u32_e32 vcc, 0, v1
	v_cmp_ne_u32_e64 s[0:1], 0, v1
	v_lshlrev_b32_e32 v2, 2, v0
	s_and_saveexec_b64 s[10:11], s[0:1]
	s_cbranch_execz .LBB233_6
; %bb.5:
	v_lshl_or_b32 v1, v1, 10, v2
	v_add_u32_e32 v1, 0xfffffc00, v1
	ds_write2st64_b32 v1, v7, v6 offset1:1
	ds_write2st64_b32 v1, v5, v4 offset0:2 offset1:3
.LBB233_6:
	s_or_b64 exec, exec, s[10:11]
	s_waitcnt lgkmcnt(0)
	s_barrier
	s_and_saveexec_b64 s[0:1], vcc
	s_cbranch_execz .LBB233_11
; %bb.7:
	v_mbcnt_lo_u32_b32 v1, -1, 0
	v_mbcnt_hi_u32_b32 v11, -1, v1
	ds_read2st64_b32 v[9:10], v2 offset1:1
	v_and_b32_e32 v1, 64, v11
	v_add_u32_e32 v12, 64, v1
	v_xor_b32_e32 v1, 32, v11
	v_cmp_lt_i32_e32 vcc, v1, v12
	v_cndmask_b32_e32 v1, v11, v1, vcc
	v_lshlrev_b32_e32 v1, 2, v1
	s_waitcnt lgkmcnt(0)
	v_add_f32_e32 v7, v9, v7
	v_add_f32_e32 v10, v10, v6
	ds_bpermute_b32 v9, v1, v7
	ds_bpermute_b32 v14, v1, v10
	v_xor_b32_e32 v3, 16, v11
	v_cmp_lt_i32_e32 vcc, v3, v12
	v_cndmask_b32_e32 v3, v11, v3, vcc
	v_lshlrev_b32_e32 v3, 2, v3
	s_waitcnt lgkmcnt(1)
	v_add_f32_e32 v7, v7, v9
	s_waitcnt lgkmcnt(0)
	v_add_f32_e32 v10, v10, v14
	ds_bpermute_b32 v9, v3, v7
	ds_bpermute_b32 v14, v3, v10
	v_xor_b32_e32 v8, 8, v11
	v_cmp_lt_i32_e32 vcc, v8, v12
	v_cndmask_b32_e32 v8, v11, v8, vcc
	v_lshlrev_b32_e32 v8, 2, v8
	s_waitcnt lgkmcnt(1)
	v_add_f32_e32 v9, v7, v9
	s_waitcnt lgkmcnt(0)
	;; [unrolled: 10-line block ×3, first 2 shown]
	v_add_f32_e32 v10, v10, v14
	ds_bpermute_b32 v15, v6, v9
	ds_bpermute_b32 v14, v6, v10
	v_xor_b32_e32 v13, 2, v11
	v_cmp_lt_i32_e32 vcc, v13, v12
	v_cndmask_b32_e32 v13, v11, v13, vcc
	v_lshlrev_b32_e32 v7, 2, v13
	v_xor_b32_e32 v13, 1, v11
	v_cmp_lt_i32_e32 vcc, v13, v12
	s_waitcnt lgkmcnt(1)
	v_add_f32_e32 v9, v9, v15
	s_waitcnt lgkmcnt(0)
	v_add_f32_e32 v10, v10, v14
	v_cndmask_b32_e32 v11, v11, v13, vcc
	ds_bpermute_b32 v12, v7, v9
	ds_bpermute_b32 v13, v7, v10
	s_load_dwordx2 s[0:1], s[4:5], 0x38
	s_mul_i32 s4, s14, s7
	v_lshlrev_b32_e32 v11, 2, v11
	s_waitcnt lgkmcnt(0)
	v_add_f32_e32 v9, v9, v12
	v_add_f32_e32 v10, v10, v13
	s_mul_i32 s3, s18, s8
	s_add_i32 s4, s4, s6
	ds_bpermute_b32 v12, v11, v9
	ds_bpermute_b32 v13, v11, v10
	s_add_i32 s4, s4, s3
	s_mov_b32 s5, 0
	s_lshl_b64 s[4:5], s[4:5], 2
	s_add_u32 s4, s0, s4
	v_add_u32_e32 v14, s6, v0
	s_addc_u32 s5, s1, s5
	v_cmp_gt_u32_e32 vcc, 2, v0
	v_cmp_gt_u32_e64 s[0:1], s2, v14
	s_and_b64 s[0:1], vcc, s[0:1]
	s_waitcnt lgkmcnt(1)
	v_add_f32_e32 v9, v9, v12
	s_waitcnt lgkmcnt(0)
	v_add_f32_e32 v10, v10, v13
	s_and_saveexec_b64 s[6:7], s[0:1]
	s_cbranch_execz .LBB233_9
; %bb.8:
	v_cmp_eq_u32_e32 vcc, 1, v0
	v_cndmask_b32_e32 v12, v9, v10, vcc
	v_cmp_eq_u32_e32 vcc, 2, v0
	v_cndmask_b32_e32 v12, v12, v5, vcc
	v_cmp_eq_u32_e32 vcc, 3, v0
	v_cndmask_b32_e32 v12, v12, v4, vcc
	global_store_dword v2, v12, s[4:5]
.LBB233_9:
	s_or_b64 exec, exec, s[6:7]
	ds_read2st64_b32 v[12:13], v2 offset0:2 offset1:3
	s_waitcnt lgkmcnt(0)
	v_add_f32_e32 v2, v12, v5
	v_add_f32_e32 v4, v13, v4
	ds_bpermute_b32 v5, v1, v2
	ds_bpermute_b32 v1, v1, v4
	s_waitcnt lgkmcnt(1)
	v_add_f32_e32 v2, v2, v5
	s_waitcnt lgkmcnt(0)
	v_add_f32_e32 v1, v4, v1
	ds_bpermute_b32 v4, v3, v2
	ds_bpermute_b32 v3, v3, v1
	s_waitcnt lgkmcnt(1)
	v_add_f32_e32 v2, v2, v4
	s_waitcnt lgkmcnt(0)
	;; [unrolled: 6-line block ×5, first 2 shown]
	v_add_f32_e32 v2, v3, v4
	ds_bpermute_b32 v3, v11, v1
	ds_bpermute_b32 v4, v11, v2
	s_and_b64 exec, exec, s[0:1]
	s_cbranch_execz .LBB233_11
; %bb.10:
	s_waitcnt lgkmcnt(1)
	v_add_f32_e32 v1, v1, v3
	v_add_u32_e32 v3, 2, v0
	v_cmp_eq_u32_e32 vcc, 1, v3
	s_waitcnt lgkmcnt(0)
	v_add_f32_e32 v2, v2, v4
	v_cndmask_b32_e32 v4, v9, v10, vcc
	v_cmp_eq_u32_e32 vcc, 2, v3
	v_cndmask_b32_e32 v1, v4, v1, vcc
	v_cmp_eq_u32_e32 vcc, 3, v3
	v_cndmask_b32_e32 v2, v1, v2, vcc
	v_add_u32_e32 v0, s2, v0
	v_mov_b32_e32 v1, 0
	v_lshlrev_b64 v[0:1], 2, v[0:1]
	v_mov_b32_e32 v3, s5
	v_add_co_u32_e32 v0, vcc, s4, v0
	v_addc_co_u32_e32 v1, vcc, v3, v1, vcc
	global_store_dword v[0:1], v2, off
.LBB233_11:
	s_endpgm
	.section	.rodata,"a",@progbits
	.p2align	6, 0x0
	.amdhsa_kernel _ZL13mul_mat_vec_qIL9ggml_type20ELi2ELb0ELb0EEvPKvS2_PKi31ggml_cuda_mm_fusion_args_devicePfj15HIP_vector_typeIjLj3EEjjjS8_jjjS8_jjjj
		.amdhsa_group_segment_fixed_size 1024
		.amdhsa_private_segment_fixed_size 0
		.amdhsa_kernarg_size 144
		.amdhsa_user_sgpr_count 6
		.amdhsa_user_sgpr_private_segment_buffer 1
		.amdhsa_user_sgpr_dispatch_ptr 0
		.amdhsa_user_sgpr_queue_ptr 0
		.amdhsa_user_sgpr_kernarg_segment_ptr 1
		.amdhsa_user_sgpr_dispatch_id 0
		.amdhsa_user_sgpr_flat_scratch_init 0
		.amdhsa_user_sgpr_private_segment_size 0
		.amdhsa_uses_dynamic_stack 0
		.amdhsa_system_sgpr_private_segment_wavefront_offset 0
		.amdhsa_system_sgpr_workgroup_id_x 1
		.amdhsa_system_sgpr_workgroup_id_y 1
		.amdhsa_system_sgpr_workgroup_id_z 1
		.amdhsa_system_sgpr_workgroup_info 0
		.amdhsa_system_vgpr_workitem_id 1
		.amdhsa_next_free_vgpr 36
		.amdhsa_next_free_sgpr 26
		.amdhsa_reserve_vcc 1
		.amdhsa_reserve_flat_scratch 0
		.amdhsa_float_round_mode_32 0
		.amdhsa_float_round_mode_16_64 0
		.amdhsa_float_denorm_mode_32 3
		.amdhsa_float_denorm_mode_16_64 3
		.amdhsa_dx10_clamp 1
		.amdhsa_ieee_mode 1
		.amdhsa_fp16_overflow 0
		.amdhsa_exception_fp_ieee_invalid_op 0
		.amdhsa_exception_fp_denorm_src 0
		.amdhsa_exception_fp_ieee_div_zero 0
		.amdhsa_exception_fp_ieee_overflow 0
		.amdhsa_exception_fp_ieee_underflow 0
		.amdhsa_exception_fp_ieee_inexact 0
		.amdhsa_exception_int_div_zero 0
	.end_amdhsa_kernel
	.section	.text._ZL13mul_mat_vec_qIL9ggml_type20ELi2ELb0ELb0EEvPKvS2_PKi31ggml_cuda_mm_fusion_args_devicePfj15HIP_vector_typeIjLj3EEjjjS8_jjjS8_jjjj,"axG",@progbits,_ZL13mul_mat_vec_qIL9ggml_type20ELi2ELb0ELb0EEvPKvS2_PKi31ggml_cuda_mm_fusion_args_devicePfj15HIP_vector_typeIjLj3EEjjjS8_jjjS8_jjjj,comdat
.Lfunc_end233:
	.size	_ZL13mul_mat_vec_qIL9ggml_type20ELi2ELb0ELb0EEvPKvS2_PKi31ggml_cuda_mm_fusion_args_devicePfj15HIP_vector_typeIjLj3EEjjjS8_jjjS8_jjjj, .Lfunc_end233-_ZL13mul_mat_vec_qIL9ggml_type20ELi2ELb0ELb0EEvPKvS2_PKi31ggml_cuda_mm_fusion_args_devicePfj15HIP_vector_typeIjLj3EEjjjS8_jjjS8_jjjj
                                        ; -- End function
	.set _ZL13mul_mat_vec_qIL9ggml_type20ELi2ELb0ELb0EEvPKvS2_PKi31ggml_cuda_mm_fusion_args_devicePfj15HIP_vector_typeIjLj3EEjjjS8_jjjS8_jjjj.num_vgpr, 36
	.set _ZL13mul_mat_vec_qIL9ggml_type20ELi2ELb0ELb0EEvPKvS2_PKi31ggml_cuda_mm_fusion_args_devicePfj15HIP_vector_typeIjLj3EEjjjS8_jjjS8_jjjj.num_agpr, 0
	.set _ZL13mul_mat_vec_qIL9ggml_type20ELi2ELb0ELb0EEvPKvS2_PKi31ggml_cuda_mm_fusion_args_devicePfj15HIP_vector_typeIjLj3EEjjjS8_jjjS8_jjjj.numbered_sgpr, 26
	.set _ZL13mul_mat_vec_qIL9ggml_type20ELi2ELb0ELb0EEvPKvS2_PKi31ggml_cuda_mm_fusion_args_devicePfj15HIP_vector_typeIjLj3EEjjjS8_jjjS8_jjjj.num_named_barrier, 0
	.set _ZL13mul_mat_vec_qIL9ggml_type20ELi2ELb0ELb0EEvPKvS2_PKi31ggml_cuda_mm_fusion_args_devicePfj15HIP_vector_typeIjLj3EEjjjS8_jjjS8_jjjj.private_seg_size, 0
	.set _ZL13mul_mat_vec_qIL9ggml_type20ELi2ELb0ELb0EEvPKvS2_PKi31ggml_cuda_mm_fusion_args_devicePfj15HIP_vector_typeIjLj3EEjjjS8_jjjS8_jjjj.uses_vcc, 1
	.set _ZL13mul_mat_vec_qIL9ggml_type20ELi2ELb0ELb0EEvPKvS2_PKi31ggml_cuda_mm_fusion_args_devicePfj15HIP_vector_typeIjLj3EEjjjS8_jjjS8_jjjj.uses_flat_scratch, 0
	.set _ZL13mul_mat_vec_qIL9ggml_type20ELi2ELb0ELb0EEvPKvS2_PKi31ggml_cuda_mm_fusion_args_devicePfj15HIP_vector_typeIjLj3EEjjjS8_jjjS8_jjjj.has_dyn_sized_stack, 0
	.set _ZL13mul_mat_vec_qIL9ggml_type20ELi2ELb0ELb0EEvPKvS2_PKi31ggml_cuda_mm_fusion_args_devicePfj15HIP_vector_typeIjLj3EEjjjS8_jjjS8_jjjj.has_recursion, 0
	.set _ZL13mul_mat_vec_qIL9ggml_type20ELi2ELb0ELb0EEvPKvS2_PKi31ggml_cuda_mm_fusion_args_devicePfj15HIP_vector_typeIjLj3EEjjjS8_jjjS8_jjjj.has_indirect_call, 0
	.section	.AMDGPU.csdata,"",@progbits
; Kernel info:
; codeLenInByte = 1940
; TotalNumSgprs: 30
; NumVgprs: 36
; ScratchSize: 0
; MemoryBound: 0
; FloatMode: 240
; IeeeMode: 1
; LDSByteSize: 1024 bytes/workgroup (compile time only)
; SGPRBlocks: 3
; VGPRBlocks: 8
; NumSGPRsForWavesPerEU: 30
; NumVGPRsForWavesPerEU: 36
; Occupancy: 7
; WaveLimiterHint : 0
; COMPUTE_PGM_RSRC2:SCRATCH_EN: 0
; COMPUTE_PGM_RSRC2:USER_SGPR: 6
; COMPUTE_PGM_RSRC2:TRAP_HANDLER: 0
; COMPUTE_PGM_RSRC2:TGID_X_EN: 1
; COMPUTE_PGM_RSRC2:TGID_Y_EN: 1
; COMPUTE_PGM_RSRC2:TGID_Z_EN: 1
; COMPUTE_PGM_RSRC2:TIDIG_COMP_CNT: 1
	.section	.text._ZL13mul_mat_vec_qIL9ggml_type20ELi3ELb0ELb0EEvPKvS2_PKi31ggml_cuda_mm_fusion_args_devicePfj15HIP_vector_typeIjLj3EEjjjS8_jjjS8_jjjj,"axG",@progbits,_ZL13mul_mat_vec_qIL9ggml_type20ELi3ELb0ELb0EEvPKvS2_PKi31ggml_cuda_mm_fusion_args_devicePfj15HIP_vector_typeIjLj3EEjjjS8_jjjS8_jjjj,comdat
	.globl	_ZL13mul_mat_vec_qIL9ggml_type20ELi3ELb0ELb0EEvPKvS2_PKi31ggml_cuda_mm_fusion_args_devicePfj15HIP_vector_typeIjLj3EEjjjS8_jjjS8_jjjj ; -- Begin function _ZL13mul_mat_vec_qIL9ggml_type20ELi3ELb0ELb0EEvPKvS2_PKi31ggml_cuda_mm_fusion_args_devicePfj15HIP_vector_typeIjLj3EEjjjS8_jjjS8_jjjj
	.p2align	8
	.type	_ZL13mul_mat_vec_qIL9ggml_type20ELi3ELb0ELb0EEvPKvS2_PKi31ggml_cuda_mm_fusion_args_devicePfj15HIP_vector_typeIjLj3EEjjjS8_jjjS8_jjjj,@function
_ZL13mul_mat_vec_qIL9ggml_type20ELi3ELb0ELb0EEvPKvS2_PKi31ggml_cuda_mm_fusion_args_devicePfj15HIP_vector_typeIjLj3EEjjjS8_jjjS8_jjjj: ; @_ZL13mul_mat_vec_qIL9ggml_type20ELi3ELb0ELb0EEvPKvS2_PKi31ggml_cuda_mm_fusion_args_devicePfj15HIP_vector_typeIjLj3EEjjjS8_jjjS8_jjjj
; %bb.0:
	v_lshlrev_b32_e32 v2, 6, v1
	s_load_dword s9, s[4:5], 0x40
	s_load_dwordx4 s[0:3], s[4:5], 0x50
	s_load_dword s25, s[4:5], 0x60
	s_load_dwordx4 s[12:15], s[4:5], 0x68
	;; [unrolled: 2-line block ×3, first 2 shown]
	v_add_u16_e32 v2, v2, v0
	s_waitcnt lgkmcnt(0)
	s_lshr_b32 s9, s9, 5
	v_lshrrev_b16_e32 v10, 1, v2
	v_mov_b32_e32 v6, 0
	s_lshl_b32 s6, s6, 1
	v_cmp_gt_u32_e32 vcc, s9, v10
	v_mov_b32_e32 v7, v6
	v_mov_b32_e32 v8, v6
	;; [unrolled: 1-line block ×5, first 2 shown]
	s_and_saveexec_b64 s[10:11], vcc
	s_cbranch_execz .LBB234_4
; %bb.1:
	s_load_dwordx4 s[20:23], s[4:5], 0x0
	s_mul_i32 s17, s17, s8
	s_mul_hi_u32 s19, s17, 36
	s_mul_i32 s17, s17, 36
	s_mul_i32 s13, s13, s7
	s_waitcnt lgkmcnt(0)
	s_add_u32 s17, s22, s17
	s_addc_u32 s19, s23, s19
	s_mul_hi_u32 s23, s13, 36
	s_mul_i32 s13, s13, 36
	s_add_u32 s22, s17, s13
	s_mul_hi_u32 s3, s3, s7
	s_addc_u32 s23, s19, s23
	s_add_i32 s3, s7, s3
	s_lshr_b32 s3, s3, s25
	s_mul_i32 s3, s3, s12
	s_mul_hi_u32 s12, s15, s8
	s_add_i32 s12, s8, s12
	s_lshr_b32 s12, s12, s24
	s_mul_i32 s12, s12, s16
	v_lshlrev_b32_e32 v3, 1, v0
	s_add_i32 s13, s6, 1
	v_and_b32_e32 v5, 2, v3
	s_add_i32 s12, s12, s3
	s_mul_i32 s3, s6, s0
	s_mul_i32 s0, s0, s13
	v_and_b32_e32 v3, 1, v0
	v_lshrrev_b16_e32 v2, 1, v2
	s_add_i32 s3, s12, s3
	s_add_i32 s0, s12, s0
	v_lshlrev_b32_e32 v11, 3, v3
	v_mad_u64_u32 v[2:3], s[12:13], v2, 36, s[22:23]
	v_mov_b32_e32 v4, 0
	v_lshlrev_b32_e32 v6, 1, v5
	s_lshl_b32 s15, s1, 1
	s_mov_b64 s[12:13], 0
	v_lshlrev_b32_e32 v12, 1, v6
	s_mov_b32 s16, 0xf6eaddcf
	v_mov_b32_e32 v13, 0xbfad9881
	s_mov_b32 s17, 0x71594535
	v_mov_b32_e32 v14, 0x26190d01
	v_lshlrev_b32_e32 v15, 2, v5
	v_mov_b32_e32 v5, v4
	v_mov_b32_e32 v6, v4
	;; [unrolled: 1-line block ×5, first 2 shown]
.LBB234_2:                              ; =>This Inner Loop Header: Depth=1
	v_add_u32_e32 v18, s3, v10
	v_mad_i64_i32 v[25:26], s[24:25], v18, 18, s[20:21]
	v_add_co_u32_e32 v16, vcc, v2, v11
	v_addc_co_u32_e32 v17, vcc, 0, v3, vcc
	global_load_dwordx2 v[21:22], v[16:17], off offset:4
	global_load_dwordx2 v[23:24], v[16:17], off offset:20
	global_load_dword v19, v[2:3], off
	v_add_co_u32_e32 v16, vcc, v25, v12
	v_addc_co_u32_e32 v17, vcc, 0, v26, vcc
	global_load_dwordx2 v[17:18], v[16:17], off offset:2
	s_waitcnt vmcnt(1)
	v_cvt_f32_f16_e32 v29, v19
	s_waitcnt vmcnt(0)
	v_ashrrev_i32_e32 v19, 4, v17
	v_and_b32_e32 v16, 0x7070707, v17
	v_lshrrev_b32_e32 v17, 1, v17
	v_and_b32_e32 v17, 0x4040404, v17
	v_perm_b32 v20, s16, v13, v16
	v_perm_b32 v16, s17, v14, v16
	v_or_b32_e32 v17, 0x3020100, v17
	v_perm_b32 v16, v16, v20, v17
	v_lshrrev_b32_e32 v17, 1, v19
	v_and_b32_e32 v27, 0x7070707, v19
	v_and_b32_e32 v17, 0x4040404, v17
	v_perm_b32 v28, s16, v13, v27
	v_perm_b32 v27, s17, v14, v27
	v_or_b32_e32 v17, 0x3020100, v17
	v_perm_b32 v17, v27, v28, v17
	v_dot4_i32_i8 v19, v16, v21, 0
	v_dot4_i32_i8 v20, v17, v23, v19
	v_ashrrev_i32_e32 v19, 4, v18
	v_and_b32_e32 v27, 0x7070707, v18
	v_lshrrev_b32_e32 v18, 1, v18
	v_and_b32_e32 v30, 0x7070707, v19
	v_and_b32_e32 v18, 0x4040404, v18
	v_lshrrev_b32_e32 v19, 1, v19
	v_perm_b32 v28, s16, v13, v27
	v_perm_b32 v27, s17, v14, v27
	v_or_b32_e32 v18, 0x3020100, v18
	v_and_b32_e32 v19, 0x4040404, v19
	v_perm_b32 v31, s16, v13, v30
	v_perm_b32 v30, s17, v14, v30
	;; [unrolled: 1-line block ×3, first 2 shown]
	v_or_b32_e32 v19, 0x3020100, v19
	v_perm_b32 v19, v30, v31, v19
	v_dot4_i32_i8 v20, v18, v22, v20
	v_dot4_i32_i8 v27, v19, v24, v20
	global_load_ushort v20, v[25:26], off
	v_cvt_f32_i32_e32 v26, v27
	s_waitcnt vmcnt(0)
	v_cvt_f32_f16_e32 v20, v20
	v_mul_f32_e32 v25, v20, v29
	v_fmac_f32_e32 v9, v25, v26
	v_add_u32_e32 v25, s0, v10
	v_mad_i64_i32 v[25:26], s[24:25], v25, 18, s[20:21]
	v_add_co_u32_e32 v27, vcc, v25, v12
	v_addc_co_u32_e32 v28, vcc, 0, v26, vcc
	global_load_dwordx2 v[27:28], v[27:28], off offset:2
	s_waitcnt vmcnt(0)
	v_ashrrev_i32_e32 v30, 4, v27
	v_and_b32_e32 v31, 0x7070707, v27
	v_lshrrev_b32_e32 v27, 1, v27
	v_and_b32_e32 v27, 0x4040404, v27
	v_perm_b32 v32, s16, v13, v31
	v_perm_b32 v31, s17, v14, v31
	v_or_b32_e32 v27, 0x3020100, v27
	v_perm_b32 v31, v31, v32, v27
	v_lshrrev_b32_e32 v27, 1, v30
	v_and_b32_e32 v33, 0x7070707, v30
	v_and_b32_e32 v27, 0x4040404, v27
	v_perm_b32 v34, s16, v13, v33
	v_perm_b32 v33, s17, v14, v33
	v_or_b32_e32 v27, 0x3020100, v27
	v_perm_b32 v30, v33, v34, v27
	v_dot4_i32_i8 v21, v31, v21, 0
	v_dot4_i32_i8 v21, v30, v23, v21
	v_ashrrev_i32_e32 v23, 4, v28
	v_and_b32_e32 v27, 0x7070707, v28
	v_lshrrev_b32_e32 v28, 1, v28
	v_and_b32_e32 v28, 0x4040404, v28
	v_perm_b32 v32, s16, v13, v27
	v_perm_b32 v27, s17, v14, v27
	v_or_b32_e32 v28, 0x3020100, v28
	v_perm_b32 v32, v27, v32, v28
	v_dot4_i32_i8 v21, v32, v22, v21
	global_load_ushort v22, v[25:26], off
	v_and_b32_e32 v33, 0x7070707, v23
	v_lshrrev_b32_e32 v23, 1, v23
	v_and_b32_e32 v23, 0x4040404, v23
	v_perm_b32 v34, s16, v13, v33
	v_perm_b32 v33, s17, v14, v33
	v_or_b32_e32 v23, 0x3020100, v23
	v_perm_b32 v33, v33, v34, v23
	v_dot4_i32_i8 v21, v33, v24, v21
	v_cvt_f32_i32_e32 v21, v21
	s_waitcnt vmcnt(0)
	v_cvt_f32_f16_e32 v34, v22
	v_mul_f32_e32 v22, v34, v29
	v_fmac_f32_e32 v8, v22, v21
	v_add_u32_e32 v21, s1, v10
	v_mad_u64_u32 v[21:22], s[24:25], v21, 36, s[22:23]
	v_add_co_u32_e32 v23, vcc, v21, v15
	v_addc_co_u32_e32 v24, vcc, 0, v22, vcc
	global_load_dwordx2 v[25:26], v[23:24], off offset:4
	global_load_dwordx2 v[27:28], v[23:24], off offset:20
	global_load_dword v29, v[21:22], off
	s_waitcnt vmcnt(2)
	v_dot4_i32_i8 v22, v16, v25, 0
	s_waitcnt vmcnt(1)
	v_dot4_i32_i8 v22, v17, v27, v22
	v_dot4_i32_i8 v22, v18, v26, v22
	s_waitcnt vmcnt(0)
	v_cvt_f32_f16_e32 v21, v29
	v_dot4_i32_i8 v22, v19, v28, v22
	v_cvt_f32_i32_e32 v22, v22
	v_mul_f32_e32 v23, v20, v21
	v_mul_f32_e32 v21, v34, v21
	v_fmac_f32_e32 v7, v23, v22
	v_dot4_i32_i8 v22, v31, v25, 0
	v_dot4_i32_i8 v22, v30, v27, v22
	;; [unrolled: 1-line block ×4, first 2 shown]
	v_cvt_f32_i32_e32 v22, v22
	v_fmac_f32_e32 v6, v21, v22
	v_add_u32_e32 v21, s15, v10
	v_mad_u64_u32 v[21:22], s[24:25], v21, 36, s[22:23]
	v_add_u32_e32 v10, 64, v10
	v_add_co_u32_e32 v23, vcc, v21, v15
	v_addc_co_u32_e32 v24, vcc, 0, v22, vcc
	global_load_dwordx2 v[25:26], v[23:24], off offset:4
	global_load_dwordx2 v[27:28], v[23:24], off offset:20
	global_load_dword v29, v[21:22], off
	v_add_co_u32_e32 v2, vcc, 0x900, v2
	v_addc_co_u32_e32 v3, vcc, 0, v3, vcc
	v_cmp_le_u32_e32 vcc, s9, v10
	s_or_b64 s[12:13], vcc, s[12:13]
	s_waitcnt vmcnt(2)
	v_dot4_i32_i8 v16, v16, v25, 0
	s_waitcnt vmcnt(1)
	v_dot4_i32_i8 v16, v17, v27, v16
	v_dot4_i32_i8 v16, v18, v26, v16
	s_waitcnt vmcnt(0)
	v_cvt_f32_f16_e32 v21, v29
	v_dot4_i32_i8 v16, v19, v28, v16
	v_cvt_f32_i32_e32 v16, v16
	v_mul_f32_e32 v17, v20, v21
	v_fmac_f32_e32 v5, v17, v16
	v_dot4_i32_i8 v16, v31, v25, 0
	v_dot4_i32_i8 v16, v30, v27, v16
	;; [unrolled: 1-line block ×4, first 2 shown]
	v_cvt_f32_i32_e32 v16, v16
	v_mul_f32_e32 v17, v34, v21
	v_fmac_f32_e32 v4, v17, v16
	s_andn2_b64 exec, exec, s[12:13]
	s_cbranch_execnz .LBB234_2
; %bb.3:
	s_or_b64 exec, exec, s[12:13]
.LBB234_4:
	s_or_b64 exec, exec, s[10:11]
	v_cmp_eq_u32_e32 vcc, 0, v1
	v_cmp_ne_u32_e64 s[0:1], 0, v1
	s_and_saveexec_b64 s[10:11], s[0:1]
	s_cbranch_execz .LBB234_6
; %bb.5:
	v_mul_u32_u24_e32 v1, 0x600, v1
	v_lshl_or_b32 v1, v0, 2, v1
	v_add_u32_e32 v1, 0xfffffa00, v1
	ds_write2st64_b32 v1, v9, v8 offset1:1
	ds_write2st64_b32 v1, v7, v6 offset0:2 offset1:3
	ds_write2st64_b32 v1, v5, v4 offset0:4 offset1:5
.LBB234_6:
	s_or_b64 exec, exec, s[10:11]
	s_waitcnt lgkmcnt(0)
	s_barrier
	s_and_saveexec_b64 s[0:1], vcc
	s_cbranch_execz .LBB234_13
; %bb.7:
	v_lshlrev_b32_e32 v3, 2, v0
	v_mbcnt_lo_u32_b32 v1, -1, 0
	v_mbcnt_hi_u32_b32 v13, -1, v1
	ds_read2st64_b32 v[11:12], v3 offset1:1
	v_and_b32_e32 v1, 64, v13
	v_add_u32_e32 v14, 64, v1
	v_xor_b32_e32 v1, 32, v13
	v_cmp_lt_i32_e32 vcc, v1, v14
	v_cndmask_b32_e32 v1, v13, v1, vcc
	v_lshlrev_b32_e32 v1, 2, v1
	s_waitcnt lgkmcnt(0)
	v_add_f32_e32 v9, v11, v9
	v_add_f32_e32 v12, v12, v8
	ds_bpermute_b32 v11, v1, v9
	ds_bpermute_b32 v16, v1, v12
	v_xor_b32_e32 v2, 16, v13
	v_cmp_lt_i32_e32 vcc, v2, v14
	v_cndmask_b32_e32 v2, v13, v2, vcc
	v_lshlrev_b32_e32 v2, 2, v2
	s_waitcnt lgkmcnt(1)
	v_add_f32_e32 v9, v9, v11
	s_waitcnt lgkmcnt(0)
	v_add_f32_e32 v12, v12, v16
	ds_bpermute_b32 v11, v2, v9
	ds_bpermute_b32 v16, v2, v12
	v_xor_b32_e32 v10, 8, v13
	v_cmp_lt_i32_e32 vcc, v10, v14
	v_cndmask_b32_e32 v10, v13, v10, vcc
	v_lshlrev_b32_e32 v10, 2, v10
	s_waitcnt lgkmcnt(1)
	v_add_f32_e32 v11, v9, v11
	s_waitcnt lgkmcnt(0)
	v_add_f32_e32 v12, v12, v16
	ds_bpermute_b32 v17, v10, v11
	ds_bpermute_b32 v16, v10, v12
	v_xor_b32_e32 v15, 4, v13
	v_cmp_lt_i32_e32 vcc, v15, v14
	v_cndmask_b32_e32 v15, v13, v15, vcc
	v_lshlrev_b32_e32 v8, 2, v15
	s_waitcnt lgkmcnt(1)
	v_add_f32_e32 v11, v11, v17
	s_waitcnt lgkmcnt(0)
	v_add_f32_e32 v12, v12, v16
	ds_bpermute_b32 v17, v8, v11
	ds_bpermute_b32 v16, v8, v12
	v_xor_b32_e32 v15, 2, v13
	v_cmp_lt_i32_e32 vcc, v15, v14
	v_cndmask_b32_e32 v15, v13, v15, vcc
	v_lshlrev_b32_e32 v9, 2, v15
	v_xor_b32_e32 v15, 1, v13
	v_cmp_lt_i32_e32 vcc, v15, v14
	s_waitcnt lgkmcnt(1)
	v_add_f32_e32 v11, v11, v17
	s_waitcnt lgkmcnt(0)
	v_add_f32_e32 v12, v12, v16
	v_cndmask_b32_e32 v13, v13, v15, vcc
	ds_bpermute_b32 v14, v9, v11
	ds_bpermute_b32 v15, v9, v12
	s_load_dwordx2 s[0:1], s[4:5], 0x38
	s_mul_i32 s4, s14, s7
	v_lshlrev_b32_e32 v13, 2, v13
	s_waitcnt lgkmcnt(0)
	v_add_f32_e32 v11, v11, v14
	v_add_f32_e32 v12, v12, v15
	s_mul_i32 s3, s18, s8
	s_add_i32 s4, s4, s6
	ds_bpermute_b32 v14, v13, v11
	ds_bpermute_b32 v15, v13, v12
	s_add_i32 s4, s4, s3
	s_mov_b32 s5, 0
	s_lshl_b64 s[4:5], s[4:5], 2
	s_add_u32 s4, s0, s4
	v_add_u32_e32 v16, s6, v0
	s_addc_u32 s5, s1, s5
	v_cmp_gt_u32_e32 vcc, 2, v0
	v_cmp_gt_u32_e64 s[0:1], s2, v16
	s_and_b64 s[0:1], vcc, s[0:1]
	s_waitcnt lgkmcnt(1)
	v_add_f32_e32 v11, v11, v14
	s_waitcnt lgkmcnt(0)
	v_add_f32_e32 v12, v12, v15
	s_and_saveexec_b64 s[6:7], s[0:1]
	s_cbranch_execz .LBB234_9
; %bb.8:
	v_cmp_eq_u32_e32 vcc, 1, v0
	v_cndmask_b32_e32 v14, v11, v12, vcc
	v_cmp_eq_u32_e32 vcc, 2, v0
	v_cndmask_b32_e32 v14, v14, v7, vcc
	;; [unrolled: 2-line block ×5, first 2 shown]
	global_store_dword v3, v14, s[4:5]
.LBB234_9:
	s_or_b64 exec, exec, s[6:7]
	ds_read2st64_b32 v[14:15], v3 offset0:2 offset1:3
	s_waitcnt lgkmcnt(0)
	v_add_f32_e32 v7, v14, v7
	v_add_f32_e32 v6, v15, v6
	ds_bpermute_b32 v14, v1, v7
	ds_bpermute_b32 v15, v1, v6
	s_waitcnt lgkmcnt(1)
	v_add_f32_e32 v7, v7, v14
	s_waitcnt lgkmcnt(0)
	v_add_f32_e32 v6, v6, v15
	ds_bpermute_b32 v14, v2, v7
	ds_bpermute_b32 v15, v2, v6
	s_waitcnt lgkmcnt(1)
	v_add_f32_e32 v7, v7, v14
	s_waitcnt lgkmcnt(0)
	v_add_f32_e32 v6, v6, v15
	ds_bpermute_b32 v14, v10, v7
	ds_bpermute_b32 v15, v10, v6
	s_waitcnt lgkmcnt(1)
	v_add_f32_e32 v7, v7, v14
	s_waitcnt lgkmcnt(0)
	v_add_f32_e32 v6, v6, v15
	ds_bpermute_b32 v14, v8, v7
	ds_bpermute_b32 v15, v8, v6
	s_waitcnt lgkmcnt(1)
	v_add_f32_e32 v7, v7, v14
	s_waitcnt lgkmcnt(0)
	v_add_f32_e32 v6, v6, v15
	ds_bpermute_b32 v14, v9, v7
	ds_bpermute_b32 v15, v9, v6
	s_waitcnt lgkmcnt(1)
	v_add_f32_e32 v7, v7, v14
	s_waitcnt lgkmcnt(0)
	v_add_f32_e32 v6, v6, v15
	ds_bpermute_b32 v14, v13, v7
	ds_bpermute_b32 v15, v13, v6
	s_waitcnt lgkmcnt(1)
	v_add_f32_e32 v7, v7, v14
	s_waitcnt lgkmcnt(0)
	v_add_f32_e32 v6, v6, v15
	s_and_saveexec_b64 s[6:7], s[0:1]
	s_cbranch_execz .LBB234_11
; %bb.10:
	v_add_u32_e32 v14, 2, v0
	v_cmp_eq_u32_e32 vcc, 1, v14
	v_cndmask_b32_e32 v15, v11, v12, vcc
	v_cmp_eq_u32_e32 vcc, 2, v14
	v_cndmask_b32_e32 v15, v15, v7, vcc
	;; [unrolled: 2-line block ×5, first 2 shown]
	v_add_u32_e32 v14, s2, v0
	v_mov_b32_e32 v15, 0
	v_lshlrev_b64 v[14:15], 2, v[14:15]
	v_mov_b32_e32 v17, s5
	v_add_co_u32_e32 v14, vcc, s4, v14
	v_addc_co_u32_e32 v15, vcc, v17, v15, vcc
	global_store_dword v[14:15], v16, off
.LBB234_11:
	s_or_b64 exec, exec, s[6:7]
	ds_read2st64_b32 v[14:15], v3 offset0:4 offset1:5
	s_waitcnt lgkmcnt(0)
	v_add_f32_e32 v3, v14, v5
	v_add_f32_e32 v4, v15, v4
	ds_bpermute_b32 v5, v1, v3
	ds_bpermute_b32 v1, v1, v4
	s_waitcnt lgkmcnt(1)
	v_add_f32_e32 v3, v3, v5
	s_waitcnt lgkmcnt(0)
	v_add_f32_e32 v1, v4, v1
	ds_bpermute_b32 v4, v2, v3
	ds_bpermute_b32 v2, v2, v1
	s_waitcnt lgkmcnt(1)
	v_add_f32_e32 v3, v3, v4
	s_waitcnt lgkmcnt(0)
	;; [unrolled: 6-line block ×5, first 2 shown]
	v_add_f32_e32 v2, v3, v4
	ds_bpermute_b32 v3, v13, v1
	ds_bpermute_b32 v4, v13, v2
	s_and_b64 exec, exec, s[0:1]
	s_cbranch_execz .LBB234_13
; %bb.12:
	s_waitcnt lgkmcnt(1)
	v_add_f32_e32 v1, v1, v3
	v_add_u32_e32 v3, 4, v0
	v_cmp_eq_u32_e32 vcc, 1, v3
	s_waitcnt lgkmcnt(0)
	v_add_f32_e32 v2, v2, v4
	v_cndmask_b32_e32 v4, v11, v12, vcc
	v_cmp_eq_u32_e32 vcc, 2, v3
	v_cndmask_b32_e32 v4, v4, v7, vcc
	v_cmp_eq_u32_e32 vcc, 3, v3
	;; [unrolled: 2-line block ×4, first 2 shown]
	v_cndmask_b32_e32 v2, v1, v2, vcc
	v_lshl_or_b32 v0, s2, 1, v0
	v_mov_b32_e32 v1, 0
	v_lshlrev_b64 v[0:1], 2, v[0:1]
	v_mov_b32_e32 v3, s5
	v_add_co_u32_e32 v0, vcc, s4, v0
	v_addc_co_u32_e32 v1, vcc, v3, v1, vcc
	global_store_dword v[0:1], v2, off
.LBB234_13:
	s_endpgm
	.section	.rodata,"a",@progbits
	.p2align	6, 0x0
	.amdhsa_kernel _ZL13mul_mat_vec_qIL9ggml_type20ELi3ELb0ELb0EEvPKvS2_PKi31ggml_cuda_mm_fusion_args_devicePfj15HIP_vector_typeIjLj3EEjjjS8_jjjS8_jjjj
		.amdhsa_group_segment_fixed_size 1536
		.amdhsa_private_segment_fixed_size 0
		.amdhsa_kernarg_size 144
		.amdhsa_user_sgpr_count 6
		.amdhsa_user_sgpr_private_segment_buffer 1
		.amdhsa_user_sgpr_dispatch_ptr 0
		.amdhsa_user_sgpr_queue_ptr 0
		.amdhsa_user_sgpr_kernarg_segment_ptr 1
		.amdhsa_user_sgpr_dispatch_id 0
		.amdhsa_user_sgpr_flat_scratch_init 0
		.amdhsa_user_sgpr_private_segment_size 0
		.amdhsa_uses_dynamic_stack 0
		.amdhsa_system_sgpr_private_segment_wavefront_offset 0
		.amdhsa_system_sgpr_workgroup_id_x 1
		.amdhsa_system_sgpr_workgroup_id_y 1
		.amdhsa_system_sgpr_workgroup_id_z 1
		.amdhsa_system_sgpr_workgroup_info 0
		.amdhsa_system_vgpr_workitem_id 1
		.amdhsa_next_free_vgpr 35
		.amdhsa_next_free_sgpr 26
		.amdhsa_reserve_vcc 1
		.amdhsa_reserve_flat_scratch 0
		.amdhsa_float_round_mode_32 0
		.amdhsa_float_round_mode_16_64 0
		.amdhsa_float_denorm_mode_32 3
		.amdhsa_float_denorm_mode_16_64 3
		.amdhsa_dx10_clamp 1
		.amdhsa_ieee_mode 1
		.amdhsa_fp16_overflow 0
		.amdhsa_exception_fp_ieee_invalid_op 0
		.amdhsa_exception_fp_denorm_src 0
		.amdhsa_exception_fp_ieee_div_zero 0
		.amdhsa_exception_fp_ieee_overflow 0
		.amdhsa_exception_fp_ieee_underflow 0
		.amdhsa_exception_fp_ieee_inexact 0
		.amdhsa_exception_int_div_zero 0
	.end_amdhsa_kernel
	.section	.text._ZL13mul_mat_vec_qIL9ggml_type20ELi3ELb0ELb0EEvPKvS2_PKi31ggml_cuda_mm_fusion_args_devicePfj15HIP_vector_typeIjLj3EEjjjS8_jjjS8_jjjj,"axG",@progbits,_ZL13mul_mat_vec_qIL9ggml_type20ELi3ELb0ELb0EEvPKvS2_PKi31ggml_cuda_mm_fusion_args_devicePfj15HIP_vector_typeIjLj3EEjjjS8_jjjS8_jjjj,comdat
.Lfunc_end234:
	.size	_ZL13mul_mat_vec_qIL9ggml_type20ELi3ELb0ELb0EEvPKvS2_PKi31ggml_cuda_mm_fusion_args_devicePfj15HIP_vector_typeIjLj3EEjjjS8_jjjS8_jjjj, .Lfunc_end234-_ZL13mul_mat_vec_qIL9ggml_type20ELi3ELb0ELb0EEvPKvS2_PKi31ggml_cuda_mm_fusion_args_devicePfj15HIP_vector_typeIjLj3EEjjjS8_jjjS8_jjjj
                                        ; -- End function
	.set _ZL13mul_mat_vec_qIL9ggml_type20ELi3ELb0ELb0EEvPKvS2_PKi31ggml_cuda_mm_fusion_args_devicePfj15HIP_vector_typeIjLj3EEjjjS8_jjjS8_jjjj.num_vgpr, 35
	.set _ZL13mul_mat_vec_qIL9ggml_type20ELi3ELb0ELb0EEvPKvS2_PKi31ggml_cuda_mm_fusion_args_devicePfj15HIP_vector_typeIjLj3EEjjjS8_jjjS8_jjjj.num_agpr, 0
	.set _ZL13mul_mat_vec_qIL9ggml_type20ELi3ELb0ELb0EEvPKvS2_PKi31ggml_cuda_mm_fusion_args_devicePfj15HIP_vector_typeIjLj3EEjjjS8_jjjS8_jjjj.numbered_sgpr, 26
	.set _ZL13mul_mat_vec_qIL9ggml_type20ELi3ELb0ELb0EEvPKvS2_PKi31ggml_cuda_mm_fusion_args_devicePfj15HIP_vector_typeIjLj3EEjjjS8_jjjS8_jjjj.num_named_barrier, 0
	.set _ZL13mul_mat_vec_qIL9ggml_type20ELi3ELb0ELb0EEvPKvS2_PKi31ggml_cuda_mm_fusion_args_devicePfj15HIP_vector_typeIjLj3EEjjjS8_jjjS8_jjjj.private_seg_size, 0
	.set _ZL13mul_mat_vec_qIL9ggml_type20ELi3ELb0ELb0EEvPKvS2_PKi31ggml_cuda_mm_fusion_args_devicePfj15HIP_vector_typeIjLj3EEjjjS8_jjjS8_jjjj.uses_vcc, 1
	.set _ZL13mul_mat_vec_qIL9ggml_type20ELi3ELb0ELb0EEvPKvS2_PKi31ggml_cuda_mm_fusion_args_devicePfj15HIP_vector_typeIjLj3EEjjjS8_jjjS8_jjjj.uses_flat_scratch, 0
	.set _ZL13mul_mat_vec_qIL9ggml_type20ELi3ELb0ELb0EEvPKvS2_PKi31ggml_cuda_mm_fusion_args_devicePfj15HIP_vector_typeIjLj3EEjjjS8_jjjS8_jjjj.has_dyn_sized_stack, 0
	.set _ZL13mul_mat_vec_qIL9ggml_type20ELi3ELb0ELb0EEvPKvS2_PKi31ggml_cuda_mm_fusion_args_devicePfj15HIP_vector_typeIjLj3EEjjjS8_jjjS8_jjjj.has_recursion, 0
	.set _ZL13mul_mat_vec_qIL9ggml_type20ELi3ELb0ELb0EEvPKvS2_PKi31ggml_cuda_mm_fusion_args_devicePfj15HIP_vector_typeIjLj3EEjjjS8_jjjS8_jjjj.has_indirect_call, 0
	.section	.AMDGPU.csdata,"",@progbits
; Kernel info:
; codeLenInByte = 2464
; TotalNumSgprs: 30
; NumVgprs: 35
; ScratchSize: 0
; MemoryBound: 0
; FloatMode: 240
; IeeeMode: 1
; LDSByteSize: 1536 bytes/workgroup (compile time only)
; SGPRBlocks: 3
; VGPRBlocks: 8
; NumSGPRsForWavesPerEU: 30
; NumVGPRsForWavesPerEU: 35
; Occupancy: 7
; WaveLimiterHint : 0
; COMPUTE_PGM_RSRC2:SCRATCH_EN: 0
; COMPUTE_PGM_RSRC2:USER_SGPR: 6
; COMPUTE_PGM_RSRC2:TRAP_HANDLER: 0
; COMPUTE_PGM_RSRC2:TGID_X_EN: 1
; COMPUTE_PGM_RSRC2:TGID_Y_EN: 1
; COMPUTE_PGM_RSRC2:TGID_Z_EN: 1
; COMPUTE_PGM_RSRC2:TIDIG_COMP_CNT: 1
	.section	.text._ZL13mul_mat_vec_qIL9ggml_type20ELi4ELb0ELb0EEvPKvS2_PKi31ggml_cuda_mm_fusion_args_devicePfj15HIP_vector_typeIjLj3EEjjjS8_jjjS8_jjjj,"axG",@progbits,_ZL13mul_mat_vec_qIL9ggml_type20ELi4ELb0ELb0EEvPKvS2_PKi31ggml_cuda_mm_fusion_args_devicePfj15HIP_vector_typeIjLj3EEjjjS8_jjjS8_jjjj,comdat
	.globl	_ZL13mul_mat_vec_qIL9ggml_type20ELi4ELb0ELb0EEvPKvS2_PKi31ggml_cuda_mm_fusion_args_devicePfj15HIP_vector_typeIjLj3EEjjjS8_jjjS8_jjjj ; -- Begin function _ZL13mul_mat_vec_qIL9ggml_type20ELi4ELb0ELb0EEvPKvS2_PKi31ggml_cuda_mm_fusion_args_devicePfj15HIP_vector_typeIjLj3EEjjjS8_jjjS8_jjjj
	.p2align	8
	.type	_ZL13mul_mat_vec_qIL9ggml_type20ELi4ELb0ELb0EEvPKvS2_PKi31ggml_cuda_mm_fusion_args_devicePfj15HIP_vector_typeIjLj3EEjjjS8_jjjS8_jjjj,@function
_ZL13mul_mat_vec_qIL9ggml_type20ELi4ELb0ELb0EEvPKvS2_PKi31ggml_cuda_mm_fusion_args_devicePfj15HIP_vector_typeIjLj3EEjjjS8_jjjS8_jjjj: ; @_ZL13mul_mat_vec_qIL9ggml_type20ELi4ELb0ELb0EEvPKvS2_PKi31ggml_cuda_mm_fusion_args_devicePfj15HIP_vector_typeIjLj3EEjjjS8_jjjS8_jjjj
; %bb.0:
	v_lshlrev_b32_e32 v2, 6, v1
	s_load_dword s9, s[4:5], 0x40
	s_load_dwordx4 s[0:3], s[4:5], 0x50
	s_load_dword s25, s[4:5], 0x60
	s_load_dwordx4 s[12:15], s[4:5], 0x68
	;; [unrolled: 2-line block ×3, first 2 shown]
	v_add_u16_e32 v2, v2, v0
	s_waitcnt lgkmcnt(0)
	s_lshr_b32 s9, s9, 5
	v_lshrrev_b16_e32 v12, 1, v2
	v_mov_b32_e32 v6, 0
	s_lshl_b32 s6, s6, 1
	v_cmp_gt_u32_e32 vcc, s9, v12
	v_mov_b32_e32 v7, v6
	v_mov_b32_e32 v8, v6
	;; [unrolled: 1-line block ×7, first 2 shown]
	s_and_saveexec_b64 s[10:11], vcc
	s_cbranch_execz .LBB235_4
; %bb.1:
	s_load_dwordx4 s[20:23], s[4:5], 0x0
	s_mul_i32 s17, s17, s8
	s_mul_hi_u32 s19, s17, 36
	s_mul_i32 s17, s17, 36
	s_mul_i32 s13, s13, s7
	s_waitcnt lgkmcnt(0)
	s_add_u32 s17, s22, s17
	s_addc_u32 s19, s23, s19
	s_mul_hi_u32 s23, s13, 36
	s_mul_i32 s13, s13, 36
	s_add_u32 s22, s17, s13
	s_mul_hi_u32 s3, s3, s7
	s_addc_u32 s23, s19, s23
	s_add_i32 s3, s7, s3
	s_lshr_b32 s3, s3, s25
	s_mul_i32 s3, s3, s12
	s_mul_hi_u32 s12, s15, s8
	s_add_i32 s12, s8, s12
	s_lshr_b32 s12, s12, s24
	s_mul_i32 s12, s12, s16
	v_lshlrev_b32_e32 v3, 1, v0
	s_add_i32 s13, s6, 1
	v_and_b32_e32 v5, 2, v3
	s_add_i32 s12, s12, s3
	s_mul_i32 s3, s6, s0
	s_mul_i32 s0, s0, s13
	v_and_b32_e32 v3, 1, v0
	v_lshrrev_b16_e32 v2, 1, v2
	s_add_i32 s3, s12, s3
	s_add_i32 s0, s12, s0
	v_lshlrev_b32_e32 v13, 3, v3
	v_mad_u64_u32 v[2:3], s[12:13], v2, 36, s[22:23]
	v_mov_b32_e32 v4, 0
	v_lshlrev_b32_e32 v6, 1, v5
	s_lshl_b32 s15, s1, 1
	s_mul_i32 s16, s1, 3
	s_mov_b64 s[12:13], 0
	v_lshlrev_b32_e32 v14, 1, v6
	s_mov_b32 s17, 0xf6eaddcf
	v_mov_b32_e32 v15, 0xbfad9881
	s_mov_b32 s19, 0x71594535
	v_mov_b32_e32 v16, 0x26190d01
	v_lshlrev_b32_e32 v17, 2, v5
	v_mov_b32_e32 v5, v4
	v_mov_b32_e32 v6, v4
	;; [unrolled: 1-line block ×7, first 2 shown]
.LBB235_2:                              ; =>This Inner Loop Header: Depth=1
	v_add_u32_e32 v20, s3, v12
	v_mad_i64_i32 v[22:23], s[24:25], v20, 18, s[20:21]
	v_add_co_u32_e32 v18, vcc, v2, v13
	v_addc_co_u32_e32 v19, vcc, 0, v3, vcc
	global_load_dwordx2 v[27:28], v[18:19], off offset:4
	global_load_dwordx2 v[29:30], v[18:19], off offset:20
	global_load_dword v21, v[2:3], off
	v_add_co_u32_e32 v18, vcc, v22, v14
	v_addc_co_u32_e32 v19, vcc, 0, v23, vcc
	global_load_dwordx2 v[19:20], v[18:19], off offset:2
	s_waitcnt vmcnt(1)
	v_cvt_f32_f16_e32 v33, v21
	global_load_ushort v22, v[22:23], off
	s_waitcnt vmcnt(1)
	v_ashrrev_i32_e32 v21, 4, v19
	v_and_b32_e32 v18, 0x7070707, v19
	v_lshrrev_b32_e32 v19, 1, v19
	v_and_b32_e32 v19, 0x4040404, v19
	v_perm_b32 v24, s17, v15, v18
	v_perm_b32 v18, s19, v16, v18
	v_or_b32_e32 v19, 0x3020100, v19
	v_perm_b32 v18, v18, v24, v19
	v_lshrrev_b32_e32 v19, 1, v21
	v_and_b32_e32 v25, 0x7070707, v21
	v_and_b32_e32 v19, 0x4040404, v19
	v_perm_b32 v26, s17, v15, v25
	v_perm_b32 v25, s19, v16, v25
	v_or_b32_e32 v19, 0x3020100, v19
	v_perm_b32 v19, v25, v26, v19
	v_dot4_i32_i8 v21, v18, v27, 0
	v_dot4_i32_i8 v24, v19, v29, v21
	v_ashrrev_i32_e32 v21, 4, v20
	v_and_b32_e32 v25, 0x7070707, v20
	v_lshrrev_b32_e32 v20, 1, v20
	v_and_b32_e32 v31, 0x7070707, v21
	v_and_b32_e32 v20, 0x4040404, v20
	v_lshrrev_b32_e32 v21, 1, v21
	v_perm_b32 v26, s17, v15, v25
	v_perm_b32 v25, s19, v16, v25
	v_or_b32_e32 v20, 0x3020100, v20
	v_and_b32_e32 v21, 0x4040404, v21
	v_perm_b32 v32, s17, v15, v31
	v_perm_b32 v31, s19, v16, v31
	v_perm_b32 v20, v25, v26, v20
	v_or_b32_e32 v21, 0x3020100, v21
	v_perm_b32 v21, v31, v32, v21
	v_dot4_i32_i8 v24, v20, v28, v24
	v_dot4_i32_i8 v24, v21, v30, v24
	v_cvt_f32_i32_e32 v24, v24
	s_waitcnt vmcnt(0)
	v_cvt_f32_f16_e32 v22, v22
	v_mul_f32_e32 v23, v22, v33
	v_fmac_f32_e32 v11, v23, v24
	v_add_u32_e32 v23, s0, v12
	v_mad_i64_i32 v[31:32], s[24:25], v23, 18, s[20:21]
	v_add_co_u32_e32 v23, vcc, v31, v14
	v_addc_co_u32_e32 v24, vcc, 0, v32, vcc
	global_load_dwordx2 v[25:26], v[23:24], off offset:2
	s_waitcnt vmcnt(0)
	v_ashrrev_i32_e32 v23, 4, v25
	v_and_b32_e32 v24, 0x7070707, v25
	v_lshrrev_b32_e32 v25, 1, v25
	v_and_b32_e32 v35, 0x7070707, v23
	v_and_b32_e32 v25, 0x4040404, v25
	v_lshrrev_b32_e32 v23, 1, v23
	v_perm_b32 v34, s17, v15, v24
	v_perm_b32 v24, s19, v16, v24
	v_or_b32_e32 v25, 0x3020100, v25
	v_and_b32_e32 v23, 0x4040404, v23
	v_perm_b32 v36, s17, v15, v35
	v_perm_b32 v35, s19, v16, v35
	;; [unrolled: 1-line block ×3, first 2 shown]
	v_or_b32_e32 v23, 0x3020100, v23
	v_perm_b32 v25, v35, v36, v23
	v_dot4_i32_i8 v23, v24, v27, 0
	v_dot4_i32_i8 v23, v25, v29, v23
	v_ashrrev_i32_e32 v27, 4, v26
	v_and_b32_e32 v29, 0x7070707, v26
	v_lshrrev_b32_e32 v26, 1, v26
	v_and_b32_e32 v35, 0x7070707, v27
	v_and_b32_e32 v26, 0x4040404, v26
	v_lshrrev_b32_e32 v27, 1, v27
	v_perm_b32 v34, s17, v15, v29
	v_perm_b32 v29, s19, v16, v29
	v_or_b32_e32 v26, 0x3020100, v26
	v_and_b32_e32 v27, 0x4040404, v27
	v_perm_b32 v36, s17, v15, v35
	v_perm_b32 v35, s19, v16, v35
	;; [unrolled: 1-line block ×3, first 2 shown]
	v_or_b32_e32 v27, 0x3020100, v27
	v_perm_b32 v27, v35, v36, v27
	v_dot4_i32_i8 v23, v26, v28, v23
	v_dot4_i32_i8 v28, v27, v30, v23
	global_load_ushort v23, v[31:32], off
	v_cvt_f32_i32_e32 v28, v28
	s_waitcnt vmcnt(0)
	v_cvt_f32_f16_e32 v23, v23
	v_mul_f32_e32 v29, v23, v33
	v_fmac_f32_e32 v10, v29, v28
	v_add_u32_e32 v28, s1, v12
	v_mad_u64_u32 v[28:29], s[24:25], v28, 36, s[22:23]
	v_add_co_u32_e32 v30, vcc, v28, v17
	v_addc_co_u32_e32 v31, vcc, 0, v29, vcc
	global_load_dwordx2 v[32:33], v[30:31], off offset:4
	global_load_dwordx2 v[34:35], v[30:31], off offset:20
	global_load_dword v36, v[28:29], off
	s_waitcnt vmcnt(2)
	v_dot4_i32_i8 v29, v18, v32, 0
	s_waitcnt vmcnt(1)
	v_dot4_i32_i8 v29, v19, v34, v29
	v_dot4_i32_i8 v29, v20, v33, v29
	s_waitcnt vmcnt(0)
	v_cvt_f32_f16_e32 v28, v36
	v_dot4_i32_i8 v29, v21, v35, v29
	v_cvt_f32_i32_e32 v29, v29
	v_mul_f32_e32 v30, v22, v28
	v_mul_f32_e32 v28, v23, v28
	v_fmac_f32_e32 v9, v30, v29
	v_dot4_i32_i8 v29, v24, v32, 0
	v_dot4_i32_i8 v29, v25, v34, v29
	;; [unrolled: 1-line block ×4, first 2 shown]
	v_cvt_f32_i32_e32 v29, v29
	v_fmac_f32_e32 v8, v28, v29
	v_add_u32_e32 v28, s15, v12
	v_mad_u64_u32 v[28:29], s[24:25], v28, 36, s[22:23]
	v_add_co_u32_e32 v30, vcc, v28, v17
	v_addc_co_u32_e32 v31, vcc, 0, v29, vcc
	global_load_dwordx2 v[32:33], v[30:31], off offset:4
	global_load_dwordx2 v[34:35], v[30:31], off offset:20
	global_load_dword v36, v[28:29], off
	s_waitcnt vmcnt(2)
	v_dot4_i32_i8 v29, v18, v32, 0
	s_waitcnt vmcnt(1)
	v_dot4_i32_i8 v29, v19, v34, v29
	v_dot4_i32_i8 v29, v20, v33, v29
	s_waitcnt vmcnt(0)
	v_cvt_f32_f16_e32 v28, v36
	v_dot4_i32_i8 v29, v21, v35, v29
	v_cvt_f32_i32_e32 v29, v29
	v_mul_f32_e32 v30, v22, v28
	v_mul_f32_e32 v28, v23, v28
	v_fmac_f32_e32 v7, v30, v29
	v_dot4_i32_i8 v29, v24, v32, 0
	v_dot4_i32_i8 v29, v25, v34, v29
	;; [unrolled: 1-line block ×4, first 2 shown]
	v_cvt_f32_i32_e32 v29, v29
	v_fmac_f32_e32 v6, v28, v29
	v_add_u32_e32 v28, s16, v12
	v_mad_u64_u32 v[28:29], s[24:25], v28, 36, s[22:23]
	v_add_u32_e32 v12, 64, v12
	v_add_co_u32_e32 v30, vcc, v28, v17
	v_addc_co_u32_e32 v31, vcc, 0, v29, vcc
	global_load_dwordx2 v[32:33], v[30:31], off offset:4
	global_load_dwordx2 v[34:35], v[30:31], off offset:20
	global_load_dword v36, v[28:29], off
	v_add_co_u32_e32 v2, vcc, 0x900, v2
	v_addc_co_u32_e32 v3, vcc, 0, v3, vcc
	v_cmp_le_u32_e32 vcc, s9, v12
	s_or_b64 s[12:13], vcc, s[12:13]
	s_waitcnt vmcnt(2)
	v_dot4_i32_i8 v18, v18, v32, 0
	s_waitcnt vmcnt(1)
	v_dot4_i32_i8 v18, v19, v34, v18
	v_dot4_i32_i8 v18, v20, v33, v18
	s_waitcnt vmcnt(0)
	v_cvt_f32_f16_e32 v28, v36
	v_dot4_i32_i8 v18, v21, v35, v18
	v_cvt_f32_i32_e32 v18, v18
	v_mul_f32_e32 v19, v22, v28
	v_fmac_f32_e32 v5, v19, v18
	v_dot4_i32_i8 v18, v24, v32, 0
	v_dot4_i32_i8 v18, v25, v34, v18
	;; [unrolled: 1-line block ×4, first 2 shown]
	v_cvt_f32_i32_e32 v18, v18
	v_mul_f32_e32 v19, v23, v28
	v_fmac_f32_e32 v4, v19, v18
	s_andn2_b64 exec, exec, s[12:13]
	s_cbranch_execnz .LBB235_2
; %bb.3:
	s_or_b64 exec, exec, s[12:13]
.LBB235_4:
	s_or_b64 exec, exec, s[10:11]
	v_cmp_eq_u32_e32 vcc, 0, v1
	v_cmp_ne_u32_e64 s[0:1], 0, v1
	v_lshlrev_b32_e32 v2, 2, v0
	s_and_saveexec_b64 s[10:11], s[0:1]
	s_cbranch_execz .LBB235_6
; %bb.5:
	v_lshl_or_b32 v1, v1, 11, v2
	v_add_u32_e32 v1, 0xfffff800, v1
	ds_write2st64_b32 v1, v11, v10 offset1:1
	ds_write2st64_b32 v1, v9, v8 offset0:2 offset1:3
	ds_write2st64_b32 v1, v7, v6 offset0:4 offset1:5
	;; [unrolled: 1-line block ×3, first 2 shown]
.LBB235_6:
	s_or_b64 exec, exec, s[10:11]
	s_waitcnt lgkmcnt(0)
	s_barrier
	s_and_saveexec_b64 s[0:1], vcc
	s_cbranch_execz .LBB235_15
; %bb.7:
	v_mbcnt_lo_u32_b32 v1, -1, 0
	v_mbcnt_hi_u32_b32 v15, -1, v1
	ds_read2st64_b32 v[13:14], v2 offset1:1
	v_and_b32_e32 v1, 64, v15
	v_add_u32_e32 v16, 64, v1
	v_xor_b32_e32 v1, 32, v15
	v_cmp_lt_i32_e32 vcc, v1, v16
	v_cndmask_b32_e32 v1, v15, v1, vcc
	v_lshlrev_b32_e32 v1, 2, v1
	s_waitcnt lgkmcnt(0)
	v_add_f32_e32 v11, v13, v11
	v_add_f32_e32 v14, v14, v10
	ds_bpermute_b32 v13, v1, v11
	ds_bpermute_b32 v18, v1, v14
	v_xor_b32_e32 v3, 16, v15
	v_cmp_lt_i32_e32 vcc, v3, v16
	v_cndmask_b32_e32 v3, v15, v3, vcc
	v_lshlrev_b32_e32 v3, 2, v3
	s_waitcnt lgkmcnt(1)
	v_add_f32_e32 v11, v11, v13
	s_waitcnt lgkmcnt(0)
	v_add_f32_e32 v14, v14, v18
	ds_bpermute_b32 v13, v3, v11
	ds_bpermute_b32 v18, v3, v14
	v_xor_b32_e32 v12, 8, v15
	v_cmp_lt_i32_e32 vcc, v12, v16
	v_cndmask_b32_e32 v12, v15, v12, vcc
	v_lshlrev_b32_e32 v12, 2, v12
	s_waitcnt lgkmcnt(1)
	v_add_f32_e32 v13, v11, v13
	s_waitcnt lgkmcnt(0)
	;; [unrolled: 10-line block ×3, first 2 shown]
	v_add_f32_e32 v14, v14, v18
	ds_bpermute_b32 v19, v10, v13
	ds_bpermute_b32 v18, v10, v14
	v_xor_b32_e32 v17, 2, v15
	v_cmp_lt_i32_e32 vcc, v17, v16
	v_cndmask_b32_e32 v17, v15, v17, vcc
	v_lshlrev_b32_e32 v11, 2, v17
	v_xor_b32_e32 v17, 1, v15
	v_cmp_lt_i32_e32 vcc, v17, v16
	s_waitcnt lgkmcnt(1)
	v_add_f32_e32 v13, v13, v19
	s_waitcnt lgkmcnt(0)
	v_add_f32_e32 v14, v14, v18
	v_cndmask_b32_e32 v15, v15, v17, vcc
	ds_bpermute_b32 v16, v11, v13
	ds_bpermute_b32 v17, v11, v14
	s_load_dwordx2 s[0:1], s[4:5], 0x38
	s_mul_i32 s4, s14, s7
	v_lshlrev_b32_e32 v15, 2, v15
	s_waitcnt lgkmcnt(0)
	v_add_f32_e32 v13, v13, v16
	v_add_f32_e32 v14, v14, v17
	s_mul_i32 s3, s18, s8
	s_add_i32 s4, s4, s6
	ds_bpermute_b32 v16, v15, v13
	ds_bpermute_b32 v17, v15, v14
	s_add_i32 s4, s4, s3
	s_mov_b32 s5, 0
	s_lshl_b64 s[4:5], s[4:5], 2
	s_add_u32 s4, s0, s4
	v_add_u32_e32 v18, s6, v0
	s_addc_u32 s5, s1, s5
	v_cmp_gt_u32_e32 vcc, 2, v0
	v_cmp_gt_u32_e64 s[0:1], s2, v18
	s_and_b64 s[0:1], vcc, s[0:1]
	s_waitcnt lgkmcnt(1)
	v_add_f32_e32 v13, v13, v16
	s_waitcnt lgkmcnt(0)
	v_add_f32_e32 v14, v14, v17
	s_and_saveexec_b64 s[6:7], s[0:1]
	s_cbranch_execz .LBB235_9
; %bb.8:
	v_cmp_eq_u32_e32 vcc, 1, v0
	v_cndmask_b32_e32 v16, v13, v14, vcc
	v_cmp_eq_u32_e32 vcc, 2, v0
	v_cndmask_b32_e32 v16, v16, v9, vcc
	;; [unrolled: 2-line block ×7, first 2 shown]
	global_store_dword v2, v16, s[4:5]
.LBB235_9:
	s_or_b64 exec, exec, s[6:7]
	ds_read2st64_b32 v[16:17], v2 offset0:2 offset1:3
	s_waitcnt lgkmcnt(0)
	v_add_f32_e32 v9, v16, v9
	v_add_f32_e32 v8, v17, v8
	ds_bpermute_b32 v16, v1, v9
	ds_bpermute_b32 v17, v1, v8
	s_waitcnt lgkmcnt(1)
	v_add_f32_e32 v9, v9, v16
	s_waitcnt lgkmcnt(0)
	v_add_f32_e32 v8, v8, v17
	ds_bpermute_b32 v16, v3, v9
	ds_bpermute_b32 v17, v3, v8
	s_waitcnt lgkmcnt(1)
	v_add_f32_e32 v9, v9, v16
	s_waitcnt lgkmcnt(0)
	;; [unrolled: 6-line block ×6, first 2 shown]
	v_add_f32_e32 v8, v8, v17
	s_and_saveexec_b64 s[6:7], s[0:1]
	s_cbranch_execz .LBB235_11
; %bb.10:
	v_add_u32_e32 v16, 2, v0
	v_cmp_eq_u32_e32 vcc, 1, v16
	v_cndmask_b32_e32 v17, v13, v14, vcc
	v_cmp_eq_u32_e32 vcc, 2, v16
	v_cndmask_b32_e32 v17, v17, v9, vcc
	v_cmp_eq_u32_e32 vcc, 3, v16
	v_cndmask_b32_e32 v17, v17, v8, vcc
	v_cmp_eq_u32_e32 vcc, 4, v16
	v_cndmask_b32_e32 v17, v17, v7, vcc
	v_cmp_eq_u32_e32 vcc, 5, v16
	v_cndmask_b32_e32 v17, v17, v6, vcc
	v_cmp_eq_u32_e32 vcc, 6, v16
	v_cndmask_b32_e32 v17, v17, v5, vcc
	v_cmp_eq_u32_e32 vcc, 7, v16
	v_cndmask_b32_e32 v18, v17, v4, vcc
	v_add_u32_e32 v16, s2, v0
	v_mov_b32_e32 v17, 0
	v_lshlrev_b64 v[16:17], 2, v[16:17]
	v_mov_b32_e32 v19, s5
	v_add_co_u32_e32 v16, vcc, s4, v16
	v_addc_co_u32_e32 v17, vcc, v19, v17, vcc
	global_store_dword v[16:17], v18, off
.LBB235_11:
	s_or_b64 exec, exec, s[6:7]
	ds_read2st64_b32 v[16:17], v2 offset0:4 offset1:5
	s_waitcnt lgkmcnt(0)
	v_add_f32_e32 v7, v16, v7
	v_add_f32_e32 v6, v17, v6
	ds_bpermute_b32 v16, v1, v7
	ds_bpermute_b32 v17, v1, v6
	s_waitcnt lgkmcnt(1)
	v_add_f32_e32 v7, v7, v16
	s_waitcnt lgkmcnt(0)
	v_add_f32_e32 v6, v6, v17
	ds_bpermute_b32 v16, v3, v7
	ds_bpermute_b32 v17, v3, v6
	s_waitcnt lgkmcnt(1)
	v_add_f32_e32 v7, v7, v16
	s_waitcnt lgkmcnt(0)
	;; [unrolled: 6-line block ×6, first 2 shown]
	v_add_f32_e32 v6, v6, v17
	s_and_saveexec_b64 s[6:7], s[0:1]
	s_cbranch_execz .LBB235_13
; %bb.12:
	v_add_u32_e32 v16, 4, v0
	v_cmp_eq_u32_e32 vcc, 1, v16
	v_cndmask_b32_e32 v17, v13, v14, vcc
	v_cmp_eq_u32_e32 vcc, 2, v16
	v_cndmask_b32_e32 v17, v17, v9, vcc
	;; [unrolled: 2-line block ×7, first 2 shown]
	v_lshl_or_b32 v16, s2, 1, v0
	v_mov_b32_e32 v17, 0
	v_lshlrev_b64 v[16:17], 2, v[16:17]
	v_mov_b32_e32 v19, s5
	v_add_co_u32_e32 v16, vcc, s4, v16
	v_addc_co_u32_e32 v17, vcc, v19, v17, vcc
	global_store_dword v[16:17], v18, off
.LBB235_13:
	s_or_b64 exec, exec, s[6:7]
	ds_read2st64_b32 v[16:17], v2 offset0:6 offset1:7
	s_waitcnt lgkmcnt(0)
	v_add_f32_e32 v2, v16, v5
	v_add_f32_e32 v4, v17, v4
	ds_bpermute_b32 v5, v1, v2
	ds_bpermute_b32 v1, v1, v4
	s_waitcnt lgkmcnt(1)
	v_add_f32_e32 v2, v2, v5
	s_waitcnt lgkmcnt(0)
	v_add_f32_e32 v1, v4, v1
	ds_bpermute_b32 v4, v3, v2
	ds_bpermute_b32 v3, v3, v1
	s_waitcnt lgkmcnt(1)
	v_add_f32_e32 v2, v2, v4
	s_waitcnt lgkmcnt(0)
	;; [unrolled: 6-line block ×5, first 2 shown]
	v_add_f32_e32 v2, v3, v4
	ds_bpermute_b32 v3, v15, v1
	ds_bpermute_b32 v4, v15, v2
	s_and_b64 exec, exec, s[0:1]
	s_cbranch_execz .LBB235_15
; %bb.14:
	s_waitcnt lgkmcnt(1)
	v_add_f32_e32 v1, v1, v3
	v_add_u32_e32 v3, 6, v0
	v_cmp_eq_u32_e32 vcc, 1, v3
	s_waitcnt lgkmcnt(0)
	v_add_f32_e32 v2, v2, v4
	v_cndmask_b32_e32 v4, v13, v14, vcc
	v_cmp_eq_u32_e32 vcc, 2, v3
	v_cndmask_b32_e32 v4, v4, v9, vcc
	v_cmp_eq_u32_e32 vcc, 3, v3
	;; [unrolled: 2-line block ×5, first 2 shown]
	v_cndmask_b32_e32 v4, v4, v1, vcc
	v_mad_u64_u32 v[0:1], s[0:1], s2, 3, v[0:1]
	v_mov_b32_e32 v1, 0
	v_cmp_eq_u32_e32 vcc, 7, v3
	v_lshlrev_b64 v[0:1], 2, v[0:1]
	v_cndmask_b32_e32 v2, v4, v2, vcc
	v_mov_b32_e32 v3, s5
	v_add_co_u32_e32 v0, vcc, s4, v0
	v_addc_co_u32_e32 v1, vcc, v3, v1, vcc
	global_store_dword v[0:1], v2, off
.LBB235_15:
	s_endpgm
	.section	.rodata,"a",@progbits
	.p2align	6, 0x0
	.amdhsa_kernel _ZL13mul_mat_vec_qIL9ggml_type20ELi4ELb0ELb0EEvPKvS2_PKi31ggml_cuda_mm_fusion_args_devicePfj15HIP_vector_typeIjLj3EEjjjS8_jjjS8_jjjj
		.amdhsa_group_segment_fixed_size 2048
		.amdhsa_private_segment_fixed_size 0
		.amdhsa_kernarg_size 144
		.amdhsa_user_sgpr_count 6
		.amdhsa_user_sgpr_private_segment_buffer 1
		.amdhsa_user_sgpr_dispatch_ptr 0
		.amdhsa_user_sgpr_queue_ptr 0
		.amdhsa_user_sgpr_kernarg_segment_ptr 1
		.amdhsa_user_sgpr_dispatch_id 0
		.amdhsa_user_sgpr_flat_scratch_init 0
		.amdhsa_user_sgpr_private_segment_size 0
		.amdhsa_uses_dynamic_stack 0
		.amdhsa_system_sgpr_private_segment_wavefront_offset 0
		.amdhsa_system_sgpr_workgroup_id_x 1
		.amdhsa_system_sgpr_workgroup_id_y 1
		.amdhsa_system_sgpr_workgroup_id_z 1
		.amdhsa_system_sgpr_workgroup_info 0
		.amdhsa_system_vgpr_workitem_id 1
		.amdhsa_next_free_vgpr 37
		.amdhsa_next_free_sgpr 61
		.amdhsa_reserve_vcc 1
		.amdhsa_reserve_flat_scratch 0
		.amdhsa_float_round_mode_32 0
		.amdhsa_float_round_mode_16_64 0
		.amdhsa_float_denorm_mode_32 3
		.amdhsa_float_denorm_mode_16_64 3
		.amdhsa_dx10_clamp 1
		.amdhsa_ieee_mode 1
		.amdhsa_fp16_overflow 0
		.amdhsa_exception_fp_ieee_invalid_op 0
		.amdhsa_exception_fp_denorm_src 0
		.amdhsa_exception_fp_ieee_div_zero 0
		.amdhsa_exception_fp_ieee_overflow 0
		.amdhsa_exception_fp_ieee_underflow 0
		.amdhsa_exception_fp_ieee_inexact 0
		.amdhsa_exception_int_div_zero 0
	.end_amdhsa_kernel
	.section	.text._ZL13mul_mat_vec_qIL9ggml_type20ELi4ELb0ELb0EEvPKvS2_PKi31ggml_cuda_mm_fusion_args_devicePfj15HIP_vector_typeIjLj3EEjjjS8_jjjS8_jjjj,"axG",@progbits,_ZL13mul_mat_vec_qIL9ggml_type20ELi4ELb0ELb0EEvPKvS2_PKi31ggml_cuda_mm_fusion_args_devicePfj15HIP_vector_typeIjLj3EEjjjS8_jjjS8_jjjj,comdat
.Lfunc_end235:
	.size	_ZL13mul_mat_vec_qIL9ggml_type20ELi4ELb0ELb0EEvPKvS2_PKi31ggml_cuda_mm_fusion_args_devicePfj15HIP_vector_typeIjLj3EEjjjS8_jjjS8_jjjj, .Lfunc_end235-_ZL13mul_mat_vec_qIL9ggml_type20ELi4ELb0ELb0EEvPKvS2_PKi31ggml_cuda_mm_fusion_args_devicePfj15HIP_vector_typeIjLj3EEjjjS8_jjjS8_jjjj
                                        ; -- End function
	.set _ZL13mul_mat_vec_qIL9ggml_type20ELi4ELb0ELb0EEvPKvS2_PKi31ggml_cuda_mm_fusion_args_devicePfj15HIP_vector_typeIjLj3EEjjjS8_jjjS8_jjjj.num_vgpr, 37
	.set _ZL13mul_mat_vec_qIL9ggml_type20ELi4ELb0ELb0EEvPKvS2_PKi31ggml_cuda_mm_fusion_args_devicePfj15HIP_vector_typeIjLj3EEjjjS8_jjjS8_jjjj.num_agpr, 0
	.set _ZL13mul_mat_vec_qIL9ggml_type20ELi4ELb0ELb0EEvPKvS2_PKi31ggml_cuda_mm_fusion_args_devicePfj15HIP_vector_typeIjLj3EEjjjS8_jjjS8_jjjj.numbered_sgpr, 26
	.set _ZL13mul_mat_vec_qIL9ggml_type20ELi4ELb0ELb0EEvPKvS2_PKi31ggml_cuda_mm_fusion_args_devicePfj15HIP_vector_typeIjLj3EEjjjS8_jjjS8_jjjj.num_named_barrier, 0
	.set _ZL13mul_mat_vec_qIL9ggml_type20ELi4ELb0ELb0EEvPKvS2_PKi31ggml_cuda_mm_fusion_args_devicePfj15HIP_vector_typeIjLj3EEjjjS8_jjjS8_jjjj.private_seg_size, 0
	.set _ZL13mul_mat_vec_qIL9ggml_type20ELi4ELb0ELb0EEvPKvS2_PKi31ggml_cuda_mm_fusion_args_devicePfj15HIP_vector_typeIjLj3EEjjjS8_jjjS8_jjjj.uses_vcc, 1
	.set _ZL13mul_mat_vec_qIL9ggml_type20ELi4ELb0ELb0EEvPKvS2_PKi31ggml_cuda_mm_fusion_args_devicePfj15HIP_vector_typeIjLj3EEjjjS8_jjjS8_jjjj.uses_flat_scratch, 0
	.set _ZL13mul_mat_vec_qIL9ggml_type20ELi4ELb0ELb0EEvPKvS2_PKi31ggml_cuda_mm_fusion_args_devicePfj15HIP_vector_typeIjLj3EEjjjS8_jjjS8_jjjj.has_dyn_sized_stack, 0
	.set _ZL13mul_mat_vec_qIL9ggml_type20ELi4ELb0ELb0EEvPKvS2_PKi31ggml_cuda_mm_fusion_args_devicePfj15HIP_vector_typeIjLj3EEjjjS8_jjjS8_jjjj.has_recursion, 0
	.set _ZL13mul_mat_vec_qIL9ggml_type20ELi4ELb0ELb0EEvPKvS2_PKi31ggml_cuda_mm_fusion_args_devicePfj15HIP_vector_typeIjLj3EEjjjS8_jjjS8_jjjj.has_indirect_call, 0
	.section	.AMDGPU.csdata,"",@progbits
; Kernel info:
; codeLenInByte = 3004
; TotalNumSgprs: 30
; NumVgprs: 37
; ScratchSize: 0
; MemoryBound: 0
; FloatMode: 240
; IeeeMode: 1
; LDSByteSize: 2048 bytes/workgroup (compile time only)
; SGPRBlocks: 8
; VGPRBlocks: 9
; NumSGPRsForWavesPerEU: 65
; NumVGPRsForWavesPerEU: 37
; Occupancy: 6
; WaveLimiterHint : 0
; COMPUTE_PGM_RSRC2:SCRATCH_EN: 0
; COMPUTE_PGM_RSRC2:USER_SGPR: 6
; COMPUTE_PGM_RSRC2:TRAP_HANDLER: 0
; COMPUTE_PGM_RSRC2:TGID_X_EN: 1
; COMPUTE_PGM_RSRC2:TGID_Y_EN: 1
; COMPUTE_PGM_RSRC2:TGID_Z_EN: 1
; COMPUTE_PGM_RSRC2:TIDIG_COMP_CNT: 1
	.section	.text._ZL13mul_mat_vec_qIL9ggml_type20ELi5ELb0ELb0EEvPKvS2_PKi31ggml_cuda_mm_fusion_args_devicePfj15HIP_vector_typeIjLj3EEjjjS8_jjjS8_jjjj,"axG",@progbits,_ZL13mul_mat_vec_qIL9ggml_type20ELi5ELb0ELb0EEvPKvS2_PKi31ggml_cuda_mm_fusion_args_devicePfj15HIP_vector_typeIjLj3EEjjjS8_jjjS8_jjjj,comdat
	.globl	_ZL13mul_mat_vec_qIL9ggml_type20ELi5ELb0ELb0EEvPKvS2_PKi31ggml_cuda_mm_fusion_args_devicePfj15HIP_vector_typeIjLj3EEjjjS8_jjjS8_jjjj ; -- Begin function _ZL13mul_mat_vec_qIL9ggml_type20ELi5ELb0ELb0EEvPKvS2_PKi31ggml_cuda_mm_fusion_args_devicePfj15HIP_vector_typeIjLj3EEjjjS8_jjjS8_jjjj
	.p2align	8
	.type	_ZL13mul_mat_vec_qIL9ggml_type20ELi5ELb0ELb0EEvPKvS2_PKi31ggml_cuda_mm_fusion_args_devicePfj15HIP_vector_typeIjLj3EEjjjS8_jjjS8_jjjj,@function
_ZL13mul_mat_vec_qIL9ggml_type20ELi5ELb0ELb0EEvPKvS2_PKi31ggml_cuda_mm_fusion_args_devicePfj15HIP_vector_typeIjLj3EEjjjS8_jjjS8_jjjj: ; @_ZL13mul_mat_vec_qIL9ggml_type20ELi5ELb0ELb0EEvPKvS2_PKi31ggml_cuda_mm_fusion_args_devicePfj15HIP_vector_typeIjLj3EEjjjS8_jjjS8_jjjj
; %bb.0:
	s_load_dword s9, s[4:5], 0x40
	s_load_dwordx4 s[0:3], s[4:5], 0x50
	s_load_dword s25, s[4:5], 0x60
	s_load_dwordx4 s[12:15], s[4:5], 0x68
	;; [unrolled: 2-line block ×3, first 2 shown]
	v_lshl_or_b32 v2, v1, 6, v0
	s_waitcnt lgkmcnt(0)
	s_lshr_b32 s9, s9, 5
	v_lshrrev_b16_e32 v14, 1, v2
	v_mov_b32_e32 v4, 0
	s_lshl_b32 s6, s6, 1
	v_cmp_gt_u32_e32 vcc, s9, v14
	v_mov_b32_e32 v5, v4
	v_mov_b32_e32 v6, v4
	;; [unrolled: 1-line block ×9, first 2 shown]
	s_and_saveexec_b64 s[10:11], vcc
	s_cbranch_execz .LBB236_4
; %bb.1:
	s_load_dwordx4 s[20:23], s[4:5], 0x0
	s_mul_i32 s17, s17, s8
	s_mul_hi_u32 s19, s17, 36
	s_mul_i32 s17, s17, 36
	s_mul_i32 s13, s13, s7
	s_waitcnt lgkmcnt(0)
	s_add_u32 s17, s22, s17
	s_addc_u32 s19, s23, s19
	s_mul_hi_u32 s23, s13, 36
	s_mul_i32 s13, s13, 36
	s_add_u32 s22, s17, s13
	s_mul_hi_u32 s3, s3, s7
	s_addc_u32 s23, s19, s23
	s_add_i32 s3, s7, s3
	s_lshr_b32 s3, s3, s25
	s_mul_i32 s3, s3, s12
	s_mul_hi_u32 s12, s15, s8
	s_add_i32 s12, s8, s12
	s_lshr_b32 s12, s12, s24
	s_mul_i32 s12, s12, s16
	v_lshlrev_b32_e32 v3, 1, v0
	s_add_i32 s13, s6, 1
	v_and_b32_e32 v5, 2, v3
	s_add_i32 s12, s12, s3
	s_mul_i32 s3, s6, s0
	s_mul_i32 s0, s0, s13
	v_and_b32_e32 v3, 1, v0
	v_lshrrev_b32_e32 v2, 1, v2
	s_add_i32 s3, s12, s3
	s_add_i32 s0, s12, s0
	v_lshlrev_b32_e32 v15, 3, v3
	v_mad_u64_u32 v[2:3], s[12:13], v2, 36, s[22:23]
	v_mov_b32_e32 v4, 0
	v_lshlrev_b32_e32 v6, 1, v5
	s_lshl_b32 s15, s1, 1
	s_mul_i32 s16, s1, 3
	s_lshl_b32 s17, s1, 2
	s_mov_b64 s[12:13], 0
	v_lshlrev_b32_e32 v16, 1, v6
	s_mov_b32 s19, 0xf6eaddcf
	s_mov_b32 s24, 0x71594535
	v_lshlrev_b32_e32 v17, 2, v5
	v_mov_b32_e32 v18, 0xbfad9881
	v_mov_b32_e32 v19, 0x26190d01
	;; [unrolled: 1-line block ×11, first 2 shown]
.LBB236_2:                              ; =>This Inner Loop Header: Depth=1
	v_add_u32_e32 v22, s3, v14
	v_mad_i64_i32 v[24:25], s[26:27], v22, 18, s[20:21]
	v_add_co_u32_e32 v20, vcc, v2, v15
	v_addc_co_u32_e32 v21, vcc, 0, v3, vcc
	global_load_dwordx2 v[29:30], v[20:21], off offset:4
	global_load_dwordx2 v[31:32], v[20:21], off offset:20
	global_load_dword v23, v[2:3], off
	v_add_co_u32_e32 v20, vcc, v24, v16
	v_addc_co_u32_e32 v21, vcc, 0, v25, vcc
	global_load_dwordx2 v[21:22], v[20:21], off offset:2
	s_waitcnt vmcnt(1)
	v_cvt_f32_f16_e32 v35, v23
	global_load_ushort v24, v[24:25], off
	s_waitcnt vmcnt(1)
	v_ashrrev_i32_e32 v23, 4, v21
	v_and_b32_e32 v20, 0x7070707, v21
	v_lshrrev_b32_e32 v21, 1, v21
	v_and_b32_e32 v21, 0x4040404, v21
	v_perm_b32 v26, s19, v18, v20
	v_perm_b32 v20, s24, v19, v20
	v_or_b32_e32 v21, 0x3020100, v21
	v_perm_b32 v20, v20, v26, v21
	v_lshrrev_b32_e32 v21, 1, v23
	v_and_b32_e32 v27, 0x7070707, v23
	v_and_b32_e32 v21, 0x4040404, v21
	v_perm_b32 v28, s19, v18, v27
	v_perm_b32 v27, s24, v19, v27
	v_or_b32_e32 v21, 0x3020100, v21
	v_perm_b32 v21, v27, v28, v21
	v_dot4_i32_i8 v23, v20, v29, 0
	v_dot4_i32_i8 v26, v21, v31, v23
	v_ashrrev_i32_e32 v23, 4, v22
	v_and_b32_e32 v27, 0x7070707, v22
	v_lshrrev_b32_e32 v22, 1, v22
	v_and_b32_e32 v33, 0x7070707, v23
	v_and_b32_e32 v22, 0x4040404, v22
	v_lshrrev_b32_e32 v23, 1, v23
	v_perm_b32 v28, s19, v18, v27
	v_perm_b32 v27, s24, v19, v27
	v_or_b32_e32 v22, 0x3020100, v22
	v_and_b32_e32 v23, 0x4040404, v23
	v_perm_b32 v34, s19, v18, v33
	v_perm_b32 v33, s24, v19, v33
	;; [unrolled: 1-line block ×3, first 2 shown]
	v_or_b32_e32 v23, 0x3020100, v23
	v_perm_b32 v23, v33, v34, v23
	v_dot4_i32_i8 v26, v22, v30, v26
	v_dot4_i32_i8 v26, v23, v32, v26
	v_cvt_f32_i32_e32 v26, v26
	s_waitcnt vmcnt(0)
	v_cvt_f32_f16_e32 v24, v24
	v_mul_f32_e32 v25, v24, v35
	v_fmac_f32_e32 v13, v25, v26
	v_add_u32_e32 v25, s0, v14
	v_mad_i64_i32 v[33:34], s[26:27], v25, 18, s[20:21]
	v_add_co_u32_e32 v25, vcc, v33, v16
	v_addc_co_u32_e32 v26, vcc, 0, v34, vcc
	global_load_dwordx2 v[26:27], v[25:26], off offset:2
	s_waitcnt vmcnt(0)
	v_ashrrev_i32_e32 v25, 4, v26
	v_and_b32_e32 v28, 0x7070707, v26
	v_lshrrev_b32_e32 v26, 1, v26
	v_and_b32_e32 v37, 0x7070707, v25
	v_and_b32_e32 v26, 0x4040404, v26
	v_lshrrev_b32_e32 v25, 1, v25
	v_perm_b32 v36, s19, v18, v28
	v_perm_b32 v28, s24, v19, v28
	v_or_b32_e32 v26, 0x3020100, v26
	v_and_b32_e32 v25, 0x4040404, v25
	v_perm_b32 v38, s19, v18, v37
	v_perm_b32 v37, s24, v19, v37
	;; [unrolled: 1-line block ×3, first 2 shown]
	v_or_b32_e32 v25, 0x3020100, v25
	v_perm_b32 v28, v37, v38, v25
	v_dot4_i32_i8 v25, v26, v29, 0
	v_dot4_i32_i8 v31, v28, v31, v25
	v_ashrrev_i32_e32 v25, 4, v27
	v_and_b32_e32 v29, 0x7070707, v27
	v_lshrrev_b32_e32 v27, 1, v27
	v_and_b32_e32 v37, 0x7070707, v25
	v_and_b32_e32 v27, 0x4040404, v27
	v_lshrrev_b32_e32 v25, 1, v25
	v_perm_b32 v36, s19, v18, v29
	v_perm_b32 v29, s24, v19, v29
	v_or_b32_e32 v27, 0x3020100, v27
	v_and_b32_e32 v25, 0x4040404, v25
	v_perm_b32 v38, s19, v18, v37
	v_perm_b32 v37, s24, v19, v37
	;; [unrolled: 1-line block ×3, first 2 shown]
	v_or_b32_e32 v25, 0x3020100, v25
	v_perm_b32 v25, v37, v38, v25
	v_dot4_i32_i8 v27, v29, v30, v31
	v_dot4_i32_i8 v30, v25, v32, v27
	global_load_ushort v27, v[33:34], off
	v_cvt_f32_i32_e32 v30, v30
	s_waitcnt vmcnt(0)
	v_cvt_f32_f16_e32 v27, v27
	v_mul_f32_e32 v31, v27, v35
	v_fmac_f32_e32 v12, v31, v30
	v_add_u32_e32 v30, s1, v14
	v_mad_u64_u32 v[30:31], s[26:27], v30, 36, s[22:23]
	v_add_co_u32_e32 v32, vcc, v30, v17
	v_addc_co_u32_e32 v33, vcc, 0, v31, vcc
	global_load_dwordx2 v[34:35], v[32:33], off offset:4
	global_load_dwordx2 v[36:37], v[32:33], off offset:20
	global_load_dword v38, v[30:31], off
	s_waitcnt vmcnt(2)
	v_dot4_i32_i8 v31, v20, v34, 0
	s_waitcnt vmcnt(1)
	v_dot4_i32_i8 v31, v21, v36, v31
	v_dot4_i32_i8 v31, v22, v35, v31
	s_waitcnt vmcnt(0)
	v_cvt_f32_f16_e32 v30, v38
	v_dot4_i32_i8 v31, v23, v37, v31
	v_cvt_f32_i32_e32 v31, v31
	v_mul_f32_e32 v32, v24, v30
	v_mul_f32_e32 v30, v27, v30
	v_fmac_f32_e32 v11, v32, v31
	v_dot4_i32_i8 v31, v26, v34, 0
	v_dot4_i32_i8 v31, v28, v36, v31
	v_dot4_i32_i8 v31, v29, v35, v31
	v_dot4_i32_i8 v31, v25, v37, v31
	v_cvt_f32_i32_e32 v31, v31
	v_fmac_f32_e32 v10, v30, v31
	v_add_u32_e32 v30, s15, v14
	v_mad_u64_u32 v[30:31], s[26:27], v30, 36, s[22:23]
	v_add_co_u32_e32 v32, vcc, v30, v17
	v_addc_co_u32_e32 v33, vcc, 0, v31, vcc
	global_load_dwordx2 v[34:35], v[32:33], off offset:4
	global_load_dwordx2 v[36:37], v[32:33], off offset:20
	global_load_dword v38, v[30:31], off
	s_waitcnt vmcnt(2)
	v_dot4_i32_i8 v31, v20, v34, 0
	s_waitcnt vmcnt(1)
	v_dot4_i32_i8 v31, v21, v36, v31
	v_dot4_i32_i8 v31, v22, v35, v31
	s_waitcnt vmcnt(0)
	v_cvt_f32_f16_e32 v30, v38
	v_dot4_i32_i8 v31, v23, v37, v31
	v_cvt_f32_i32_e32 v31, v31
	v_mul_f32_e32 v32, v24, v30
	v_mul_f32_e32 v30, v27, v30
	v_fmac_f32_e32 v9, v32, v31
	v_dot4_i32_i8 v31, v26, v34, 0
	v_dot4_i32_i8 v31, v28, v36, v31
	v_dot4_i32_i8 v31, v29, v35, v31
	v_dot4_i32_i8 v31, v25, v37, v31
	v_cvt_f32_i32_e32 v31, v31
	;; [unrolled: 25-line block ×3, first 2 shown]
	v_fmac_f32_e32 v6, v30, v31
	v_add_u32_e32 v30, s17, v14
	v_mad_u64_u32 v[30:31], s[26:27], v30, 36, s[22:23]
	v_add_u32_e32 v14, 32, v14
	v_add_co_u32_e32 v32, vcc, v30, v17
	v_addc_co_u32_e32 v33, vcc, 0, v31, vcc
	global_load_dwordx2 v[34:35], v[32:33], off offset:4
	global_load_dwordx2 v[36:37], v[32:33], off offset:20
	global_load_dword v38, v[30:31], off
	v_add_co_u32_e32 v2, vcc, 0x480, v2
	v_addc_co_u32_e32 v3, vcc, 0, v3, vcc
	v_cmp_le_u32_e32 vcc, s9, v14
	s_or_b64 s[12:13], vcc, s[12:13]
	s_waitcnt vmcnt(2)
	v_dot4_i32_i8 v20, v20, v34, 0
	s_waitcnt vmcnt(1)
	v_dot4_i32_i8 v20, v21, v36, v20
	v_dot4_i32_i8 v20, v22, v35, v20
	s_waitcnt vmcnt(0)
	v_cvt_f32_f16_e32 v30, v38
	v_dot4_i32_i8 v20, v23, v37, v20
	v_cvt_f32_i32_e32 v20, v20
	v_mul_f32_e32 v21, v24, v30
	v_fmac_f32_e32 v5, v21, v20
	v_dot4_i32_i8 v20, v26, v34, 0
	v_dot4_i32_i8 v20, v28, v36, v20
	;; [unrolled: 1-line block ×4, first 2 shown]
	v_cvt_f32_i32_e32 v20, v20
	v_mul_f32_e32 v21, v27, v30
	v_fmac_f32_e32 v4, v21, v20
	s_andn2_b64 exec, exec, s[12:13]
	s_cbranch_execnz .LBB236_2
; %bb.3:
	s_or_b64 exec, exec, s[12:13]
.LBB236_4:
	s_or_b64 exec, exec, s[10:11]
	s_mov_b32 s1, 0
	v_cmp_eq_u32_e32 vcc, 0, v1
	; wave barrier
	s_and_saveexec_b64 s[10:11], vcc
	s_cbranch_execz .LBB236_15
; %bb.5:
	v_mbcnt_lo_u32_b32 v1, -1, 0
	v_mbcnt_hi_u32_b32 v15, -1, v1
	v_and_b32_e32 v1, 64, v15
	v_add_u32_e32 v16, 64, v1
	v_xor_b32_e32 v1, 32, v15
	v_cmp_lt_i32_e32 vcc, v1, v16
	v_cndmask_b32_e32 v1, v15, v1, vcc
	v_lshlrev_b32_e32 v1, 2, v1
	ds_bpermute_b32 v17, v1, v13
	ds_bpermute_b32 v18, v1, v12
	v_xor_b32_e32 v2, 16, v15
	v_cmp_lt_i32_e32 vcc, v2, v16
	v_cndmask_b32_e32 v2, v15, v2, vcc
	v_lshlrev_b32_e32 v2, 2, v2
	s_waitcnt lgkmcnt(1)
	v_add_f32_e32 v13, v13, v17
	s_waitcnt lgkmcnt(0)
	v_add_f32_e32 v12, v12, v18
	ds_bpermute_b32 v17, v2, v13
	ds_bpermute_b32 v18, v2, v12
	v_xor_b32_e32 v3, 8, v15
	v_cmp_lt_i32_e32 vcc, v3, v16
	v_cndmask_b32_e32 v3, v15, v3, vcc
	v_lshlrev_b32_e32 v3, 2, v3
	s_waitcnt lgkmcnt(1)
	v_add_f32_e32 v13, v13, v17
	s_waitcnt lgkmcnt(0)
	v_add_f32_e32 v18, v12, v18
	;; [unrolled: 10-line block ×3, first 2 shown]
	ds_bpermute_b32 v17, v14, v13
	ds_bpermute_b32 v20, v14, v18
	v_xor_b32_e32 v19, 2, v15
	v_cmp_lt_i32_e32 vcc, v19, v16
	v_cndmask_b32_e32 v19, v15, v19, vcc
	v_lshlrev_b32_e32 v12, 2, v19
	v_xor_b32_e32 v19, 1, v15
	v_cmp_lt_i32_e32 vcc, v19, v16
	s_waitcnt lgkmcnt(1)
	v_add_f32_e32 v13, v13, v17
	s_waitcnt lgkmcnt(0)
	v_add_f32_e32 v18, v18, v20
	v_cndmask_b32_e32 v15, v15, v19, vcc
	ds_bpermute_b32 v17, v12, v13
	ds_bpermute_b32 v19, v12, v18
	s_load_dwordx2 s[4:5], s[4:5], 0x38
	s_mul_i32 s3, s14, s7
	v_lshlrev_b32_e32 v16, 2, v15
	s_waitcnt lgkmcnt(0)
	v_add_f32_e32 v13, v13, v17
	v_add_f32_e32 v17, v18, v19
	s_mul_i32 s0, s18, s8
	s_add_i32 s3, s3, s6
	ds_bpermute_b32 v15, v16, v13
	ds_bpermute_b32 v18, v16, v17
	s_add_i32 s0, s3, s0
	s_lshl_b64 s[0:1], s[0:1], 2
	s_add_u32 s4, s4, s0
	v_add_u32_e32 v19, s6, v0
	s_addc_u32 s5, s5, s1
	v_cmp_gt_u32_e32 vcc, 2, v0
	v_cmp_gt_u32_e64 s[0:1], s2, v19
	s_and_b64 s[0:1], vcc, s[0:1]
	s_waitcnt lgkmcnt(1)
	v_add_f32_e32 v13, v13, v15
	s_waitcnt lgkmcnt(0)
	v_add_f32_e32 v15, v17, v18
	s_and_saveexec_b64 s[6:7], s[0:1]
	s_cbranch_execz .LBB236_7
; %bb.6:
	v_cmp_eq_u32_e32 vcc, 1, v0
	v_cndmask_b32_e32 v17, v13, v15, vcc
	v_cmp_eq_u32_e32 vcc, 2, v0
	v_cndmask_b32_e32 v17, v17, v11, vcc
	;; [unrolled: 2-line block ×9, first 2 shown]
	v_lshlrev_b32_e32 v18, 2, v0
	global_store_dword v18, v17, s[4:5]
.LBB236_7:
	s_or_b64 exec, exec, s[6:7]
	ds_bpermute_b32 v17, v1, v11
	ds_bpermute_b32 v18, v1, v10
	s_waitcnt lgkmcnt(1)
	v_add_f32_e32 v11, v11, v17
	s_waitcnt lgkmcnt(0)
	v_add_f32_e32 v10, v10, v18
	ds_bpermute_b32 v17, v2, v11
	ds_bpermute_b32 v18, v2, v10
	s_waitcnt lgkmcnt(1)
	v_add_f32_e32 v11, v11, v17
	s_waitcnt lgkmcnt(0)
	v_add_f32_e32 v10, v10, v18
	;; [unrolled: 6-line block ×6, first 2 shown]
	s_and_saveexec_b64 s[6:7], s[0:1]
	s_cbranch_execz .LBB236_9
; %bb.8:
	v_add_u32_e32 v17, 2, v0
	v_cmp_eq_u32_e32 vcc, 1, v17
	v_cndmask_b32_e32 v18, v13, v15, vcc
	v_cmp_eq_u32_e32 vcc, 2, v17
	v_cndmask_b32_e32 v18, v18, v11, vcc
	;; [unrolled: 2-line block ×9, first 2 shown]
	v_add_u32_e32 v17, s2, v0
	v_mov_b32_e32 v18, 0
	v_lshlrev_b64 v[17:18], 2, v[17:18]
	v_mov_b32_e32 v20, s5
	v_add_co_u32_e32 v17, vcc, s4, v17
	v_addc_co_u32_e32 v18, vcc, v20, v18, vcc
	global_store_dword v[17:18], v19, off
.LBB236_9:
	s_or_b64 exec, exec, s[6:7]
	ds_bpermute_b32 v17, v1, v9
	ds_bpermute_b32 v18, v1, v8
	s_waitcnt lgkmcnt(1)
	v_add_f32_e32 v9, v9, v17
	s_waitcnt lgkmcnt(0)
	v_add_f32_e32 v8, v8, v18
	ds_bpermute_b32 v17, v2, v9
	ds_bpermute_b32 v18, v2, v8
	s_waitcnt lgkmcnt(1)
	v_add_f32_e32 v9, v9, v17
	s_waitcnt lgkmcnt(0)
	v_add_f32_e32 v8, v8, v18
	ds_bpermute_b32 v17, v3, v9
	ds_bpermute_b32 v18, v3, v8
	s_waitcnt lgkmcnt(1)
	v_add_f32_e32 v9, v9, v17
	s_waitcnt lgkmcnt(0)
	v_add_f32_e32 v8, v8, v18
	ds_bpermute_b32 v17, v14, v9
	ds_bpermute_b32 v18, v14, v8
	s_waitcnt lgkmcnt(1)
	v_add_f32_e32 v9, v9, v17
	s_waitcnt lgkmcnt(0)
	v_add_f32_e32 v8, v8, v18
	ds_bpermute_b32 v17, v12, v9
	ds_bpermute_b32 v18, v12, v8
	s_waitcnt lgkmcnt(1)
	v_add_f32_e32 v9, v9, v17
	s_waitcnt lgkmcnt(0)
	v_add_f32_e32 v8, v8, v18
	ds_bpermute_b32 v17, v16, v9
	ds_bpermute_b32 v18, v16, v8
	s_waitcnt lgkmcnt(1)
	v_add_f32_e32 v9, v9, v17
	s_waitcnt lgkmcnt(0)
	v_add_f32_e32 v8, v8, v18
	s_and_saveexec_b64 s[6:7], s[0:1]
	s_cbranch_execz .LBB236_11
; %bb.10:
	v_add_u32_e32 v17, 4, v0
	v_cmp_eq_u32_e32 vcc, 1, v17
	v_cndmask_b32_e32 v18, v13, v15, vcc
	v_cmp_eq_u32_e32 vcc, 2, v17
	v_cndmask_b32_e32 v18, v18, v11, vcc
	;; [unrolled: 2-line block ×9, first 2 shown]
	v_lshl_or_b32 v17, s2, 1, v0
	v_mov_b32_e32 v18, 0
	v_lshlrev_b64 v[17:18], 2, v[17:18]
	v_mov_b32_e32 v20, s5
	v_add_co_u32_e32 v17, vcc, s4, v17
	v_addc_co_u32_e32 v18, vcc, v20, v18, vcc
	global_store_dword v[17:18], v19, off
.LBB236_11:
	s_or_b64 exec, exec, s[6:7]
	ds_bpermute_b32 v17, v1, v7
	ds_bpermute_b32 v18, v1, v6
	s_waitcnt lgkmcnt(1)
	v_add_f32_e32 v7, v7, v17
	s_waitcnt lgkmcnt(0)
	v_add_f32_e32 v6, v6, v18
	ds_bpermute_b32 v17, v2, v7
	ds_bpermute_b32 v18, v2, v6
	s_waitcnt lgkmcnt(1)
	v_add_f32_e32 v7, v7, v17
	s_waitcnt lgkmcnt(0)
	v_add_f32_e32 v6, v6, v18
	;; [unrolled: 6-line block ×6, first 2 shown]
	s_and_saveexec_b64 s[6:7], s[0:1]
	s_cbranch_execz .LBB236_13
; %bb.12:
	v_add_u32_e32 v19, 6, v0
	v_cmp_eq_u32_e32 vcc, 1, v19
	v_cndmask_b32_e32 v17, v13, v15, vcc
	v_cmp_eq_u32_e32 vcc, 2, v19
	v_cndmask_b32_e32 v17, v17, v11, vcc
	;; [unrolled: 2-line block ×8, first 2 shown]
	v_mad_u64_u32 v[17:18], s[8:9], s2, 3, v[0:1]
	v_mov_b32_e32 v18, 0
	v_cmp_eq_u32_e32 vcc, 9, v19
	v_lshlrev_b64 v[17:18], 2, v[17:18]
	v_cndmask_b32_e32 v19, v20, v4, vcc
	v_mov_b32_e32 v20, s5
	v_add_co_u32_e32 v17, vcc, s4, v17
	v_addc_co_u32_e32 v18, vcc, v20, v18, vcc
	global_store_dword v[17:18], v19, off
.LBB236_13:
	s_or_b64 exec, exec, s[6:7]
	ds_bpermute_b32 v17, v1, v5
	ds_bpermute_b32 v1, v1, v4
	s_waitcnt lgkmcnt(1)
	v_add_f32_e32 v5, v5, v17
	s_waitcnt lgkmcnt(0)
	v_add_f32_e32 v1, v4, v1
	ds_bpermute_b32 v4, v2, v5
	ds_bpermute_b32 v2, v2, v1
	s_waitcnt lgkmcnt(1)
	v_add_f32_e32 v4, v5, v4
	s_waitcnt lgkmcnt(0)
	v_add_f32_e32 v1, v1, v2
	;; [unrolled: 6-line block ×5, first 2 shown]
	ds_bpermute_b32 v3, v16, v1
	ds_bpermute_b32 v4, v16, v2
	s_and_b64 exec, exec, s[0:1]
	s_cbranch_execz .LBB236_15
; %bb.14:
	s_waitcnt lgkmcnt(1)
	v_add_f32_e32 v1, v1, v3
	v_add_u32_e32 v3, 8, v0
	v_cmp_eq_u32_e32 vcc, 1, v3
	s_waitcnt lgkmcnt(0)
	v_add_f32_e32 v2, v2, v4
	v_cndmask_b32_e32 v4, v13, v15, vcc
	v_cmp_eq_u32_e32 vcc, 2, v3
	v_cndmask_b32_e32 v4, v4, v11, vcc
	v_cmp_eq_u32_e32 vcc, 3, v3
	;; [unrolled: 2-line block ×8, first 2 shown]
	v_cndmask_b32_e32 v2, v1, v2, vcc
	v_lshl_or_b32 v0, s2, 2, v0
	v_mov_b32_e32 v1, 0
	v_lshlrev_b64 v[0:1], 2, v[0:1]
	v_mov_b32_e32 v3, s5
	v_add_co_u32_e32 v0, vcc, s4, v0
	v_addc_co_u32_e32 v1, vcc, v3, v1, vcc
	global_store_dword v[0:1], v2, off
.LBB236_15:
	s_endpgm
	.section	.rodata,"a",@progbits
	.p2align	6, 0x0
	.amdhsa_kernel _ZL13mul_mat_vec_qIL9ggml_type20ELi5ELb0ELb0EEvPKvS2_PKi31ggml_cuda_mm_fusion_args_devicePfj15HIP_vector_typeIjLj3EEjjjS8_jjjS8_jjjj
		.amdhsa_group_segment_fixed_size 0
		.amdhsa_private_segment_fixed_size 0
		.amdhsa_kernarg_size 144
		.amdhsa_user_sgpr_count 6
		.amdhsa_user_sgpr_private_segment_buffer 1
		.amdhsa_user_sgpr_dispatch_ptr 0
		.amdhsa_user_sgpr_queue_ptr 0
		.amdhsa_user_sgpr_kernarg_segment_ptr 1
		.amdhsa_user_sgpr_dispatch_id 0
		.amdhsa_user_sgpr_flat_scratch_init 0
		.amdhsa_user_sgpr_private_segment_size 0
		.amdhsa_uses_dynamic_stack 0
		.amdhsa_system_sgpr_private_segment_wavefront_offset 0
		.amdhsa_system_sgpr_workgroup_id_x 1
		.amdhsa_system_sgpr_workgroup_id_y 1
		.amdhsa_system_sgpr_workgroup_id_z 1
		.amdhsa_system_sgpr_workgroup_info 0
		.amdhsa_system_vgpr_workitem_id 1
		.amdhsa_next_free_vgpr 39
		.amdhsa_next_free_sgpr 28
		.amdhsa_reserve_vcc 1
		.amdhsa_reserve_flat_scratch 0
		.amdhsa_float_round_mode_32 0
		.amdhsa_float_round_mode_16_64 0
		.amdhsa_float_denorm_mode_32 3
		.amdhsa_float_denorm_mode_16_64 3
		.amdhsa_dx10_clamp 1
		.amdhsa_ieee_mode 1
		.amdhsa_fp16_overflow 0
		.amdhsa_exception_fp_ieee_invalid_op 0
		.amdhsa_exception_fp_denorm_src 0
		.amdhsa_exception_fp_ieee_div_zero 0
		.amdhsa_exception_fp_ieee_overflow 0
		.amdhsa_exception_fp_ieee_underflow 0
		.amdhsa_exception_fp_ieee_inexact 0
		.amdhsa_exception_int_div_zero 0
	.end_amdhsa_kernel
	.section	.text._ZL13mul_mat_vec_qIL9ggml_type20ELi5ELb0ELb0EEvPKvS2_PKi31ggml_cuda_mm_fusion_args_devicePfj15HIP_vector_typeIjLj3EEjjjS8_jjjS8_jjjj,"axG",@progbits,_ZL13mul_mat_vec_qIL9ggml_type20ELi5ELb0ELb0EEvPKvS2_PKi31ggml_cuda_mm_fusion_args_devicePfj15HIP_vector_typeIjLj3EEjjjS8_jjjS8_jjjj,comdat
.Lfunc_end236:
	.size	_ZL13mul_mat_vec_qIL9ggml_type20ELi5ELb0ELb0EEvPKvS2_PKi31ggml_cuda_mm_fusion_args_devicePfj15HIP_vector_typeIjLj3EEjjjS8_jjjS8_jjjj, .Lfunc_end236-_ZL13mul_mat_vec_qIL9ggml_type20ELi5ELb0ELb0EEvPKvS2_PKi31ggml_cuda_mm_fusion_args_devicePfj15HIP_vector_typeIjLj3EEjjjS8_jjjS8_jjjj
                                        ; -- End function
	.set _ZL13mul_mat_vec_qIL9ggml_type20ELi5ELb0ELb0EEvPKvS2_PKi31ggml_cuda_mm_fusion_args_devicePfj15HIP_vector_typeIjLj3EEjjjS8_jjjS8_jjjj.num_vgpr, 39
	.set _ZL13mul_mat_vec_qIL9ggml_type20ELi5ELb0ELb0EEvPKvS2_PKi31ggml_cuda_mm_fusion_args_devicePfj15HIP_vector_typeIjLj3EEjjjS8_jjjS8_jjjj.num_agpr, 0
	.set _ZL13mul_mat_vec_qIL9ggml_type20ELi5ELb0ELb0EEvPKvS2_PKi31ggml_cuda_mm_fusion_args_devicePfj15HIP_vector_typeIjLj3EEjjjS8_jjjS8_jjjj.numbered_sgpr, 28
	.set _ZL13mul_mat_vec_qIL9ggml_type20ELi5ELb0ELb0EEvPKvS2_PKi31ggml_cuda_mm_fusion_args_devicePfj15HIP_vector_typeIjLj3EEjjjS8_jjjS8_jjjj.num_named_barrier, 0
	.set _ZL13mul_mat_vec_qIL9ggml_type20ELi5ELb0ELb0EEvPKvS2_PKi31ggml_cuda_mm_fusion_args_devicePfj15HIP_vector_typeIjLj3EEjjjS8_jjjS8_jjjj.private_seg_size, 0
	.set _ZL13mul_mat_vec_qIL9ggml_type20ELi5ELb0ELb0EEvPKvS2_PKi31ggml_cuda_mm_fusion_args_devicePfj15HIP_vector_typeIjLj3EEjjjS8_jjjS8_jjjj.uses_vcc, 1
	.set _ZL13mul_mat_vec_qIL9ggml_type20ELi5ELb0ELb0EEvPKvS2_PKi31ggml_cuda_mm_fusion_args_devicePfj15HIP_vector_typeIjLj3EEjjjS8_jjjS8_jjjj.uses_flat_scratch, 0
	.set _ZL13mul_mat_vec_qIL9ggml_type20ELi5ELb0ELb0EEvPKvS2_PKi31ggml_cuda_mm_fusion_args_devicePfj15HIP_vector_typeIjLj3EEjjjS8_jjjS8_jjjj.has_dyn_sized_stack, 0
	.set _ZL13mul_mat_vec_qIL9ggml_type20ELi5ELb0ELb0EEvPKvS2_PKi31ggml_cuda_mm_fusion_args_devicePfj15HIP_vector_typeIjLj3EEjjjS8_jjjS8_jjjj.has_recursion, 0
	.set _ZL13mul_mat_vec_qIL9ggml_type20ELi5ELb0ELb0EEvPKvS2_PKi31ggml_cuda_mm_fusion_args_devicePfj15HIP_vector_typeIjLj3EEjjjS8_jjjS8_jjjj.has_indirect_call, 0
	.section	.AMDGPU.csdata,"",@progbits
; Kernel info:
; codeLenInByte = 3400
; TotalNumSgprs: 32
; NumVgprs: 39
; ScratchSize: 0
; MemoryBound: 0
; FloatMode: 240
; IeeeMode: 1
; LDSByteSize: 0 bytes/workgroup (compile time only)
; SGPRBlocks: 3
; VGPRBlocks: 9
; NumSGPRsForWavesPerEU: 32
; NumVGPRsForWavesPerEU: 39
; Occupancy: 6
; WaveLimiterHint : 0
; COMPUTE_PGM_RSRC2:SCRATCH_EN: 0
; COMPUTE_PGM_RSRC2:USER_SGPR: 6
; COMPUTE_PGM_RSRC2:TRAP_HANDLER: 0
; COMPUTE_PGM_RSRC2:TGID_X_EN: 1
; COMPUTE_PGM_RSRC2:TGID_Y_EN: 1
; COMPUTE_PGM_RSRC2:TGID_Z_EN: 1
; COMPUTE_PGM_RSRC2:TIDIG_COMP_CNT: 1
	.section	.text._ZL13mul_mat_vec_qIL9ggml_type20ELi6ELb0ELb0EEvPKvS2_PKi31ggml_cuda_mm_fusion_args_devicePfj15HIP_vector_typeIjLj3EEjjjS8_jjjS8_jjjj,"axG",@progbits,_ZL13mul_mat_vec_qIL9ggml_type20ELi6ELb0ELb0EEvPKvS2_PKi31ggml_cuda_mm_fusion_args_devicePfj15HIP_vector_typeIjLj3EEjjjS8_jjjS8_jjjj,comdat
	.globl	_ZL13mul_mat_vec_qIL9ggml_type20ELi6ELb0ELb0EEvPKvS2_PKi31ggml_cuda_mm_fusion_args_devicePfj15HIP_vector_typeIjLj3EEjjjS8_jjjS8_jjjj ; -- Begin function _ZL13mul_mat_vec_qIL9ggml_type20ELi6ELb0ELb0EEvPKvS2_PKi31ggml_cuda_mm_fusion_args_devicePfj15HIP_vector_typeIjLj3EEjjjS8_jjjS8_jjjj
	.p2align	8
	.type	_ZL13mul_mat_vec_qIL9ggml_type20ELi6ELb0ELb0EEvPKvS2_PKi31ggml_cuda_mm_fusion_args_devicePfj15HIP_vector_typeIjLj3EEjjjS8_jjjS8_jjjj,@function
_ZL13mul_mat_vec_qIL9ggml_type20ELi6ELb0ELb0EEvPKvS2_PKi31ggml_cuda_mm_fusion_args_devicePfj15HIP_vector_typeIjLj3EEjjjS8_jjjS8_jjjj: ; @_ZL13mul_mat_vec_qIL9ggml_type20ELi6ELb0ELb0EEvPKvS2_PKi31ggml_cuda_mm_fusion_args_devicePfj15HIP_vector_typeIjLj3EEjjjS8_jjjS8_jjjj
; %bb.0:
	s_load_dword s9, s[4:5], 0x40
	s_load_dwordx4 s[0:3], s[4:5], 0x50
	s_load_dword s25, s[4:5], 0x60
	s_load_dwordx4 s[12:15], s[4:5], 0x68
	;; [unrolled: 2-line block ×3, first 2 shown]
	v_lshl_or_b32 v2, v1, 6, v0
	s_waitcnt lgkmcnt(0)
	s_lshr_b32 s9, s9, 5
	v_lshrrev_b16_e32 v16, 1, v2
	v_mov_b32_e32 v4, 0
	s_lshl_b32 s6, s6, 1
	v_cmp_gt_u32_e32 vcc, s9, v16
	v_mov_b32_e32 v5, v4
	v_mov_b32_e32 v6, v4
	v_mov_b32_e32 v7, v4
	v_mov_b32_e32 v8, v4
	v_mov_b32_e32 v9, v4
	v_mov_b32_e32 v10, v4
	v_mov_b32_e32 v11, v4
	v_mov_b32_e32 v12, v4
	v_mov_b32_e32 v13, v4
	v_mov_b32_e32 v14, v4
	v_mov_b32_e32 v15, v4
	s_and_saveexec_b64 s[10:11], vcc
	s_cbranch_execz .LBB237_4
; %bb.1:
	s_load_dwordx4 s[20:23], s[4:5], 0x0
	s_mul_i32 s17, s17, s8
	s_mul_hi_u32 s19, s17, 36
	s_mul_i32 s17, s17, 36
	s_mul_i32 s13, s13, s7
	s_waitcnt lgkmcnt(0)
	s_add_u32 s17, s22, s17
	s_addc_u32 s19, s23, s19
	s_mul_hi_u32 s23, s13, 36
	s_mul_i32 s13, s13, 36
	s_add_u32 s22, s17, s13
	s_mul_hi_u32 s3, s3, s7
	s_addc_u32 s23, s19, s23
	s_add_i32 s3, s7, s3
	s_lshr_b32 s3, s3, s25
	s_mul_i32 s3, s3, s12
	s_mul_hi_u32 s12, s15, s8
	s_add_i32 s12, s8, s12
	s_lshr_b32 s12, s12, s24
	s_mul_i32 s12, s12, s16
	v_lshlrev_b32_e32 v3, 1, v0
	s_add_i32 s13, s6, 1
	v_and_b32_e32 v5, 2, v3
	s_add_i32 s12, s12, s3
	s_mul_i32 s3, s6, s0
	s_mul_i32 s0, s0, s13
	v_and_b32_e32 v3, 1, v0
	v_lshrrev_b32_e32 v2, 1, v2
	s_add_i32 s3, s12, s3
	s_add_i32 s0, s12, s0
	v_lshlrev_b32_e32 v17, 3, v3
	v_mad_u64_u32 v[2:3], s[12:13], v2, 36, s[22:23]
	v_mov_b32_e32 v4, 0
	v_lshlrev_b32_e32 v6, 1, v5
	s_lshl_b32 s15, s1, 1
	s_mul_i32 s16, s1, 3
	s_lshl_b32 s17, s1, 2
	s_mul_i32 s19, s1, 5
	s_mov_b64 s[12:13], 0
	v_lshlrev_b32_e32 v18, 1, v6
	s_mov_b32 s24, 0xf6eaddcf
	s_mov_b32 s25, 0x71594535
	v_lshlrev_b32_e32 v19, 2, v5
	v_mov_b32_e32 v20, 0xbfad9881
	v_mov_b32_e32 v21, 0x26190d01
	;; [unrolled: 1-line block ×13, first 2 shown]
.LBB237_2:                              ; =>This Inner Loop Header: Depth=1
	v_add_u32_e32 v24, s3, v16
	v_mad_i64_i32 v[26:27], s[26:27], v24, 18, s[20:21]
	v_add_co_u32_e32 v22, vcc, v2, v17
	v_addc_co_u32_e32 v23, vcc, 0, v3, vcc
	global_load_dwordx2 v[31:32], v[22:23], off offset:4
	global_load_dwordx2 v[33:34], v[22:23], off offset:20
	global_load_dword v25, v[2:3], off
	v_add_co_u32_e32 v22, vcc, v26, v18
	v_addc_co_u32_e32 v23, vcc, 0, v27, vcc
	global_load_dwordx2 v[23:24], v[22:23], off offset:2
	s_waitcnt vmcnt(1)
	v_cvt_f32_f16_e32 v37, v25
	global_load_ushort v26, v[26:27], off
	s_waitcnt vmcnt(1)
	v_ashrrev_i32_e32 v25, 4, v23
	v_and_b32_e32 v22, 0x7070707, v23
	v_lshrrev_b32_e32 v23, 1, v23
	v_and_b32_e32 v23, 0x4040404, v23
	v_perm_b32 v28, s24, v20, v22
	v_perm_b32 v22, s25, v21, v22
	v_or_b32_e32 v23, 0x3020100, v23
	v_perm_b32 v22, v22, v28, v23
	v_lshrrev_b32_e32 v23, 1, v25
	v_and_b32_e32 v29, 0x7070707, v25
	v_and_b32_e32 v23, 0x4040404, v23
	v_perm_b32 v30, s24, v20, v29
	v_perm_b32 v29, s25, v21, v29
	v_or_b32_e32 v23, 0x3020100, v23
	v_perm_b32 v23, v29, v30, v23
	v_dot4_i32_i8 v25, v22, v31, 0
	v_dot4_i32_i8 v28, v23, v33, v25
	v_ashrrev_i32_e32 v25, 4, v24
	v_and_b32_e32 v29, 0x7070707, v24
	v_lshrrev_b32_e32 v24, 1, v24
	v_and_b32_e32 v35, 0x7070707, v25
	v_and_b32_e32 v24, 0x4040404, v24
	v_lshrrev_b32_e32 v25, 1, v25
	v_perm_b32 v30, s24, v20, v29
	v_perm_b32 v29, s25, v21, v29
	v_or_b32_e32 v24, 0x3020100, v24
	v_and_b32_e32 v25, 0x4040404, v25
	v_perm_b32 v36, s24, v20, v35
	v_perm_b32 v35, s25, v21, v35
	;; [unrolled: 1-line block ×3, first 2 shown]
	v_or_b32_e32 v25, 0x3020100, v25
	v_perm_b32 v25, v35, v36, v25
	v_dot4_i32_i8 v28, v24, v32, v28
	v_dot4_i32_i8 v28, v25, v34, v28
	v_cvt_f32_i32_e32 v28, v28
	s_waitcnt vmcnt(0)
	v_cvt_f32_f16_e32 v26, v26
	v_mul_f32_e32 v27, v26, v37
	v_fmac_f32_e32 v15, v27, v28
	v_add_u32_e32 v27, s0, v16
	v_mad_i64_i32 v[35:36], s[26:27], v27, 18, s[20:21]
	v_add_co_u32_e32 v27, vcc, v35, v18
	v_addc_co_u32_e32 v28, vcc, 0, v36, vcc
	global_load_dwordx2 v[27:28], v[27:28], off offset:2
	s_waitcnt vmcnt(0)
	v_ashrrev_i32_e32 v30, 4, v27
	v_and_b32_e32 v29, 0x7070707, v27
	v_lshrrev_b32_e32 v27, 1, v27
	v_and_b32_e32 v27, 0x4040404, v27
	v_perm_b32 v38, s24, v20, v29
	v_perm_b32 v29, s25, v21, v29
	v_or_b32_e32 v27, 0x3020100, v27
	v_perm_b32 v29, v29, v38, v27
	v_lshrrev_b32_e32 v27, 1, v30
	v_and_b32_e32 v39, 0x7070707, v30
	v_and_b32_e32 v27, 0x4040404, v27
	v_perm_b32 v40, s24, v20, v39
	v_perm_b32 v39, s25, v21, v39
	v_or_b32_e32 v27, 0x3020100, v27
	v_perm_b32 v30, v39, v40, v27
	v_dot4_i32_i8 v27, v29, v31, 0
	v_dot4_i32_i8 v27, v30, v33, v27
	v_ashrrev_i32_e32 v33, 4, v28
	v_and_b32_e32 v31, 0x7070707, v28
	v_lshrrev_b32_e32 v28, 1, v28
	v_and_b32_e32 v28, 0x4040404, v28
	v_perm_b32 v38, s24, v20, v31
	v_perm_b32 v31, s25, v21, v31
	v_or_b32_e32 v28, 0x3020100, v28
	v_perm_b32 v31, v31, v38, v28
	v_lshrrev_b32_e32 v28, 1, v33
	v_and_b32_e32 v39, 0x7070707, v33
	v_and_b32_e32 v28, 0x4040404, v28
	v_perm_b32 v40, s24, v20, v39
	v_perm_b32 v39, s25, v21, v39
	v_or_b32_e32 v28, 0x3020100, v28
	v_perm_b32 v28, v39, v40, v28
	v_dot4_i32_i8 v27, v31, v32, v27
	v_dot4_i32_i8 v32, v28, v34, v27
	global_load_ushort v27, v[35:36], off
	v_cvt_f32_i32_e32 v32, v32
	s_waitcnt vmcnt(0)
	v_cvt_f32_f16_e32 v27, v27
	v_mul_f32_e32 v33, v27, v37
	v_fmac_f32_e32 v14, v33, v32
	v_add_u32_e32 v32, s1, v16
	v_mad_u64_u32 v[32:33], s[26:27], v32, 36, s[22:23]
	v_add_co_u32_e32 v34, vcc, v32, v19
	v_addc_co_u32_e32 v35, vcc, 0, v33, vcc
	global_load_dwordx2 v[36:37], v[34:35], off offset:4
	global_load_dwordx2 v[38:39], v[34:35], off offset:20
	global_load_dword v40, v[32:33], off
	s_waitcnt vmcnt(2)
	v_dot4_i32_i8 v33, v22, v36, 0
	s_waitcnt vmcnt(1)
	v_dot4_i32_i8 v33, v23, v38, v33
	v_dot4_i32_i8 v33, v24, v37, v33
	s_waitcnt vmcnt(0)
	v_cvt_f32_f16_e32 v32, v40
	v_dot4_i32_i8 v33, v25, v39, v33
	v_cvt_f32_i32_e32 v33, v33
	v_mul_f32_e32 v34, v26, v32
	v_mul_f32_e32 v32, v27, v32
	v_fmac_f32_e32 v13, v34, v33
	v_dot4_i32_i8 v33, v29, v36, 0
	v_dot4_i32_i8 v33, v30, v38, v33
	v_dot4_i32_i8 v33, v31, v37, v33
	v_dot4_i32_i8 v33, v28, v39, v33
	v_cvt_f32_i32_e32 v33, v33
	v_fmac_f32_e32 v12, v32, v33
	v_add_u32_e32 v32, s15, v16
	v_mad_u64_u32 v[32:33], s[26:27], v32, 36, s[22:23]
	v_add_co_u32_e32 v34, vcc, v32, v19
	v_addc_co_u32_e32 v35, vcc, 0, v33, vcc
	global_load_dwordx2 v[36:37], v[34:35], off offset:4
	global_load_dwordx2 v[38:39], v[34:35], off offset:20
	global_load_dword v40, v[32:33], off
	s_waitcnt vmcnt(2)
	v_dot4_i32_i8 v33, v22, v36, 0
	s_waitcnt vmcnt(1)
	v_dot4_i32_i8 v33, v23, v38, v33
	v_dot4_i32_i8 v33, v24, v37, v33
	s_waitcnt vmcnt(0)
	v_cvt_f32_f16_e32 v32, v40
	v_dot4_i32_i8 v33, v25, v39, v33
	v_cvt_f32_i32_e32 v33, v33
	v_mul_f32_e32 v34, v26, v32
	v_mul_f32_e32 v32, v27, v32
	v_fmac_f32_e32 v11, v34, v33
	v_dot4_i32_i8 v33, v29, v36, 0
	v_dot4_i32_i8 v33, v30, v38, v33
	v_dot4_i32_i8 v33, v31, v37, v33
	v_dot4_i32_i8 v33, v28, v39, v33
	v_cvt_f32_i32_e32 v33, v33
	;; [unrolled: 25-line block ×4, first 2 shown]
	v_fmac_f32_e32 v6, v32, v33
	v_add_u32_e32 v32, s19, v16
	v_mad_u64_u32 v[32:33], s[26:27], v32, 36, s[22:23]
	v_add_u32_e32 v16, 32, v16
	v_add_co_u32_e32 v34, vcc, v32, v19
	v_addc_co_u32_e32 v35, vcc, 0, v33, vcc
	global_load_dwordx2 v[36:37], v[34:35], off offset:4
	global_load_dwordx2 v[38:39], v[34:35], off offset:20
	global_load_dword v40, v[32:33], off
	v_add_co_u32_e32 v2, vcc, 0x480, v2
	v_addc_co_u32_e32 v3, vcc, 0, v3, vcc
	v_cmp_le_u32_e32 vcc, s9, v16
	s_or_b64 s[12:13], vcc, s[12:13]
	s_waitcnt vmcnt(2)
	v_dot4_i32_i8 v22, v22, v36, 0
	s_waitcnt vmcnt(1)
	v_dot4_i32_i8 v22, v23, v38, v22
	v_dot4_i32_i8 v22, v24, v37, v22
	s_waitcnt vmcnt(0)
	v_cvt_f32_f16_e32 v32, v40
	v_dot4_i32_i8 v22, v25, v39, v22
	v_cvt_f32_i32_e32 v22, v22
	v_mul_f32_e32 v23, v26, v32
	v_fmac_f32_e32 v5, v23, v22
	v_dot4_i32_i8 v22, v29, v36, 0
	v_dot4_i32_i8 v22, v30, v38, v22
	;; [unrolled: 1-line block ×4, first 2 shown]
	v_cvt_f32_i32_e32 v22, v22
	v_mul_f32_e32 v23, v27, v32
	v_fmac_f32_e32 v4, v23, v22
	s_andn2_b64 exec, exec, s[12:13]
	s_cbranch_execnz .LBB237_2
; %bb.3:
	s_or_b64 exec, exec, s[12:13]
.LBB237_4:
	s_or_b64 exec, exec, s[10:11]
	s_mov_b32 s1, 0
	v_cmp_eq_u32_e32 vcc, 0, v1
	; wave barrier
	s_and_saveexec_b64 s[10:11], vcc
	s_cbranch_execz .LBB237_17
; %bb.5:
	v_mbcnt_lo_u32_b32 v1, -1, 0
	v_mbcnt_hi_u32_b32 v17, -1, v1
	v_and_b32_e32 v1, 64, v17
	v_add_u32_e32 v18, 64, v1
	v_xor_b32_e32 v1, 32, v17
	v_cmp_lt_i32_e32 vcc, v1, v18
	v_cndmask_b32_e32 v1, v17, v1, vcc
	v_lshlrev_b32_e32 v1, 2, v1
	ds_bpermute_b32 v19, v1, v15
	ds_bpermute_b32 v20, v1, v14
	v_xor_b32_e32 v2, 16, v17
	v_cmp_lt_i32_e32 vcc, v2, v18
	v_cndmask_b32_e32 v2, v17, v2, vcc
	v_lshlrev_b32_e32 v2, 2, v2
	s_waitcnt lgkmcnt(1)
	v_add_f32_e32 v15, v15, v19
	s_waitcnt lgkmcnt(0)
	v_add_f32_e32 v14, v14, v20
	ds_bpermute_b32 v19, v2, v15
	ds_bpermute_b32 v20, v2, v14
	v_xor_b32_e32 v3, 8, v17
	v_cmp_lt_i32_e32 vcc, v3, v18
	v_cndmask_b32_e32 v3, v17, v3, vcc
	v_lshlrev_b32_e32 v3, 2, v3
	s_waitcnt lgkmcnt(1)
	v_add_f32_e32 v15, v15, v19
	s_waitcnt lgkmcnt(0)
	v_add_f32_e32 v20, v14, v20
	;; [unrolled: 10-line block ×3, first 2 shown]
	ds_bpermute_b32 v19, v16, v15
	ds_bpermute_b32 v22, v16, v20
	v_xor_b32_e32 v21, 2, v17
	v_cmp_lt_i32_e32 vcc, v21, v18
	v_cndmask_b32_e32 v21, v17, v21, vcc
	v_lshlrev_b32_e32 v14, 2, v21
	v_xor_b32_e32 v21, 1, v17
	v_cmp_lt_i32_e32 vcc, v21, v18
	s_waitcnt lgkmcnt(1)
	v_add_f32_e32 v15, v15, v19
	s_waitcnt lgkmcnt(0)
	v_add_f32_e32 v20, v20, v22
	v_cndmask_b32_e32 v17, v17, v21, vcc
	ds_bpermute_b32 v19, v14, v15
	ds_bpermute_b32 v21, v14, v20
	s_load_dwordx2 s[4:5], s[4:5], 0x38
	s_mul_i32 s3, s14, s7
	v_lshlrev_b32_e32 v18, 2, v17
	s_waitcnt lgkmcnt(0)
	v_add_f32_e32 v15, v15, v19
	v_add_f32_e32 v19, v20, v21
	s_mul_i32 s0, s18, s8
	s_add_i32 s3, s3, s6
	ds_bpermute_b32 v17, v18, v15
	ds_bpermute_b32 v20, v18, v19
	s_add_i32 s0, s3, s0
	s_lshl_b64 s[0:1], s[0:1], 2
	s_add_u32 s4, s4, s0
	v_add_u32_e32 v21, s6, v0
	s_addc_u32 s5, s5, s1
	v_cmp_gt_u32_e32 vcc, 2, v0
	v_cmp_gt_u32_e64 s[0:1], s2, v21
	s_and_b64 s[0:1], vcc, s[0:1]
	s_waitcnt lgkmcnt(1)
	v_add_f32_e32 v15, v15, v17
	s_waitcnt lgkmcnt(0)
	v_add_f32_e32 v17, v19, v20
	s_and_saveexec_b64 s[6:7], s[0:1]
	s_cbranch_execz .LBB237_7
; %bb.6:
	v_cmp_eq_u32_e32 vcc, 1, v0
	v_cndmask_b32_e32 v19, v15, v17, vcc
	v_cmp_eq_u32_e32 vcc, 2, v0
	v_cndmask_b32_e32 v19, v19, v13, vcc
	;; [unrolled: 2-line block ×11, first 2 shown]
	v_lshlrev_b32_e32 v20, 2, v0
	global_store_dword v20, v19, s[4:5]
.LBB237_7:
	s_or_b64 exec, exec, s[6:7]
	ds_bpermute_b32 v19, v1, v13
	ds_bpermute_b32 v20, v1, v12
	s_waitcnt lgkmcnt(1)
	v_add_f32_e32 v13, v13, v19
	s_waitcnt lgkmcnt(0)
	v_add_f32_e32 v12, v12, v20
	ds_bpermute_b32 v19, v2, v13
	ds_bpermute_b32 v20, v2, v12
	s_waitcnt lgkmcnt(1)
	v_add_f32_e32 v13, v13, v19
	s_waitcnt lgkmcnt(0)
	v_add_f32_e32 v12, v12, v20
	;; [unrolled: 6-line block ×6, first 2 shown]
	s_and_saveexec_b64 s[6:7], s[0:1]
	s_cbranch_execz .LBB237_9
; %bb.8:
	v_add_u32_e32 v19, 2, v0
	v_cmp_eq_u32_e32 vcc, 1, v19
	v_cndmask_b32_e32 v20, v15, v17, vcc
	v_cmp_eq_u32_e32 vcc, 2, v19
	v_cndmask_b32_e32 v20, v20, v13, vcc
	;; [unrolled: 2-line block ×11, first 2 shown]
	v_add_u32_e32 v19, s2, v0
	v_mov_b32_e32 v20, 0
	v_lshlrev_b64 v[19:20], 2, v[19:20]
	v_mov_b32_e32 v22, s5
	v_add_co_u32_e32 v19, vcc, s4, v19
	v_addc_co_u32_e32 v20, vcc, v22, v20, vcc
	global_store_dword v[19:20], v21, off
.LBB237_9:
	s_or_b64 exec, exec, s[6:7]
	ds_bpermute_b32 v19, v1, v11
	ds_bpermute_b32 v20, v1, v10
	s_waitcnt lgkmcnt(1)
	v_add_f32_e32 v11, v11, v19
	s_waitcnt lgkmcnt(0)
	v_add_f32_e32 v10, v10, v20
	ds_bpermute_b32 v19, v2, v11
	ds_bpermute_b32 v20, v2, v10
	s_waitcnt lgkmcnt(1)
	v_add_f32_e32 v11, v11, v19
	s_waitcnt lgkmcnt(0)
	v_add_f32_e32 v10, v10, v20
	;; [unrolled: 6-line block ×6, first 2 shown]
	s_and_saveexec_b64 s[6:7], s[0:1]
	s_cbranch_execz .LBB237_11
; %bb.10:
	v_add_u32_e32 v19, 4, v0
	v_cmp_eq_u32_e32 vcc, 1, v19
	v_cndmask_b32_e32 v20, v15, v17, vcc
	v_cmp_eq_u32_e32 vcc, 2, v19
	v_cndmask_b32_e32 v20, v20, v13, vcc
	;; [unrolled: 2-line block ×11, first 2 shown]
	v_lshl_or_b32 v19, s2, 1, v0
	v_mov_b32_e32 v20, 0
	v_lshlrev_b64 v[19:20], 2, v[19:20]
	v_mov_b32_e32 v22, s5
	v_add_co_u32_e32 v19, vcc, s4, v19
	v_addc_co_u32_e32 v20, vcc, v22, v20, vcc
	global_store_dword v[19:20], v21, off
.LBB237_11:
	s_or_b64 exec, exec, s[6:7]
	ds_bpermute_b32 v19, v1, v9
	ds_bpermute_b32 v20, v1, v8
	s_waitcnt lgkmcnt(1)
	v_add_f32_e32 v9, v9, v19
	s_waitcnt lgkmcnt(0)
	v_add_f32_e32 v8, v8, v20
	ds_bpermute_b32 v19, v2, v9
	ds_bpermute_b32 v20, v2, v8
	s_waitcnt lgkmcnt(1)
	v_add_f32_e32 v9, v9, v19
	s_waitcnt lgkmcnt(0)
	v_add_f32_e32 v8, v8, v20
	;; [unrolled: 6-line block ×6, first 2 shown]
	s_and_saveexec_b64 s[6:7], s[0:1]
	s_cbranch_execz .LBB237_13
; %bb.12:
	v_add_u32_e32 v21, 6, v0
	v_cmp_eq_u32_e32 vcc, 1, v21
	v_cndmask_b32_e32 v19, v15, v17, vcc
	v_cmp_eq_u32_e32 vcc, 2, v21
	v_cndmask_b32_e32 v19, v19, v13, vcc
	;; [unrolled: 2-line block ×10, first 2 shown]
	v_mad_u64_u32 v[19:20], s[8:9], s2, 3, v[0:1]
	v_mov_b32_e32 v20, 0
	v_cmp_eq_u32_e32 vcc, 11, v21
	v_lshlrev_b64 v[19:20], 2, v[19:20]
	v_cndmask_b32_e32 v21, v22, v4, vcc
	v_mov_b32_e32 v22, s5
	v_add_co_u32_e32 v19, vcc, s4, v19
	v_addc_co_u32_e32 v20, vcc, v22, v20, vcc
	global_store_dword v[19:20], v21, off
.LBB237_13:
	s_or_b64 exec, exec, s[6:7]
	ds_bpermute_b32 v19, v1, v7
	ds_bpermute_b32 v20, v1, v6
	s_waitcnt lgkmcnt(1)
	v_add_f32_e32 v7, v7, v19
	s_waitcnt lgkmcnt(0)
	v_add_f32_e32 v6, v6, v20
	ds_bpermute_b32 v19, v2, v7
	ds_bpermute_b32 v20, v2, v6
	s_waitcnt lgkmcnt(1)
	v_add_f32_e32 v7, v7, v19
	s_waitcnt lgkmcnt(0)
	v_add_f32_e32 v6, v6, v20
	;; [unrolled: 6-line block ×6, first 2 shown]
	s_and_saveexec_b64 s[6:7], s[0:1]
	s_cbranch_execz .LBB237_15
; %bb.14:
	v_add_u32_e32 v19, 8, v0
	v_cmp_eq_u32_e32 vcc, 1, v19
	v_cndmask_b32_e32 v20, v15, v17, vcc
	v_cmp_eq_u32_e32 vcc, 2, v19
	v_cndmask_b32_e32 v20, v20, v13, vcc
	;; [unrolled: 2-line block ×11, first 2 shown]
	v_lshl_or_b32 v19, s2, 2, v0
	v_mov_b32_e32 v20, 0
	v_lshlrev_b64 v[19:20], 2, v[19:20]
	v_mov_b32_e32 v22, s5
	v_add_co_u32_e32 v19, vcc, s4, v19
	v_addc_co_u32_e32 v20, vcc, v22, v20, vcc
	global_store_dword v[19:20], v21, off
.LBB237_15:
	s_or_b64 exec, exec, s[6:7]
	ds_bpermute_b32 v19, v1, v5
	ds_bpermute_b32 v1, v1, v4
	s_waitcnt lgkmcnt(1)
	v_add_f32_e32 v5, v5, v19
	s_waitcnt lgkmcnt(0)
	v_add_f32_e32 v1, v4, v1
	ds_bpermute_b32 v4, v2, v5
	ds_bpermute_b32 v2, v2, v1
	s_waitcnt lgkmcnt(1)
	v_add_f32_e32 v4, v5, v4
	s_waitcnt lgkmcnt(0)
	v_add_f32_e32 v1, v1, v2
	;; [unrolled: 6-line block ×5, first 2 shown]
	ds_bpermute_b32 v3, v18, v1
	ds_bpermute_b32 v4, v18, v2
	s_and_b64 exec, exec, s[0:1]
	s_cbranch_execz .LBB237_17
; %bb.16:
	s_waitcnt lgkmcnt(1)
	v_add_f32_e32 v1, v1, v3
	v_add_u32_e32 v3, 10, v0
	v_cmp_eq_u32_e32 vcc, 1, v3
	s_waitcnt lgkmcnt(0)
	v_add_f32_e32 v2, v2, v4
	v_cndmask_b32_e32 v4, v15, v17, vcc
	v_cmp_eq_u32_e32 vcc, 2, v3
	v_cndmask_b32_e32 v4, v4, v13, vcc
	v_cmp_eq_u32_e32 vcc, 3, v3
	v_cndmask_b32_e32 v4, v4, v12, vcc
	v_cmp_eq_u32_e32 vcc, 4, v3
	v_cndmask_b32_e32 v4, v4, v11, vcc
	v_cmp_eq_u32_e32 vcc, 5, v3
	v_cndmask_b32_e32 v4, v4, v10, vcc
	v_cmp_eq_u32_e32 vcc, 6, v3
	v_cndmask_b32_e32 v4, v4, v9, vcc
	v_cmp_eq_u32_e32 vcc, 7, v3
	v_cndmask_b32_e32 v4, v4, v8, vcc
	v_cmp_eq_u32_e32 vcc, 8, v3
	v_cndmask_b32_e32 v4, v4, v7, vcc
	v_cmp_eq_u32_e32 vcc, 9, v3
	v_cndmask_b32_e32 v4, v4, v6, vcc
	v_cmp_eq_u32_e32 vcc, 10, v3
	v_cndmask_b32_e32 v4, v4, v1, vcc
	v_mad_u64_u32 v[0:1], s[0:1], s2, 5, v[0:1]
	v_mov_b32_e32 v1, 0
	v_cmp_eq_u32_e32 vcc, 11, v3
	v_lshlrev_b64 v[0:1], 2, v[0:1]
	v_cndmask_b32_e32 v2, v4, v2, vcc
	v_mov_b32_e32 v3, s5
	v_add_co_u32_e32 v0, vcc, s4, v0
	v_addc_co_u32_e32 v1, vcc, v3, v1, vcc
	global_store_dword v[0:1], v2, off
.LBB237_17:
	s_endpgm
	.section	.rodata,"a",@progbits
	.p2align	6, 0x0
	.amdhsa_kernel _ZL13mul_mat_vec_qIL9ggml_type20ELi6ELb0ELb0EEvPKvS2_PKi31ggml_cuda_mm_fusion_args_devicePfj15HIP_vector_typeIjLj3EEjjjS8_jjjS8_jjjj
		.amdhsa_group_segment_fixed_size 0
		.amdhsa_private_segment_fixed_size 0
		.amdhsa_kernarg_size 144
		.amdhsa_user_sgpr_count 6
		.amdhsa_user_sgpr_private_segment_buffer 1
		.amdhsa_user_sgpr_dispatch_ptr 0
		.amdhsa_user_sgpr_queue_ptr 0
		.amdhsa_user_sgpr_kernarg_segment_ptr 1
		.amdhsa_user_sgpr_dispatch_id 0
		.amdhsa_user_sgpr_flat_scratch_init 0
		.amdhsa_user_sgpr_private_segment_size 0
		.amdhsa_uses_dynamic_stack 0
		.amdhsa_system_sgpr_private_segment_wavefront_offset 0
		.amdhsa_system_sgpr_workgroup_id_x 1
		.amdhsa_system_sgpr_workgroup_id_y 1
		.amdhsa_system_sgpr_workgroup_id_z 1
		.amdhsa_system_sgpr_workgroup_info 0
		.amdhsa_system_vgpr_workitem_id 1
		.amdhsa_next_free_vgpr 41
		.amdhsa_next_free_sgpr 28
		.amdhsa_reserve_vcc 1
		.amdhsa_reserve_flat_scratch 0
		.amdhsa_float_round_mode_32 0
		.amdhsa_float_round_mode_16_64 0
		.amdhsa_float_denorm_mode_32 3
		.amdhsa_float_denorm_mode_16_64 3
		.amdhsa_dx10_clamp 1
		.amdhsa_ieee_mode 1
		.amdhsa_fp16_overflow 0
		.amdhsa_exception_fp_ieee_invalid_op 0
		.amdhsa_exception_fp_denorm_src 0
		.amdhsa_exception_fp_ieee_div_zero 0
		.amdhsa_exception_fp_ieee_overflow 0
		.amdhsa_exception_fp_ieee_underflow 0
		.amdhsa_exception_fp_ieee_inexact 0
		.amdhsa_exception_int_div_zero 0
	.end_amdhsa_kernel
	.section	.text._ZL13mul_mat_vec_qIL9ggml_type20ELi6ELb0ELb0EEvPKvS2_PKi31ggml_cuda_mm_fusion_args_devicePfj15HIP_vector_typeIjLj3EEjjjS8_jjjS8_jjjj,"axG",@progbits,_ZL13mul_mat_vec_qIL9ggml_type20ELi6ELb0ELb0EEvPKvS2_PKi31ggml_cuda_mm_fusion_args_devicePfj15HIP_vector_typeIjLj3EEjjjS8_jjjS8_jjjj,comdat
.Lfunc_end237:
	.size	_ZL13mul_mat_vec_qIL9ggml_type20ELi6ELb0ELb0EEvPKvS2_PKi31ggml_cuda_mm_fusion_args_devicePfj15HIP_vector_typeIjLj3EEjjjS8_jjjS8_jjjj, .Lfunc_end237-_ZL13mul_mat_vec_qIL9ggml_type20ELi6ELb0ELb0EEvPKvS2_PKi31ggml_cuda_mm_fusion_args_devicePfj15HIP_vector_typeIjLj3EEjjjS8_jjjS8_jjjj
                                        ; -- End function
	.set _ZL13mul_mat_vec_qIL9ggml_type20ELi6ELb0ELb0EEvPKvS2_PKi31ggml_cuda_mm_fusion_args_devicePfj15HIP_vector_typeIjLj3EEjjjS8_jjjS8_jjjj.num_vgpr, 41
	.set _ZL13mul_mat_vec_qIL9ggml_type20ELi6ELb0ELb0EEvPKvS2_PKi31ggml_cuda_mm_fusion_args_devicePfj15HIP_vector_typeIjLj3EEjjjS8_jjjS8_jjjj.num_agpr, 0
	.set _ZL13mul_mat_vec_qIL9ggml_type20ELi6ELb0ELb0EEvPKvS2_PKi31ggml_cuda_mm_fusion_args_devicePfj15HIP_vector_typeIjLj3EEjjjS8_jjjS8_jjjj.numbered_sgpr, 28
	.set _ZL13mul_mat_vec_qIL9ggml_type20ELi6ELb0ELb0EEvPKvS2_PKi31ggml_cuda_mm_fusion_args_devicePfj15HIP_vector_typeIjLj3EEjjjS8_jjjS8_jjjj.num_named_barrier, 0
	.set _ZL13mul_mat_vec_qIL9ggml_type20ELi6ELb0ELb0EEvPKvS2_PKi31ggml_cuda_mm_fusion_args_devicePfj15HIP_vector_typeIjLj3EEjjjS8_jjjS8_jjjj.private_seg_size, 0
	.set _ZL13mul_mat_vec_qIL9ggml_type20ELi6ELb0ELb0EEvPKvS2_PKi31ggml_cuda_mm_fusion_args_devicePfj15HIP_vector_typeIjLj3EEjjjS8_jjjS8_jjjj.uses_vcc, 1
	.set _ZL13mul_mat_vec_qIL9ggml_type20ELi6ELb0ELb0EEvPKvS2_PKi31ggml_cuda_mm_fusion_args_devicePfj15HIP_vector_typeIjLj3EEjjjS8_jjjS8_jjjj.uses_flat_scratch, 0
	.set _ZL13mul_mat_vec_qIL9ggml_type20ELi6ELb0ELb0EEvPKvS2_PKi31ggml_cuda_mm_fusion_args_devicePfj15HIP_vector_typeIjLj3EEjjjS8_jjjS8_jjjj.has_dyn_sized_stack, 0
	.set _ZL13mul_mat_vec_qIL9ggml_type20ELi6ELb0ELb0EEvPKvS2_PKi31ggml_cuda_mm_fusion_args_devicePfj15HIP_vector_typeIjLj3EEjjjS8_jjjS8_jjjj.has_recursion, 0
	.set _ZL13mul_mat_vec_qIL9ggml_type20ELi6ELb0ELb0EEvPKvS2_PKi31ggml_cuda_mm_fusion_args_devicePfj15HIP_vector_typeIjLj3EEjjjS8_jjjS8_jjjj.has_indirect_call, 0
	.section	.AMDGPU.csdata,"",@progbits
; Kernel info:
; codeLenInByte = 3984
; TotalNumSgprs: 32
; NumVgprs: 41
; ScratchSize: 0
; MemoryBound: 0
; FloatMode: 240
; IeeeMode: 1
; LDSByteSize: 0 bytes/workgroup (compile time only)
; SGPRBlocks: 3
; VGPRBlocks: 10
; NumSGPRsForWavesPerEU: 32
; NumVGPRsForWavesPerEU: 41
; Occupancy: 5
; WaveLimiterHint : 0
; COMPUTE_PGM_RSRC2:SCRATCH_EN: 0
; COMPUTE_PGM_RSRC2:USER_SGPR: 6
; COMPUTE_PGM_RSRC2:TRAP_HANDLER: 0
; COMPUTE_PGM_RSRC2:TGID_X_EN: 1
; COMPUTE_PGM_RSRC2:TGID_Y_EN: 1
; COMPUTE_PGM_RSRC2:TGID_Z_EN: 1
; COMPUTE_PGM_RSRC2:TIDIG_COMP_CNT: 1
	.section	.text._ZL13mul_mat_vec_qIL9ggml_type20ELi7ELb0ELb0EEvPKvS2_PKi31ggml_cuda_mm_fusion_args_devicePfj15HIP_vector_typeIjLj3EEjjjS8_jjjS8_jjjj,"axG",@progbits,_ZL13mul_mat_vec_qIL9ggml_type20ELi7ELb0ELb0EEvPKvS2_PKi31ggml_cuda_mm_fusion_args_devicePfj15HIP_vector_typeIjLj3EEjjjS8_jjjS8_jjjj,comdat
	.globl	_ZL13mul_mat_vec_qIL9ggml_type20ELi7ELb0ELb0EEvPKvS2_PKi31ggml_cuda_mm_fusion_args_devicePfj15HIP_vector_typeIjLj3EEjjjS8_jjjS8_jjjj ; -- Begin function _ZL13mul_mat_vec_qIL9ggml_type20ELi7ELb0ELb0EEvPKvS2_PKi31ggml_cuda_mm_fusion_args_devicePfj15HIP_vector_typeIjLj3EEjjjS8_jjjS8_jjjj
	.p2align	8
	.type	_ZL13mul_mat_vec_qIL9ggml_type20ELi7ELb0ELb0EEvPKvS2_PKi31ggml_cuda_mm_fusion_args_devicePfj15HIP_vector_typeIjLj3EEjjjS8_jjjS8_jjjj,@function
_ZL13mul_mat_vec_qIL9ggml_type20ELi7ELb0ELb0EEvPKvS2_PKi31ggml_cuda_mm_fusion_args_devicePfj15HIP_vector_typeIjLj3EEjjjS8_jjjS8_jjjj: ; @_ZL13mul_mat_vec_qIL9ggml_type20ELi7ELb0ELb0EEvPKvS2_PKi31ggml_cuda_mm_fusion_args_devicePfj15HIP_vector_typeIjLj3EEjjjS8_jjjS8_jjjj
; %bb.0:
	s_load_dword s9, s[4:5], 0x40
	s_load_dwordx4 s[0:3], s[4:5], 0x50
	s_load_dword s25, s[4:5], 0x60
	s_load_dwordx4 s[12:15], s[4:5], 0x68
	;; [unrolled: 2-line block ×3, first 2 shown]
	v_lshl_or_b32 v2, v1, 6, v0
	s_waitcnt lgkmcnt(0)
	s_lshr_b32 s9, s9, 5
	v_lshrrev_b16_e32 v18, 1, v2
	s_lshl_b32 s6, s6, 1
	v_cmp_gt_u32_e32 vcc, s9, v18
	v_mov_b32_e32 v4, 0
	v_mov_b32_e32 v5, 0
	;; [unrolled: 1-line block ×14, first 2 shown]
	s_and_saveexec_b64 s[10:11], vcc
	s_cbranch_execz .LBB238_4
; %bb.1:
	s_load_dwordx4 s[20:23], s[4:5], 0x0
	s_mul_i32 s17, s17, s8
	s_mul_hi_u32 s19, s17, 36
	s_mul_i32 s17, s17, 36
	s_mul_i32 s13, s13, s7
	s_waitcnt lgkmcnt(0)
	s_add_u32 s17, s22, s17
	s_addc_u32 s19, s23, s19
	s_mul_hi_u32 s23, s13, 36
	s_mul_i32 s13, s13, 36
	s_add_u32 s22, s17, s13
	s_mul_hi_u32 s3, s3, s7
	s_addc_u32 s23, s19, s23
	s_add_i32 s3, s7, s3
	s_lshr_b32 s3, s3, s25
	s_mul_i32 s3, s3, s12
	s_mul_hi_u32 s12, s15, s8
	s_add_i32 s12, s8, s12
	s_lshr_b32 s12, s12, s24
	s_mul_i32 s12, s12, s16
	v_lshlrev_b32_e32 v3, 1, v0
	s_add_i32 s13, s6, 1
	v_and_b32_e32 v5, 2, v3
	s_add_i32 s12, s12, s3
	s_mul_i32 s3, s6, s0
	s_mul_i32 s0, s0, s13
	v_and_b32_e32 v3, 1, v0
	v_lshrrev_b32_e32 v2, 1, v2
	s_add_i32 s3, s12, s3
	s_add_i32 s0, s12, s0
	v_lshlrev_b32_e32 v19, 3, v3
	v_mad_u64_u32 v[2:3], s[12:13], v2, 36, s[22:23]
	v_lshlrev_b32_e32 v6, 1, v5
	v_mov_b32_e32 v4, 0
	s_lshl_b32 s15, s1, 1
	s_mul_i32 s16, s1, 3
	s_lshl_b32 s17, s1, 2
	s_mul_i32 s19, s1, 5
	s_mul_i32 s24, s1, 6
	s_mov_b64 s[12:13], 0
	v_lshlrev_b32_e32 v20, 1, v6
	s_mov_b32 s25, 0xf6eaddcf
	s_mov_b32 s26, 0x71594535
	v_lshlrev_b32_e32 v21, 2, v5
	v_mov_b32_e32 v22, 0xbfad9881
	v_mov_b32_e32 v23, 0x26190d01
	;; [unrolled: 1-line block ×15, first 2 shown]
.LBB238_2:                              ; =>This Inner Loop Header: Depth=1
	v_add_u32_e32 v26, s3, v18
	v_mad_i64_i32 v[28:29], s[28:29], v26, 18, s[20:21]
	v_add_co_u32_e32 v24, vcc, v2, v19
	v_addc_co_u32_e32 v25, vcc, 0, v3, vcc
	global_load_dwordx2 v[33:34], v[24:25], off offset:4
	global_load_dwordx2 v[35:36], v[24:25], off offset:20
	global_load_dword v27, v[2:3], off
	v_add_co_u32_e32 v24, vcc, v28, v20
	v_addc_co_u32_e32 v25, vcc, 0, v29, vcc
	global_load_dwordx2 v[25:26], v[24:25], off offset:2
	s_waitcnt vmcnt(1)
	v_cvt_f32_f16_e32 v39, v27
	global_load_ushort v28, v[28:29], off
	s_waitcnt vmcnt(1)
	v_ashrrev_i32_e32 v27, 4, v25
	v_and_b32_e32 v24, 0x7070707, v25
	v_lshrrev_b32_e32 v25, 1, v25
	v_and_b32_e32 v25, 0x4040404, v25
	v_perm_b32 v30, s25, v22, v24
	v_perm_b32 v24, s26, v23, v24
	v_or_b32_e32 v25, 0x3020100, v25
	v_perm_b32 v24, v24, v30, v25
	v_lshrrev_b32_e32 v25, 1, v27
	v_and_b32_e32 v31, 0x7070707, v27
	v_and_b32_e32 v25, 0x4040404, v25
	v_perm_b32 v32, s25, v22, v31
	v_perm_b32 v31, s26, v23, v31
	v_or_b32_e32 v25, 0x3020100, v25
	v_perm_b32 v25, v31, v32, v25
	v_dot4_i32_i8 v27, v24, v33, 0
	v_dot4_i32_i8 v30, v25, v35, v27
	v_ashrrev_i32_e32 v27, 4, v26
	v_and_b32_e32 v31, 0x7070707, v26
	v_lshrrev_b32_e32 v26, 1, v26
	v_and_b32_e32 v37, 0x7070707, v27
	v_and_b32_e32 v26, 0x4040404, v26
	v_lshrrev_b32_e32 v27, 1, v27
	v_perm_b32 v32, s25, v22, v31
	v_perm_b32 v31, s26, v23, v31
	v_or_b32_e32 v26, 0x3020100, v26
	v_and_b32_e32 v27, 0x4040404, v27
	v_perm_b32 v38, s25, v22, v37
	v_perm_b32 v37, s26, v23, v37
	;; [unrolled: 1-line block ×3, first 2 shown]
	v_or_b32_e32 v27, 0x3020100, v27
	v_perm_b32 v27, v37, v38, v27
	v_dot4_i32_i8 v30, v26, v34, v30
	v_dot4_i32_i8 v30, v27, v36, v30
	v_cvt_f32_i32_e32 v30, v30
	s_waitcnt vmcnt(0)
	v_cvt_f32_f16_e32 v28, v28
	v_mul_f32_e32 v29, v28, v39
	v_fmac_f32_e32 v17, v29, v30
	v_add_u32_e32 v29, s0, v18
	v_mad_i64_i32 v[37:38], s[28:29], v29, 18, s[20:21]
	v_add_co_u32_e32 v29, vcc, v37, v20
	v_addc_co_u32_e32 v30, vcc, 0, v38, vcc
	global_load_dwordx2 v[29:30], v[29:30], off offset:2
	s_waitcnt vmcnt(0)
	v_ashrrev_i32_e32 v32, 4, v29
	v_and_b32_e32 v31, 0x7070707, v29
	v_lshrrev_b32_e32 v29, 1, v29
	v_and_b32_e32 v29, 0x4040404, v29
	v_perm_b32 v40, s25, v22, v31
	v_perm_b32 v31, s26, v23, v31
	v_or_b32_e32 v29, 0x3020100, v29
	v_perm_b32 v31, v31, v40, v29
	v_lshrrev_b32_e32 v29, 1, v32
	v_and_b32_e32 v41, 0x7070707, v32
	v_and_b32_e32 v29, 0x4040404, v29
	v_perm_b32 v42, s25, v22, v41
	v_perm_b32 v41, s26, v23, v41
	v_or_b32_e32 v29, 0x3020100, v29
	v_perm_b32 v32, v41, v42, v29
	v_dot4_i32_i8 v29, v31, v33, 0
	v_dot4_i32_i8 v29, v32, v35, v29
	v_ashrrev_i32_e32 v35, 4, v30
	v_and_b32_e32 v33, 0x7070707, v30
	v_lshrrev_b32_e32 v30, 1, v30
	v_and_b32_e32 v30, 0x4040404, v30
	v_perm_b32 v40, s25, v22, v33
	v_perm_b32 v33, s26, v23, v33
	v_or_b32_e32 v30, 0x3020100, v30
	v_perm_b32 v33, v33, v40, v30
	v_lshrrev_b32_e32 v30, 1, v35
	v_and_b32_e32 v41, 0x7070707, v35
	v_and_b32_e32 v30, 0x4040404, v30
	v_perm_b32 v42, s25, v22, v41
	v_perm_b32 v41, s26, v23, v41
	v_or_b32_e32 v30, 0x3020100, v30
	v_perm_b32 v30, v41, v42, v30
	v_dot4_i32_i8 v29, v33, v34, v29
	v_dot4_i32_i8 v34, v30, v36, v29
	global_load_ushort v29, v[37:38], off
	v_cvt_f32_i32_e32 v34, v34
	s_waitcnt vmcnt(0)
	v_cvt_f32_f16_e32 v29, v29
	v_mul_f32_e32 v35, v29, v39
	v_fmac_f32_e32 v16, v35, v34
	v_add_u32_e32 v34, s1, v18
	v_mad_u64_u32 v[34:35], s[28:29], v34, 36, s[22:23]
	v_add_co_u32_e32 v36, vcc, v34, v21
	v_addc_co_u32_e32 v37, vcc, 0, v35, vcc
	global_load_dwordx2 v[38:39], v[36:37], off offset:4
	global_load_dwordx2 v[40:41], v[36:37], off offset:20
	global_load_dword v42, v[34:35], off
	s_waitcnt vmcnt(2)
	v_dot4_i32_i8 v35, v24, v38, 0
	s_waitcnt vmcnt(1)
	v_dot4_i32_i8 v35, v25, v40, v35
	v_dot4_i32_i8 v35, v26, v39, v35
	s_waitcnt vmcnt(0)
	v_cvt_f32_f16_e32 v34, v42
	v_dot4_i32_i8 v35, v27, v41, v35
	v_cvt_f32_i32_e32 v35, v35
	v_mul_f32_e32 v36, v28, v34
	v_mul_f32_e32 v34, v29, v34
	v_fmac_f32_e32 v15, v36, v35
	v_dot4_i32_i8 v35, v31, v38, 0
	v_dot4_i32_i8 v35, v32, v40, v35
	v_dot4_i32_i8 v35, v33, v39, v35
	v_dot4_i32_i8 v35, v30, v41, v35
	v_cvt_f32_i32_e32 v35, v35
	v_fmac_f32_e32 v14, v34, v35
	v_add_u32_e32 v34, s15, v18
	v_mad_u64_u32 v[34:35], s[28:29], v34, 36, s[22:23]
	v_add_co_u32_e32 v36, vcc, v34, v21
	v_addc_co_u32_e32 v37, vcc, 0, v35, vcc
	global_load_dwordx2 v[38:39], v[36:37], off offset:4
	global_load_dwordx2 v[40:41], v[36:37], off offset:20
	global_load_dword v42, v[34:35], off
	s_waitcnt vmcnt(2)
	v_dot4_i32_i8 v35, v24, v38, 0
	s_waitcnt vmcnt(1)
	v_dot4_i32_i8 v35, v25, v40, v35
	v_dot4_i32_i8 v35, v26, v39, v35
	s_waitcnt vmcnt(0)
	v_cvt_f32_f16_e32 v34, v42
	v_dot4_i32_i8 v35, v27, v41, v35
	v_cvt_f32_i32_e32 v35, v35
	v_mul_f32_e32 v36, v28, v34
	v_mul_f32_e32 v34, v29, v34
	v_fmac_f32_e32 v13, v36, v35
	v_dot4_i32_i8 v35, v31, v38, 0
	v_dot4_i32_i8 v35, v32, v40, v35
	v_dot4_i32_i8 v35, v33, v39, v35
	v_dot4_i32_i8 v35, v30, v41, v35
	v_cvt_f32_i32_e32 v35, v35
	;; [unrolled: 25-line block ×5, first 2 shown]
	v_fmac_f32_e32 v6, v34, v35
	v_add_u32_e32 v34, s24, v18
	v_mad_u64_u32 v[34:35], s[28:29], v34, 36, s[22:23]
	v_add_u32_e32 v18, 32, v18
	v_add_co_u32_e32 v36, vcc, v34, v21
	v_addc_co_u32_e32 v37, vcc, 0, v35, vcc
	global_load_dwordx2 v[38:39], v[36:37], off offset:4
	global_load_dwordx2 v[40:41], v[36:37], off offset:20
	global_load_dword v42, v[34:35], off
	v_add_co_u32_e32 v2, vcc, 0x480, v2
	v_addc_co_u32_e32 v3, vcc, 0, v3, vcc
	v_cmp_le_u32_e32 vcc, s9, v18
	s_or_b64 s[12:13], vcc, s[12:13]
	s_waitcnt vmcnt(2)
	v_dot4_i32_i8 v24, v24, v38, 0
	s_waitcnt vmcnt(1)
	v_dot4_i32_i8 v24, v25, v40, v24
	v_dot4_i32_i8 v24, v26, v39, v24
	s_waitcnt vmcnt(0)
	v_cvt_f32_f16_e32 v34, v42
	v_dot4_i32_i8 v24, v27, v41, v24
	v_cvt_f32_i32_e32 v24, v24
	v_mul_f32_e32 v25, v28, v34
	v_fmac_f32_e32 v5, v25, v24
	v_dot4_i32_i8 v24, v31, v38, 0
	v_dot4_i32_i8 v24, v32, v40, v24
	v_dot4_i32_i8 v24, v33, v39, v24
	v_dot4_i32_i8 v24, v30, v41, v24
	v_cvt_f32_i32_e32 v24, v24
	v_mul_f32_e32 v25, v29, v34
	v_fmac_f32_e32 v4, v25, v24
	s_andn2_b64 exec, exec, s[12:13]
	s_cbranch_execnz .LBB238_2
; %bb.3:
	s_or_b64 exec, exec, s[12:13]
.LBB238_4:
	s_or_b64 exec, exec, s[10:11]
	s_mov_b32 s1, 0
	v_cmp_eq_u32_e32 vcc, 0, v1
	; wave barrier
	s_and_saveexec_b64 s[10:11], vcc
	s_cbranch_execz .LBB238_19
; %bb.5:
	v_mbcnt_lo_u32_b32 v1, -1, 0
	v_mbcnt_hi_u32_b32 v19, -1, v1
	v_and_b32_e32 v1, 64, v19
	v_add_u32_e32 v20, 64, v1
	v_xor_b32_e32 v1, 32, v19
	v_cmp_lt_i32_e32 vcc, v1, v20
	v_cndmask_b32_e32 v1, v19, v1, vcc
	v_lshlrev_b32_e32 v1, 2, v1
	ds_bpermute_b32 v21, v1, v17
	ds_bpermute_b32 v22, v1, v16
	v_xor_b32_e32 v2, 16, v19
	v_cmp_lt_i32_e32 vcc, v2, v20
	v_cndmask_b32_e32 v2, v19, v2, vcc
	v_lshlrev_b32_e32 v2, 2, v2
	s_waitcnt lgkmcnt(1)
	v_add_f32_e32 v17, v17, v21
	s_waitcnt lgkmcnt(0)
	v_add_f32_e32 v16, v16, v22
	ds_bpermute_b32 v21, v2, v17
	ds_bpermute_b32 v22, v2, v16
	v_xor_b32_e32 v3, 8, v19
	v_cmp_lt_i32_e32 vcc, v3, v20
	v_cndmask_b32_e32 v3, v19, v3, vcc
	v_lshlrev_b32_e32 v3, 2, v3
	s_waitcnt lgkmcnt(1)
	v_add_f32_e32 v17, v17, v21
	s_waitcnt lgkmcnt(0)
	v_add_f32_e32 v22, v16, v22
	;; [unrolled: 10-line block ×3, first 2 shown]
	ds_bpermute_b32 v21, v18, v17
	ds_bpermute_b32 v24, v18, v22
	v_xor_b32_e32 v23, 2, v19
	v_cmp_lt_i32_e32 vcc, v23, v20
	v_cndmask_b32_e32 v23, v19, v23, vcc
	v_lshlrev_b32_e32 v16, 2, v23
	v_xor_b32_e32 v23, 1, v19
	v_cmp_lt_i32_e32 vcc, v23, v20
	s_waitcnt lgkmcnt(1)
	v_add_f32_e32 v17, v17, v21
	s_waitcnt lgkmcnt(0)
	v_add_f32_e32 v22, v22, v24
	v_cndmask_b32_e32 v19, v19, v23, vcc
	ds_bpermute_b32 v21, v16, v17
	ds_bpermute_b32 v23, v16, v22
	s_load_dwordx2 s[4:5], s[4:5], 0x38
	s_mul_i32 s3, s14, s7
	v_lshlrev_b32_e32 v20, 2, v19
	s_waitcnt lgkmcnt(0)
	v_add_f32_e32 v17, v17, v21
	v_add_f32_e32 v21, v22, v23
	s_mul_i32 s0, s18, s8
	s_add_i32 s3, s3, s6
	ds_bpermute_b32 v19, v20, v17
	ds_bpermute_b32 v22, v20, v21
	s_add_i32 s0, s3, s0
	s_lshl_b64 s[0:1], s[0:1], 2
	s_add_u32 s4, s4, s0
	v_add_u32_e32 v23, s6, v0
	s_addc_u32 s5, s5, s1
	v_cmp_gt_u32_e32 vcc, 2, v0
	v_cmp_gt_u32_e64 s[0:1], s2, v23
	s_and_b64 s[0:1], vcc, s[0:1]
	s_waitcnt lgkmcnt(1)
	v_add_f32_e32 v17, v17, v19
	s_waitcnt lgkmcnt(0)
	v_add_f32_e32 v19, v21, v22
	s_and_saveexec_b64 s[6:7], s[0:1]
	s_cbranch_execz .LBB238_7
; %bb.6:
	v_cmp_eq_u32_e32 vcc, 1, v0
	v_cndmask_b32_e32 v21, v17, v19, vcc
	v_cmp_eq_u32_e32 vcc, 2, v0
	v_cndmask_b32_e32 v21, v21, v15, vcc
	;; [unrolled: 2-line block ×13, first 2 shown]
	v_lshlrev_b32_e32 v22, 2, v0
	global_store_dword v22, v21, s[4:5]
.LBB238_7:
	s_or_b64 exec, exec, s[6:7]
	ds_bpermute_b32 v21, v1, v15
	ds_bpermute_b32 v22, v1, v14
	s_waitcnt lgkmcnt(1)
	v_add_f32_e32 v15, v15, v21
	s_waitcnt lgkmcnt(0)
	v_add_f32_e32 v14, v14, v22
	ds_bpermute_b32 v21, v2, v15
	ds_bpermute_b32 v22, v2, v14
	s_waitcnt lgkmcnt(1)
	v_add_f32_e32 v15, v15, v21
	s_waitcnt lgkmcnt(0)
	v_add_f32_e32 v14, v14, v22
	;; [unrolled: 6-line block ×6, first 2 shown]
	s_and_saveexec_b64 s[6:7], s[0:1]
	s_cbranch_execz .LBB238_9
; %bb.8:
	v_add_u32_e32 v21, 2, v0
	v_cmp_eq_u32_e32 vcc, 1, v21
	v_cndmask_b32_e32 v22, v17, v19, vcc
	v_cmp_eq_u32_e32 vcc, 2, v21
	v_cndmask_b32_e32 v22, v22, v15, vcc
	;; [unrolled: 2-line block ×13, first 2 shown]
	v_add_u32_e32 v21, s2, v0
	v_mov_b32_e32 v22, 0
	v_lshlrev_b64 v[21:22], 2, v[21:22]
	v_mov_b32_e32 v24, s5
	v_add_co_u32_e32 v21, vcc, s4, v21
	v_addc_co_u32_e32 v22, vcc, v24, v22, vcc
	global_store_dword v[21:22], v23, off
.LBB238_9:
	s_or_b64 exec, exec, s[6:7]
	ds_bpermute_b32 v21, v1, v13
	ds_bpermute_b32 v22, v1, v12
	s_waitcnt lgkmcnt(1)
	v_add_f32_e32 v13, v13, v21
	s_waitcnt lgkmcnt(0)
	v_add_f32_e32 v12, v12, v22
	ds_bpermute_b32 v21, v2, v13
	ds_bpermute_b32 v22, v2, v12
	s_waitcnt lgkmcnt(1)
	v_add_f32_e32 v13, v13, v21
	s_waitcnt lgkmcnt(0)
	v_add_f32_e32 v12, v12, v22
	;; [unrolled: 6-line block ×6, first 2 shown]
	s_and_saveexec_b64 s[6:7], s[0:1]
	s_cbranch_execz .LBB238_11
; %bb.10:
	v_add_u32_e32 v21, 4, v0
	v_cmp_eq_u32_e32 vcc, 1, v21
	v_cndmask_b32_e32 v22, v17, v19, vcc
	v_cmp_eq_u32_e32 vcc, 2, v21
	v_cndmask_b32_e32 v22, v22, v15, vcc
	;; [unrolled: 2-line block ×13, first 2 shown]
	v_lshl_or_b32 v21, s2, 1, v0
	v_mov_b32_e32 v22, 0
	v_lshlrev_b64 v[21:22], 2, v[21:22]
	v_mov_b32_e32 v24, s5
	v_add_co_u32_e32 v21, vcc, s4, v21
	v_addc_co_u32_e32 v22, vcc, v24, v22, vcc
	global_store_dword v[21:22], v23, off
.LBB238_11:
	s_or_b64 exec, exec, s[6:7]
	ds_bpermute_b32 v21, v1, v11
	ds_bpermute_b32 v22, v1, v10
	s_waitcnt lgkmcnt(1)
	v_add_f32_e32 v11, v11, v21
	s_waitcnt lgkmcnt(0)
	v_add_f32_e32 v10, v10, v22
	ds_bpermute_b32 v21, v2, v11
	ds_bpermute_b32 v22, v2, v10
	s_waitcnt lgkmcnt(1)
	v_add_f32_e32 v11, v11, v21
	s_waitcnt lgkmcnt(0)
	v_add_f32_e32 v10, v10, v22
	;; [unrolled: 6-line block ×6, first 2 shown]
	s_and_saveexec_b64 s[6:7], s[0:1]
	s_cbranch_execz .LBB238_13
; %bb.12:
	v_add_u32_e32 v23, 6, v0
	v_cmp_eq_u32_e32 vcc, 1, v23
	v_cndmask_b32_e32 v21, v17, v19, vcc
	v_cmp_eq_u32_e32 vcc, 2, v23
	v_cndmask_b32_e32 v21, v21, v15, vcc
	;; [unrolled: 2-line block ×12, first 2 shown]
	v_mad_u64_u32 v[21:22], s[8:9], s2, 3, v[0:1]
	v_mov_b32_e32 v22, 0
	v_cmp_eq_u32_e32 vcc, 13, v23
	v_lshlrev_b64 v[21:22], 2, v[21:22]
	v_cndmask_b32_e32 v23, v24, v4, vcc
	v_mov_b32_e32 v24, s5
	v_add_co_u32_e32 v21, vcc, s4, v21
	v_addc_co_u32_e32 v22, vcc, v24, v22, vcc
	global_store_dword v[21:22], v23, off
.LBB238_13:
	s_or_b64 exec, exec, s[6:7]
	ds_bpermute_b32 v21, v1, v9
	ds_bpermute_b32 v22, v1, v8
	s_waitcnt lgkmcnt(1)
	v_add_f32_e32 v9, v9, v21
	s_waitcnt lgkmcnt(0)
	v_add_f32_e32 v8, v8, v22
	ds_bpermute_b32 v21, v2, v9
	ds_bpermute_b32 v22, v2, v8
	s_waitcnt lgkmcnt(1)
	v_add_f32_e32 v9, v9, v21
	s_waitcnt lgkmcnt(0)
	v_add_f32_e32 v8, v8, v22
	;; [unrolled: 6-line block ×6, first 2 shown]
	s_and_saveexec_b64 s[6:7], s[0:1]
	s_cbranch_execz .LBB238_15
; %bb.14:
	v_add_u32_e32 v21, 8, v0
	v_cmp_eq_u32_e32 vcc, 1, v21
	v_cndmask_b32_e32 v22, v17, v19, vcc
	v_cmp_eq_u32_e32 vcc, 2, v21
	v_cndmask_b32_e32 v22, v22, v15, vcc
	;; [unrolled: 2-line block ×13, first 2 shown]
	v_lshl_or_b32 v21, s2, 2, v0
	v_mov_b32_e32 v22, 0
	v_lshlrev_b64 v[21:22], 2, v[21:22]
	v_mov_b32_e32 v24, s5
	v_add_co_u32_e32 v21, vcc, s4, v21
	v_addc_co_u32_e32 v22, vcc, v24, v22, vcc
	global_store_dword v[21:22], v23, off
.LBB238_15:
	s_or_b64 exec, exec, s[6:7]
	ds_bpermute_b32 v21, v1, v7
	ds_bpermute_b32 v22, v1, v6
	s_waitcnt lgkmcnt(1)
	v_add_f32_e32 v7, v7, v21
	s_waitcnt lgkmcnt(0)
	v_add_f32_e32 v6, v6, v22
	ds_bpermute_b32 v21, v2, v7
	ds_bpermute_b32 v22, v2, v6
	s_waitcnt lgkmcnt(1)
	v_add_f32_e32 v7, v7, v21
	s_waitcnt lgkmcnt(0)
	v_add_f32_e32 v6, v6, v22
	;; [unrolled: 6-line block ×6, first 2 shown]
	s_and_saveexec_b64 s[6:7], s[0:1]
	s_cbranch_execz .LBB238_17
; %bb.16:
	v_add_u32_e32 v23, 10, v0
	v_cmp_eq_u32_e32 vcc, 1, v23
	v_cndmask_b32_e32 v21, v17, v19, vcc
	v_cmp_eq_u32_e32 vcc, 2, v23
	v_cndmask_b32_e32 v21, v21, v15, vcc
	;; [unrolled: 2-line block ×12, first 2 shown]
	v_mad_u64_u32 v[21:22], s[8:9], s2, 5, v[0:1]
	v_mov_b32_e32 v22, 0
	v_cmp_eq_u32_e32 vcc, 13, v23
	v_lshlrev_b64 v[21:22], 2, v[21:22]
	v_cndmask_b32_e32 v23, v24, v4, vcc
	v_mov_b32_e32 v24, s5
	v_add_co_u32_e32 v21, vcc, s4, v21
	v_addc_co_u32_e32 v22, vcc, v24, v22, vcc
	global_store_dword v[21:22], v23, off
.LBB238_17:
	s_or_b64 exec, exec, s[6:7]
	ds_bpermute_b32 v21, v1, v5
	ds_bpermute_b32 v1, v1, v4
	s_waitcnt lgkmcnt(1)
	v_add_f32_e32 v5, v5, v21
	s_waitcnt lgkmcnt(0)
	v_add_f32_e32 v1, v4, v1
	ds_bpermute_b32 v4, v2, v5
	ds_bpermute_b32 v2, v2, v1
	s_waitcnt lgkmcnt(1)
	v_add_f32_e32 v4, v5, v4
	s_waitcnt lgkmcnt(0)
	v_add_f32_e32 v1, v1, v2
	;; [unrolled: 6-line block ×5, first 2 shown]
	ds_bpermute_b32 v3, v20, v1
	ds_bpermute_b32 v4, v20, v2
	s_and_b64 exec, exec, s[0:1]
	s_cbranch_execz .LBB238_19
; %bb.18:
	s_waitcnt lgkmcnt(1)
	v_add_f32_e32 v1, v1, v3
	v_add_u32_e32 v3, 12, v0
	v_cmp_eq_u32_e32 vcc, 1, v3
	s_waitcnt lgkmcnt(0)
	v_add_f32_e32 v2, v2, v4
	v_cndmask_b32_e32 v4, v17, v19, vcc
	v_cmp_eq_u32_e32 vcc, 2, v3
	v_cndmask_b32_e32 v4, v4, v15, vcc
	v_cmp_eq_u32_e32 vcc, 3, v3
	;; [unrolled: 2-line block ×12, first 2 shown]
	s_mul_i32 s0, s2, 6
	v_cndmask_b32_e32 v2, v1, v2, vcc
	v_or_b32_e32 v0, s0, v0
	v_mov_b32_e32 v1, 0
	v_lshlrev_b64 v[0:1], 2, v[0:1]
	v_mov_b32_e32 v3, s5
	v_add_co_u32_e32 v0, vcc, s4, v0
	v_addc_co_u32_e32 v1, vcc, v3, v1, vcc
	global_store_dword v[0:1], v2, off
.LBB238_19:
	s_endpgm
	.section	.rodata,"a",@progbits
	.p2align	6, 0x0
	.amdhsa_kernel _ZL13mul_mat_vec_qIL9ggml_type20ELi7ELb0ELb0EEvPKvS2_PKi31ggml_cuda_mm_fusion_args_devicePfj15HIP_vector_typeIjLj3EEjjjS8_jjjS8_jjjj
		.amdhsa_group_segment_fixed_size 0
		.amdhsa_private_segment_fixed_size 0
		.amdhsa_kernarg_size 144
		.amdhsa_user_sgpr_count 6
		.amdhsa_user_sgpr_private_segment_buffer 1
		.amdhsa_user_sgpr_dispatch_ptr 0
		.amdhsa_user_sgpr_queue_ptr 0
		.amdhsa_user_sgpr_kernarg_segment_ptr 1
		.amdhsa_user_sgpr_dispatch_id 0
		.amdhsa_user_sgpr_flat_scratch_init 0
		.amdhsa_user_sgpr_private_segment_size 0
		.amdhsa_uses_dynamic_stack 0
		.amdhsa_system_sgpr_private_segment_wavefront_offset 0
		.amdhsa_system_sgpr_workgroup_id_x 1
		.amdhsa_system_sgpr_workgroup_id_y 1
		.amdhsa_system_sgpr_workgroup_id_z 1
		.amdhsa_system_sgpr_workgroup_info 0
		.amdhsa_system_vgpr_workitem_id 1
		.amdhsa_next_free_vgpr 43
		.amdhsa_next_free_sgpr 30
		.amdhsa_reserve_vcc 1
		.amdhsa_reserve_flat_scratch 0
		.amdhsa_float_round_mode_32 0
		.amdhsa_float_round_mode_16_64 0
		.amdhsa_float_denorm_mode_32 3
		.amdhsa_float_denorm_mode_16_64 3
		.amdhsa_dx10_clamp 1
		.amdhsa_ieee_mode 1
		.amdhsa_fp16_overflow 0
		.amdhsa_exception_fp_ieee_invalid_op 0
		.amdhsa_exception_fp_denorm_src 0
		.amdhsa_exception_fp_ieee_div_zero 0
		.amdhsa_exception_fp_ieee_overflow 0
		.amdhsa_exception_fp_ieee_underflow 0
		.amdhsa_exception_fp_ieee_inexact 0
		.amdhsa_exception_int_div_zero 0
	.end_amdhsa_kernel
	.section	.text._ZL13mul_mat_vec_qIL9ggml_type20ELi7ELb0ELb0EEvPKvS2_PKi31ggml_cuda_mm_fusion_args_devicePfj15HIP_vector_typeIjLj3EEjjjS8_jjjS8_jjjj,"axG",@progbits,_ZL13mul_mat_vec_qIL9ggml_type20ELi7ELb0ELb0EEvPKvS2_PKi31ggml_cuda_mm_fusion_args_devicePfj15HIP_vector_typeIjLj3EEjjjS8_jjjS8_jjjj,comdat
.Lfunc_end238:
	.size	_ZL13mul_mat_vec_qIL9ggml_type20ELi7ELb0ELb0EEvPKvS2_PKi31ggml_cuda_mm_fusion_args_devicePfj15HIP_vector_typeIjLj3EEjjjS8_jjjS8_jjjj, .Lfunc_end238-_ZL13mul_mat_vec_qIL9ggml_type20ELi7ELb0ELb0EEvPKvS2_PKi31ggml_cuda_mm_fusion_args_devicePfj15HIP_vector_typeIjLj3EEjjjS8_jjjS8_jjjj
                                        ; -- End function
	.set _ZL13mul_mat_vec_qIL9ggml_type20ELi7ELb0ELb0EEvPKvS2_PKi31ggml_cuda_mm_fusion_args_devicePfj15HIP_vector_typeIjLj3EEjjjS8_jjjS8_jjjj.num_vgpr, 43
	.set _ZL13mul_mat_vec_qIL9ggml_type20ELi7ELb0ELb0EEvPKvS2_PKi31ggml_cuda_mm_fusion_args_devicePfj15HIP_vector_typeIjLj3EEjjjS8_jjjS8_jjjj.num_agpr, 0
	.set _ZL13mul_mat_vec_qIL9ggml_type20ELi7ELb0ELb0EEvPKvS2_PKi31ggml_cuda_mm_fusion_args_devicePfj15HIP_vector_typeIjLj3EEjjjS8_jjjS8_jjjj.numbered_sgpr, 30
	.set _ZL13mul_mat_vec_qIL9ggml_type20ELi7ELb0ELb0EEvPKvS2_PKi31ggml_cuda_mm_fusion_args_devicePfj15HIP_vector_typeIjLj3EEjjjS8_jjjS8_jjjj.num_named_barrier, 0
	.set _ZL13mul_mat_vec_qIL9ggml_type20ELi7ELb0ELb0EEvPKvS2_PKi31ggml_cuda_mm_fusion_args_devicePfj15HIP_vector_typeIjLj3EEjjjS8_jjjS8_jjjj.private_seg_size, 0
	.set _ZL13mul_mat_vec_qIL9ggml_type20ELi7ELb0ELb0EEvPKvS2_PKi31ggml_cuda_mm_fusion_args_devicePfj15HIP_vector_typeIjLj3EEjjjS8_jjjS8_jjjj.uses_vcc, 1
	.set _ZL13mul_mat_vec_qIL9ggml_type20ELi7ELb0ELb0EEvPKvS2_PKi31ggml_cuda_mm_fusion_args_devicePfj15HIP_vector_typeIjLj3EEjjjS8_jjjS8_jjjj.uses_flat_scratch, 0
	.set _ZL13mul_mat_vec_qIL9ggml_type20ELi7ELb0ELb0EEvPKvS2_PKi31ggml_cuda_mm_fusion_args_devicePfj15HIP_vector_typeIjLj3EEjjjS8_jjjS8_jjjj.has_dyn_sized_stack, 0
	.set _ZL13mul_mat_vec_qIL9ggml_type20ELi7ELb0ELb0EEvPKvS2_PKi31ggml_cuda_mm_fusion_args_devicePfj15HIP_vector_typeIjLj3EEjjjS8_jjjS8_jjjj.has_recursion, 0
	.set _ZL13mul_mat_vec_qIL9ggml_type20ELi7ELb0ELb0EEvPKvS2_PKi31ggml_cuda_mm_fusion_args_devicePfj15HIP_vector_typeIjLj3EEjjjS8_jjjS8_jjjj.has_indirect_call, 0
	.section	.AMDGPU.csdata,"",@progbits
; Kernel info:
; codeLenInByte = 4600
; TotalNumSgprs: 34
; NumVgprs: 43
; ScratchSize: 0
; MemoryBound: 0
; FloatMode: 240
; IeeeMode: 1
; LDSByteSize: 0 bytes/workgroup (compile time only)
; SGPRBlocks: 4
; VGPRBlocks: 10
; NumSGPRsForWavesPerEU: 34
; NumVGPRsForWavesPerEU: 43
; Occupancy: 5
; WaveLimiterHint : 0
; COMPUTE_PGM_RSRC2:SCRATCH_EN: 0
; COMPUTE_PGM_RSRC2:USER_SGPR: 6
; COMPUTE_PGM_RSRC2:TRAP_HANDLER: 0
; COMPUTE_PGM_RSRC2:TGID_X_EN: 1
; COMPUTE_PGM_RSRC2:TGID_Y_EN: 1
; COMPUTE_PGM_RSRC2:TGID_Z_EN: 1
; COMPUTE_PGM_RSRC2:TIDIG_COMP_CNT: 1
	.section	.text._ZL13mul_mat_vec_qIL9ggml_type20ELi8ELb0ELb0EEvPKvS2_PKi31ggml_cuda_mm_fusion_args_devicePfj15HIP_vector_typeIjLj3EEjjjS8_jjjS8_jjjj,"axG",@progbits,_ZL13mul_mat_vec_qIL9ggml_type20ELi8ELb0ELb0EEvPKvS2_PKi31ggml_cuda_mm_fusion_args_devicePfj15HIP_vector_typeIjLj3EEjjjS8_jjjS8_jjjj,comdat
	.globl	_ZL13mul_mat_vec_qIL9ggml_type20ELi8ELb0ELb0EEvPKvS2_PKi31ggml_cuda_mm_fusion_args_devicePfj15HIP_vector_typeIjLj3EEjjjS8_jjjS8_jjjj ; -- Begin function _ZL13mul_mat_vec_qIL9ggml_type20ELi8ELb0ELb0EEvPKvS2_PKi31ggml_cuda_mm_fusion_args_devicePfj15HIP_vector_typeIjLj3EEjjjS8_jjjS8_jjjj
	.p2align	8
	.type	_ZL13mul_mat_vec_qIL9ggml_type20ELi8ELb0ELb0EEvPKvS2_PKi31ggml_cuda_mm_fusion_args_devicePfj15HIP_vector_typeIjLj3EEjjjS8_jjjS8_jjjj,@function
_ZL13mul_mat_vec_qIL9ggml_type20ELi8ELb0ELb0EEvPKvS2_PKi31ggml_cuda_mm_fusion_args_devicePfj15HIP_vector_typeIjLj3EEjjjS8_jjjS8_jjjj: ; @_ZL13mul_mat_vec_qIL9ggml_type20ELi8ELb0ELb0EEvPKvS2_PKi31ggml_cuda_mm_fusion_args_devicePfj15HIP_vector_typeIjLj3EEjjjS8_jjjS8_jjjj
; %bb.0:
	s_load_dword s9, s[4:5], 0x40
	s_load_dwordx4 s[0:3], s[4:5], 0x50
	s_load_dword s25, s[4:5], 0x60
	s_load_dwordx4 s[12:15], s[4:5], 0x68
	;; [unrolled: 2-line block ×3, first 2 shown]
	v_lshl_or_b32 v2, v1, 6, v0
	s_waitcnt lgkmcnt(0)
	s_lshr_b32 s9, s9, 5
	v_lshrrev_b16_e32 v20, 1, v2
	v_mov_b32_e32 v4, 0
	s_lshl_b32 s6, s6, 1
	v_cmp_gt_u32_e32 vcc, s9, v20
	v_mov_b32_e32 v5, v4
	v_mov_b32_e32 v6, v4
	;; [unrolled: 1-line block ×15, first 2 shown]
	s_and_saveexec_b64 s[10:11], vcc
	s_cbranch_execz .LBB239_4
; %bb.1:
	s_load_dwordx4 s[20:23], s[4:5], 0x0
	s_mul_i32 s17, s17, s8
	s_mul_hi_u32 s19, s17, 36
	s_mul_i32 s17, s17, 36
	s_mul_i32 s13, s13, s7
	s_waitcnt lgkmcnt(0)
	s_add_u32 s17, s22, s17
	s_addc_u32 s19, s23, s19
	s_mul_hi_u32 s23, s13, 36
	s_mul_i32 s13, s13, 36
	s_add_u32 s22, s17, s13
	s_mul_hi_u32 s3, s3, s7
	s_addc_u32 s23, s19, s23
	s_add_i32 s3, s7, s3
	s_lshr_b32 s3, s3, s25
	s_mul_i32 s3, s3, s12
	s_mul_hi_u32 s12, s15, s8
	s_add_i32 s12, s8, s12
	s_lshr_b32 s12, s12, s24
	s_mul_i32 s12, s12, s16
	v_lshlrev_b32_e32 v3, 1, v0
	s_add_i32 s13, s6, 1
	v_and_b32_e32 v5, 2, v3
	s_add_i32 s12, s12, s3
	s_mul_i32 s3, s6, s0
	s_mul_i32 s0, s0, s13
	v_and_b32_e32 v3, 1, v0
	v_lshrrev_b32_e32 v2, 1, v2
	s_add_i32 s3, s12, s3
	s_add_i32 s0, s12, s0
	v_lshlrev_b32_e32 v21, 3, v3
	v_mad_u64_u32 v[2:3], s[12:13], v2, 36, s[22:23]
	v_mov_b32_e32 v4, 0
	v_lshlrev_b32_e32 v6, 1, v5
	s_lshl_b32 s15, s1, 1
	s_mul_i32 s16, s1, 3
	s_lshl_b32 s17, s1, 2
	s_mul_i32 s19, s1, 5
	s_mul_i32 s24, s1, 6
	;; [unrolled: 1-line block ×3, first 2 shown]
	s_mov_b64 s[12:13], 0
	v_lshlrev_b32_e32 v22, 1, v6
	s_mov_b32 s26, 0xf6eaddcf
	s_mov_b32 s27, 0x71594535
	v_lshlrev_b32_e32 v23, 2, v5
	v_mov_b32_e32 v24, 0xbfad9881
	v_mov_b32_e32 v25, 0x26190d01
	;; [unrolled: 1-line block ×17, first 2 shown]
.LBB239_2:                              ; =>This Inner Loop Header: Depth=1
	v_add_u32_e32 v28, s3, v20
	v_mad_i64_i32 v[30:31], s[28:29], v28, 18, s[20:21]
	v_add_co_u32_e32 v26, vcc, v2, v21
	v_addc_co_u32_e32 v27, vcc, 0, v3, vcc
	global_load_dwordx2 v[35:36], v[26:27], off offset:4
	global_load_dwordx2 v[37:38], v[26:27], off offset:20
	global_load_dword v29, v[2:3], off
	v_add_co_u32_e32 v26, vcc, v30, v22
	v_addc_co_u32_e32 v27, vcc, 0, v31, vcc
	global_load_dwordx2 v[27:28], v[26:27], off offset:2
	s_waitcnt vmcnt(1)
	v_cvt_f32_f16_e32 v41, v29
	global_load_ushort v30, v[30:31], off
	s_waitcnt vmcnt(1)
	v_ashrrev_i32_e32 v29, 4, v27
	v_and_b32_e32 v26, 0x7070707, v27
	v_lshrrev_b32_e32 v27, 1, v27
	v_and_b32_e32 v27, 0x4040404, v27
	v_perm_b32 v32, s26, v24, v26
	v_perm_b32 v26, s27, v25, v26
	v_or_b32_e32 v27, 0x3020100, v27
	v_perm_b32 v26, v26, v32, v27
	v_lshrrev_b32_e32 v27, 1, v29
	v_and_b32_e32 v33, 0x7070707, v29
	v_and_b32_e32 v27, 0x4040404, v27
	v_perm_b32 v34, s26, v24, v33
	v_perm_b32 v33, s27, v25, v33
	v_or_b32_e32 v27, 0x3020100, v27
	v_perm_b32 v27, v33, v34, v27
	v_dot4_i32_i8 v29, v26, v35, 0
	v_dot4_i32_i8 v32, v27, v37, v29
	v_ashrrev_i32_e32 v29, 4, v28
	v_and_b32_e32 v33, 0x7070707, v28
	v_lshrrev_b32_e32 v28, 1, v28
	v_and_b32_e32 v39, 0x7070707, v29
	v_and_b32_e32 v28, 0x4040404, v28
	v_lshrrev_b32_e32 v29, 1, v29
	v_perm_b32 v34, s26, v24, v33
	v_perm_b32 v33, s27, v25, v33
	v_or_b32_e32 v28, 0x3020100, v28
	v_and_b32_e32 v29, 0x4040404, v29
	v_perm_b32 v40, s26, v24, v39
	v_perm_b32 v39, s27, v25, v39
	;; [unrolled: 1-line block ×3, first 2 shown]
	v_or_b32_e32 v29, 0x3020100, v29
	v_perm_b32 v29, v39, v40, v29
	v_dot4_i32_i8 v32, v28, v36, v32
	v_dot4_i32_i8 v32, v29, v38, v32
	v_cvt_f32_i32_e32 v32, v32
	s_waitcnt vmcnt(0)
	v_cvt_f32_f16_e32 v30, v30
	v_mul_f32_e32 v31, v30, v41
	v_fmac_f32_e32 v19, v31, v32
	v_add_u32_e32 v31, s0, v20
	v_mad_i64_i32 v[39:40], s[28:29], v31, 18, s[20:21]
	v_add_co_u32_e32 v31, vcc, v39, v22
	v_addc_co_u32_e32 v32, vcc, 0, v40, vcc
	global_load_dwordx2 v[31:32], v[31:32], off offset:2
	s_waitcnt vmcnt(0)
	v_ashrrev_i32_e32 v34, 4, v31
	v_and_b32_e32 v33, 0x7070707, v31
	v_lshrrev_b32_e32 v31, 1, v31
	v_and_b32_e32 v31, 0x4040404, v31
	v_perm_b32 v42, s26, v24, v33
	v_perm_b32 v33, s27, v25, v33
	v_or_b32_e32 v31, 0x3020100, v31
	v_perm_b32 v33, v33, v42, v31
	v_lshrrev_b32_e32 v31, 1, v34
	v_and_b32_e32 v43, 0x7070707, v34
	v_and_b32_e32 v31, 0x4040404, v31
	v_perm_b32 v44, s26, v24, v43
	v_perm_b32 v43, s27, v25, v43
	v_or_b32_e32 v31, 0x3020100, v31
	v_perm_b32 v34, v43, v44, v31
	v_dot4_i32_i8 v31, v33, v35, 0
	v_dot4_i32_i8 v31, v34, v37, v31
	v_ashrrev_i32_e32 v37, 4, v32
	v_and_b32_e32 v35, 0x7070707, v32
	v_lshrrev_b32_e32 v32, 1, v32
	v_and_b32_e32 v32, 0x4040404, v32
	v_perm_b32 v42, s26, v24, v35
	v_perm_b32 v35, s27, v25, v35
	v_or_b32_e32 v32, 0x3020100, v32
	v_perm_b32 v35, v35, v42, v32
	v_lshrrev_b32_e32 v32, 1, v37
	v_and_b32_e32 v43, 0x7070707, v37
	v_and_b32_e32 v32, 0x4040404, v32
	v_perm_b32 v44, s26, v24, v43
	v_perm_b32 v43, s27, v25, v43
	v_or_b32_e32 v32, 0x3020100, v32
	v_perm_b32 v32, v43, v44, v32
	v_dot4_i32_i8 v31, v35, v36, v31
	v_dot4_i32_i8 v36, v32, v38, v31
	global_load_ushort v31, v[39:40], off
	v_cvt_f32_i32_e32 v36, v36
	s_waitcnt vmcnt(0)
	v_cvt_f32_f16_e32 v31, v31
	v_mul_f32_e32 v37, v31, v41
	v_fmac_f32_e32 v18, v37, v36
	v_add_u32_e32 v36, s1, v20
	v_mad_u64_u32 v[36:37], s[28:29], v36, 36, s[22:23]
	v_add_co_u32_e32 v38, vcc, v36, v23
	v_addc_co_u32_e32 v39, vcc, 0, v37, vcc
	global_load_dwordx2 v[40:41], v[38:39], off offset:4
	global_load_dwordx2 v[42:43], v[38:39], off offset:20
	global_load_dword v44, v[36:37], off
	s_waitcnt vmcnt(2)
	v_dot4_i32_i8 v37, v26, v40, 0
	s_waitcnt vmcnt(1)
	v_dot4_i32_i8 v37, v27, v42, v37
	v_dot4_i32_i8 v37, v28, v41, v37
	s_waitcnt vmcnt(0)
	v_cvt_f32_f16_e32 v36, v44
	v_dot4_i32_i8 v37, v29, v43, v37
	v_cvt_f32_i32_e32 v37, v37
	v_mul_f32_e32 v38, v30, v36
	v_mul_f32_e32 v36, v31, v36
	v_fmac_f32_e32 v17, v38, v37
	v_dot4_i32_i8 v37, v33, v40, 0
	v_dot4_i32_i8 v37, v34, v42, v37
	v_dot4_i32_i8 v37, v35, v41, v37
	v_dot4_i32_i8 v37, v32, v43, v37
	v_cvt_f32_i32_e32 v37, v37
	v_fmac_f32_e32 v16, v36, v37
	v_add_u32_e32 v36, s15, v20
	v_mad_u64_u32 v[36:37], s[28:29], v36, 36, s[22:23]
	v_add_co_u32_e32 v38, vcc, v36, v23
	v_addc_co_u32_e32 v39, vcc, 0, v37, vcc
	global_load_dwordx2 v[40:41], v[38:39], off offset:4
	global_load_dwordx2 v[42:43], v[38:39], off offset:20
	global_load_dword v44, v[36:37], off
	s_waitcnt vmcnt(2)
	v_dot4_i32_i8 v37, v26, v40, 0
	s_waitcnt vmcnt(1)
	v_dot4_i32_i8 v37, v27, v42, v37
	v_dot4_i32_i8 v37, v28, v41, v37
	s_waitcnt vmcnt(0)
	v_cvt_f32_f16_e32 v36, v44
	v_dot4_i32_i8 v37, v29, v43, v37
	v_cvt_f32_i32_e32 v37, v37
	v_mul_f32_e32 v38, v30, v36
	v_mul_f32_e32 v36, v31, v36
	v_fmac_f32_e32 v15, v38, v37
	v_dot4_i32_i8 v37, v33, v40, 0
	v_dot4_i32_i8 v37, v34, v42, v37
	v_dot4_i32_i8 v37, v35, v41, v37
	v_dot4_i32_i8 v37, v32, v43, v37
	v_cvt_f32_i32_e32 v37, v37
	;; [unrolled: 25-line block ×6, first 2 shown]
	v_fmac_f32_e32 v6, v36, v37
	v_add_u32_e32 v36, s25, v20
	v_mad_u64_u32 v[36:37], s[28:29], v36, 36, s[22:23]
	v_add_u32_e32 v20, 32, v20
	v_add_co_u32_e32 v38, vcc, v36, v23
	v_addc_co_u32_e32 v39, vcc, 0, v37, vcc
	global_load_dwordx2 v[40:41], v[38:39], off offset:4
	global_load_dwordx2 v[42:43], v[38:39], off offset:20
	global_load_dword v44, v[36:37], off
	v_add_co_u32_e32 v2, vcc, 0x480, v2
	v_addc_co_u32_e32 v3, vcc, 0, v3, vcc
	v_cmp_le_u32_e32 vcc, s9, v20
	s_or_b64 s[12:13], vcc, s[12:13]
	s_waitcnt vmcnt(2)
	v_dot4_i32_i8 v26, v26, v40, 0
	s_waitcnt vmcnt(1)
	v_dot4_i32_i8 v26, v27, v42, v26
	v_dot4_i32_i8 v26, v28, v41, v26
	s_waitcnt vmcnt(0)
	v_cvt_f32_f16_e32 v36, v44
	v_dot4_i32_i8 v26, v29, v43, v26
	v_cvt_f32_i32_e32 v26, v26
	v_mul_f32_e32 v27, v30, v36
	v_fmac_f32_e32 v5, v27, v26
	v_dot4_i32_i8 v26, v33, v40, 0
	v_dot4_i32_i8 v26, v34, v42, v26
	;; [unrolled: 1-line block ×4, first 2 shown]
	v_cvt_f32_i32_e32 v26, v26
	v_mul_f32_e32 v27, v31, v36
	v_fmac_f32_e32 v4, v27, v26
	s_andn2_b64 exec, exec, s[12:13]
	s_cbranch_execnz .LBB239_2
; %bb.3:
	s_or_b64 exec, exec, s[12:13]
.LBB239_4:
	s_or_b64 exec, exec, s[10:11]
	s_mov_b32 s1, 0
	v_cmp_eq_u32_e32 vcc, 0, v1
	; wave barrier
	s_and_saveexec_b64 s[10:11], vcc
	s_cbranch_execz .LBB239_21
; %bb.5:
	v_mbcnt_lo_u32_b32 v1, -1, 0
	v_mbcnt_hi_u32_b32 v21, -1, v1
	v_and_b32_e32 v1, 64, v21
	v_add_u32_e32 v22, 64, v1
	v_xor_b32_e32 v1, 32, v21
	v_cmp_lt_i32_e32 vcc, v1, v22
	v_cndmask_b32_e32 v1, v21, v1, vcc
	v_lshlrev_b32_e32 v1, 2, v1
	ds_bpermute_b32 v23, v1, v19
	ds_bpermute_b32 v24, v1, v18
	v_xor_b32_e32 v2, 16, v21
	v_cmp_lt_i32_e32 vcc, v2, v22
	v_cndmask_b32_e32 v2, v21, v2, vcc
	v_lshlrev_b32_e32 v2, 2, v2
	s_waitcnt lgkmcnt(1)
	v_add_f32_e32 v19, v19, v23
	s_waitcnt lgkmcnt(0)
	v_add_f32_e32 v18, v18, v24
	ds_bpermute_b32 v23, v2, v19
	ds_bpermute_b32 v24, v2, v18
	v_xor_b32_e32 v3, 8, v21
	v_cmp_lt_i32_e32 vcc, v3, v22
	v_cndmask_b32_e32 v3, v21, v3, vcc
	v_lshlrev_b32_e32 v3, 2, v3
	s_waitcnt lgkmcnt(1)
	v_add_f32_e32 v19, v19, v23
	s_waitcnt lgkmcnt(0)
	v_add_f32_e32 v24, v18, v24
	;; [unrolled: 10-line block ×3, first 2 shown]
	ds_bpermute_b32 v23, v20, v19
	ds_bpermute_b32 v26, v20, v24
	v_xor_b32_e32 v25, 2, v21
	v_cmp_lt_i32_e32 vcc, v25, v22
	v_cndmask_b32_e32 v25, v21, v25, vcc
	v_lshlrev_b32_e32 v18, 2, v25
	v_xor_b32_e32 v25, 1, v21
	v_cmp_lt_i32_e32 vcc, v25, v22
	s_waitcnt lgkmcnt(1)
	v_add_f32_e32 v19, v19, v23
	s_waitcnt lgkmcnt(0)
	v_add_f32_e32 v24, v24, v26
	v_cndmask_b32_e32 v21, v21, v25, vcc
	ds_bpermute_b32 v23, v18, v19
	ds_bpermute_b32 v25, v18, v24
	s_load_dwordx2 s[4:5], s[4:5], 0x38
	s_mul_i32 s3, s14, s7
	v_lshlrev_b32_e32 v22, 2, v21
	s_waitcnt lgkmcnt(0)
	v_add_f32_e32 v19, v19, v23
	v_add_f32_e32 v23, v24, v25
	s_mul_i32 s0, s18, s8
	s_add_i32 s3, s3, s6
	ds_bpermute_b32 v21, v22, v19
	ds_bpermute_b32 v24, v22, v23
	s_add_i32 s0, s3, s0
	s_lshl_b64 s[0:1], s[0:1], 2
	s_add_u32 s4, s4, s0
	v_add_u32_e32 v25, s6, v0
	s_addc_u32 s5, s5, s1
	v_cmp_gt_u32_e32 vcc, 2, v0
	v_cmp_gt_u32_e64 s[0:1], s2, v25
	s_and_b64 s[0:1], vcc, s[0:1]
	s_waitcnt lgkmcnt(1)
	v_add_f32_e32 v19, v19, v21
	s_waitcnt lgkmcnt(0)
	v_add_f32_e32 v21, v23, v24
	s_and_saveexec_b64 s[6:7], s[0:1]
	s_cbranch_execz .LBB239_7
; %bb.6:
	v_cmp_eq_u32_e32 vcc, 1, v0
	v_cndmask_b32_e32 v23, v19, v21, vcc
	v_cmp_eq_u32_e32 vcc, 2, v0
	v_cndmask_b32_e32 v23, v23, v17, vcc
	;; [unrolled: 2-line block ×15, first 2 shown]
	v_lshlrev_b32_e32 v24, 2, v0
	global_store_dword v24, v23, s[4:5]
.LBB239_7:
	s_or_b64 exec, exec, s[6:7]
	ds_bpermute_b32 v23, v1, v17
	ds_bpermute_b32 v24, v1, v16
	s_waitcnt lgkmcnt(1)
	v_add_f32_e32 v17, v17, v23
	s_waitcnt lgkmcnt(0)
	v_add_f32_e32 v16, v16, v24
	ds_bpermute_b32 v23, v2, v17
	ds_bpermute_b32 v24, v2, v16
	s_waitcnt lgkmcnt(1)
	v_add_f32_e32 v17, v17, v23
	s_waitcnt lgkmcnt(0)
	v_add_f32_e32 v16, v16, v24
	;; [unrolled: 6-line block ×6, first 2 shown]
	s_and_saveexec_b64 s[6:7], s[0:1]
	s_cbranch_execz .LBB239_9
; %bb.8:
	v_add_u32_e32 v23, 2, v0
	v_cmp_eq_u32_e32 vcc, 1, v23
	v_cndmask_b32_e32 v24, v19, v21, vcc
	v_cmp_eq_u32_e32 vcc, 2, v23
	v_cndmask_b32_e32 v24, v24, v17, vcc
	;; [unrolled: 2-line block ×15, first 2 shown]
	v_add_u32_e32 v23, s2, v0
	v_mov_b32_e32 v24, 0
	v_lshlrev_b64 v[23:24], 2, v[23:24]
	v_mov_b32_e32 v26, s5
	v_add_co_u32_e32 v23, vcc, s4, v23
	v_addc_co_u32_e32 v24, vcc, v26, v24, vcc
	global_store_dword v[23:24], v25, off
.LBB239_9:
	s_or_b64 exec, exec, s[6:7]
	ds_bpermute_b32 v23, v1, v15
	ds_bpermute_b32 v24, v1, v14
	s_waitcnt lgkmcnt(1)
	v_add_f32_e32 v15, v15, v23
	s_waitcnt lgkmcnt(0)
	v_add_f32_e32 v14, v14, v24
	ds_bpermute_b32 v23, v2, v15
	ds_bpermute_b32 v24, v2, v14
	s_waitcnt lgkmcnt(1)
	v_add_f32_e32 v15, v15, v23
	s_waitcnt lgkmcnt(0)
	v_add_f32_e32 v14, v14, v24
	ds_bpermute_b32 v23, v3, v15
	ds_bpermute_b32 v24, v3, v14
	s_waitcnt lgkmcnt(1)
	v_add_f32_e32 v15, v15, v23
	s_waitcnt lgkmcnt(0)
	v_add_f32_e32 v14, v14, v24
	ds_bpermute_b32 v23, v20, v15
	ds_bpermute_b32 v24, v20, v14
	s_waitcnt lgkmcnt(1)
	v_add_f32_e32 v15, v15, v23
	s_waitcnt lgkmcnt(0)
	v_add_f32_e32 v14, v14, v24
	ds_bpermute_b32 v23, v18, v15
	ds_bpermute_b32 v24, v18, v14
	s_waitcnt lgkmcnt(1)
	v_add_f32_e32 v15, v15, v23
	s_waitcnt lgkmcnt(0)
	v_add_f32_e32 v14, v14, v24
	ds_bpermute_b32 v23, v22, v15
	ds_bpermute_b32 v24, v22, v14
	s_waitcnt lgkmcnt(1)
	v_add_f32_e32 v15, v15, v23
	s_waitcnt lgkmcnt(0)
	v_add_f32_e32 v14, v14, v24
	s_and_saveexec_b64 s[6:7], s[0:1]
	s_cbranch_execz .LBB239_11
; %bb.10:
	v_add_u32_e32 v23, 4, v0
	v_cmp_eq_u32_e32 vcc, 1, v23
	v_cndmask_b32_e32 v24, v19, v21, vcc
	v_cmp_eq_u32_e32 vcc, 2, v23
	v_cndmask_b32_e32 v24, v24, v17, vcc
	;; [unrolled: 2-line block ×15, first 2 shown]
	v_lshl_or_b32 v23, s2, 1, v0
	v_mov_b32_e32 v24, 0
	v_lshlrev_b64 v[23:24], 2, v[23:24]
	v_mov_b32_e32 v26, s5
	v_add_co_u32_e32 v23, vcc, s4, v23
	v_addc_co_u32_e32 v24, vcc, v26, v24, vcc
	global_store_dword v[23:24], v25, off
.LBB239_11:
	s_or_b64 exec, exec, s[6:7]
	ds_bpermute_b32 v23, v1, v13
	ds_bpermute_b32 v24, v1, v12
	s_waitcnt lgkmcnt(1)
	v_add_f32_e32 v13, v13, v23
	s_waitcnt lgkmcnt(0)
	v_add_f32_e32 v12, v12, v24
	ds_bpermute_b32 v23, v2, v13
	ds_bpermute_b32 v24, v2, v12
	s_waitcnt lgkmcnt(1)
	v_add_f32_e32 v13, v13, v23
	s_waitcnt lgkmcnt(0)
	v_add_f32_e32 v12, v12, v24
	;; [unrolled: 6-line block ×6, first 2 shown]
	s_and_saveexec_b64 s[6:7], s[0:1]
	s_cbranch_execz .LBB239_13
; %bb.12:
	v_add_u32_e32 v25, 6, v0
	v_cmp_eq_u32_e32 vcc, 1, v25
	v_cndmask_b32_e32 v23, v19, v21, vcc
	v_cmp_eq_u32_e32 vcc, 2, v25
	v_cndmask_b32_e32 v23, v23, v17, vcc
	;; [unrolled: 2-line block ×14, first 2 shown]
	v_mad_u64_u32 v[23:24], s[8:9], s2, 3, v[0:1]
	v_mov_b32_e32 v24, 0
	v_cmp_eq_u32_e32 vcc, 15, v25
	v_lshlrev_b64 v[23:24], 2, v[23:24]
	v_cndmask_b32_e32 v25, v26, v4, vcc
	v_mov_b32_e32 v26, s5
	v_add_co_u32_e32 v23, vcc, s4, v23
	v_addc_co_u32_e32 v24, vcc, v26, v24, vcc
	global_store_dword v[23:24], v25, off
.LBB239_13:
	s_or_b64 exec, exec, s[6:7]
	ds_bpermute_b32 v23, v1, v11
	ds_bpermute_b32 v24, v1, v10
	s_waitcnt lgkmcnt(1)
	v_add_f32_e32 v11, v11, v23
	s_waitcnt lgkmcnt(0)
	v_add_f32_e32 v10, v10, v24
	ds_bpermute_b32 v23, v2, v11
	ds_bpermute_b32 v24, v2, v10
	s_waitcnt lgkmcnt(1)
	v_add_f32_e32 v11, v11, v23
	s_waitcnt lgkmcnt(0)
	v_add_f32_e32 v10, v10, v24
	ds_bpermute_b32 v23, v3, v11
	ds_bpermute_b32 v24, v3, v10
	s_waitcnt lgkmcnt(1)
	v_add_f32_e32 v11, v11, v23
	s_waitcnt lgkmcnt(0)
	v_add_f32_e32 v10, v10, v24
	ds_bpermute_b32 v23, v20, v11
	ds_bpermute_b32 v24, v20, v10
	s_waitcnt lgkmcnt(1)
	v_add_f32_e32 v11, v11, v23
	s_waitcnt lgkmcnt(0)
	v_add_f32_e32 v10, v10, v24
	ds_bpermute_b32 v23, v18, v11
	ds_bpermute_b32 v24, v18, v10
	s_waitcnt lgkmcnt(1)
	v_add_f32_e32 v11, v11, v23
	s_waitcnt lgkmcnt(0)
	v_add_f32_e32 v10, v10, v24
	ds_bpermute_b32 v23, v22, v11
	ds_bpermute_b32 v24, v22, v10
	s_waitcnt lgkmcnt(1)
	v_add_f32_e32 v11, v11, v23
	s_waitcnt lgkmcnt(0)
	v_add_f32_e32 v10, v10, v24
	s_and_saveexec_b64 s[6:7], s[0:1]
	s_cbranch_execz .LBB239_15
; %bb.14:
	v_add_u32_e32 v23, 8, v0
	v_cmp_eq_u32_e32 vcc, 1, v23
	v_cndmask_b32_e32 v24, v19, v21, vcc
	v_cmp_eq_u32_e32 vcc, 2, v23
	v_cndmask_b32_e32 v24, v24, v17, vcc
	;; [unrolled: 2-line block ×15, first 2 shown]
	v_lshl_or_b32 v23, s2, 2, v0
	v_mov_b32_e32 v24, 0
	v_lshlrev_b64 v[23:24], 2, v[23:24]
	v_mov_b32_e32 v26, s5
	v_add_co_u32_e32 v23, vcc, s4, v23
	v_addc_co_u32_e32 v24, vcc, v26, v24, vcc
	global_store_dword v[23:24], v25, off
.LBB239_15:
	s_or_b64 exec, exec, s[6:7]
	ds_bpermute_b32 v23, v1, v9
	ds_bpermute_b32 v24, v1, v8
	s_waitcnt lgkmcnt(1)
	v_add_f32_e32 v9, v9, v23
	s_waitcnt lgkmcnt(0)
	v_add_f32_e32 v8, v8, v24
	ds_bpermute_b32 v23, v2, v9
	ds_bpermute_b32 v24, v2, v8
	s_waitcnt lgkmcnt(1)
	v_add_f32_e32 v9, v9, v23
	s_waitcnt lgkmcnt(0)
	v_add_f32_e32 v8, v8, v24
	;; [unrolled: 6-line block ×6, first 2 shown]
	s_and_saveexec_b64 s[6:7], s[0:1]
	s_cbranch_execz .LBB239_17
; %bb.16:
	v_add_u32_e32 v25, 10, v0
	v_cmp_eq_u32_e32 vcc, 1, v25
	v_cndmask_b32_e32 v23, v19, v21, vcc
	v_cmp_eq_u32_e32 vcc, 2, v25
	v_cndmask_b32_e32 v23, v23, v17, vcc
	;; [unrolled: 2-line block ×14, first 2 shown]
	v_mad_u64_u32 v[23:24], s[8:9], s2, 5, v[0:1]
	v_mov_b32_e32 v24, 0
	v_cmp_eq_u32_e32 vcc, 15, v25
	v_lshlrev_b64 v[23:24], 2, v[23:24]
	v_cndmask_b32_e32 v25, v26, v4, vcc
	v_mov_b32_e32 v26, s5
	v_add_co_u32_e32 v23, vcc, s4, v23
	v_addc_co_u32_e32 v24, vcc, v26, v24, vcc
	global_store_dword v[23:24], v25, off
.LBB239_17:
	s_or_b64 exec, exec, s[6:7]
	ds_bpermute_b32 v23, v1, v7
	ds_bpermute_b32 v24, v1, v6
	s_waitcnt lgkmcnt(1)
	v_add_f32_e32 v7, v7, v23
	s_waitcnt lgkmcnt(0)
	v_add_f32_e32 v6, v6, v24
	ds_bpermute_b32 v23, v2, v7
	ds_bpermute_b32 v24, v2, v6
	s_waitcnt lgkmcnt(1)
	v_add_f32_e32 v7, v7, v23
	s_waitcnt lgkmcnt(0)
	v_add_f32_e32 v6, v6, v24
	;; [unrolled: 6-line block ×6, first 2 shown]
	s_and_saveexec_b64 s[6:7], s[0:1]
	s_cbranch_execz .LBB239_19
; %bb.18:
	v_add_u32_e32 v23, 12, v0
	v_cmp_eq_u32_e32 vcc, 1, v23
	v_cndmask_b32_e32 v24, v19, v21, vcc
	v_cmp_eq_u32_e32 vcc, 2, v23
	v_cndmask_b32_e32 v24, v24, v17, vcc
	;; [unrolled: 2-line block ×14, first 2 shown]
	v_cmp_eq_u32_e32 vcc, 15, v23
	s_mul_i32 s3, s2, 6
	v_cndmask_b32_e32 v25, v24, v4, vcc
	v_or_b32_e32 v23, s3, v0
	v_mov_b32_e32 v24, 0
	v_lshlrev_b64 v[23:24], 2, v[23:24]
	v_mov_b32_e32 v26, s5
	v_add_co_u32_e32 v23, vcc, s4, v23
	v_addc_co_u32_e32 v24, vcc, v26, v24, vcc
	global_store_dword v[23:24], v25, off
.LBB239_19:
	s_or_b64 exec, exec, s[6:7]
	ds_bpermute_b32 v23, v1, v5
	ds_bpermute_b32 v1, v1, v4
	s_waitcnt lgkmcnt(1)
	v_add_f32_e32 v5, v5, v23
	s_waitcnt lgkmcnt(0)
	v_add_f32_e32 v1, v4, v1
	ds_bpermute_b32 v4, v2, v5
	ds_bpermute_b32 v2, v2, v1
	s_waitcnt lgkmcnt(1)
	v_add_f32_e32 v4, v5, v4
	s_waitcnt lgkmcnt(0)
	v_add_f32_e32 v1, v1, v2
	ds_bpermute_b32 v2, v3, v4
	ds_bpermute_b32 v3, v3, v1
	s_waitcnt lgkmcnt(1)
	v_add_f32_e32 v2, v4, v2
	s_waitcnt lgkmcnt(0)
	v_add_f32_e32 v1, v1, v3
	ds_bpermute_b32 v3, v20, v2
	ds_bpermute_b32 v4, v20, v1
	s_waitcnt lgkmcnt(1)
	v_add_f32_e32 v2, v2, v3
	s_waitcnt lgkmcnt(0)
	v_add_f32_e32 v3, v1, v4
	ds_bpermute_b32 v1, v18, v2
	ds_bpermute_b32 v4, v18, v3
	s_waitcnt lgkmcnt(1)
	v_add_f32_e32 v1, v2, v1
	s_waitcnt lgkmcnt(0)
	v_add_f32_e32 v2, v3, v4
	ds_bpermute_b32 v3, v22, v1
	ds_bpermute_b32 v4, v22, v2
	s_and_b64 exec, exec, s[0:1]
	s_cbranch_execz .LBB239_21
; %bb.20:
	s_waitcnt lgkmcnt(1)
	v_add_f32_e32 v1, v1, v3
	v_add_u32_e32 v3, 14, v0
	v_cmp_eq_u32_e32 vcc, 1, v3
	s_waitcnt lgkmcnt(0)
	v_add_f32_e32 v2, v2, v4
	v_cndmask_b32_e32 v4, v19, v21, vcc
	v_cmp_eq_u32_e32 vcc, 2, v3
	v_cndmask_b32_e32 v4, v4, v17, vcc
	v_cmp_eq_u32_e32 vcc, 3, v3
	;; [unrolled: 2-line block ×13, first 2 shown]
	v_cndmask_b32_e32 v4, v4, v1, vcc
	v_mad_u64_u32 v[0:1], s[0:1], s2, 7, v[0:1]
	v_mov_b32_e32 v1, 0
	v_cmp_eq_u32_e32 vcc, 15, v3
	v_lshlrev_b64 v[0:1], 2, v[0:1]
	v_cndmask_b32_e32 v2, v4, v2, vcc
	v_mov_b32_e32 v3, s5
	v_add_co_u32_e32 v0, vcc, s4, v0
	v_addc_co_u32_e32 v1, vcc, v3, v1, vcc
	global_store_dword v[0:1], v2, off
.LBB239_21:
	s_endpgm
	.section	.rodata,"a",@progbits
	.p2align	6, 0x0
	.amdhsa_kernel _ZL13mul_mat_vec_qIL9ggml_type20ELi8ELb0ELb0EEvPKvS2_PKi31ggml_cuda_mm_fusion_args_devicePfj15HIP_vector_typeIjLj3EEjjjS8_jjjS8_jjjj
		.amdhsa_group_segment_fixed_size 0
		.amdhsa_private_segment_fixed_size 0
		.amdhsa_kernarg_size 144
		.amdhsa_user_sgpr_count 6
		.amdhsa_user_sgpr_private_segment_buffer 1
		.amdhsa_user_sgpr_dispatch_ptr 0
		.amdhsa_user_sgpr_queue_ptr 0
		.amdhsa_user_sgpr_kernarg_segment_ptr 1
		.amdhsa_user_sgpr_dispatch_id 0
		.amdhsa_user_sgpr_flat_scratch_init 0
		.amdhsa_user_sgpr_private_segment_size 0
		.amdhsa_uses_dynamic_stack 0
		.amdhsa_system_sgpr_private_segment_wavefront_offset 0
		.amdhsa_system_sgpr_workgroup_id_x 1
		.amdhsa_system_sgpr_workgroup_id_y 1
		.amdhsa_system_sgpr_workgroup_id_z 1
		.amdhsa_system_sgpr_workgroup_info 0
		.amdhsa_system_vgpr_workitem_id 1
		.amdhsa_next_free_vgpr 45
		.amdhsa_next_free_sgpr 30
		.amdhsa_reserve_vcc 1
		.amdhsa_reserve_flat_scratch 0
		.amdhsa_float_round_mode_32 0
		.amdhsa_float_round_mode_16_64 0
		.amdhsa_float_denorm_mode_32 3
		.amdhsa_float_denorm_mode_16_64 3
		.amdhsa_dx10_clamp 1
		.amdhsa_ieee_mode 1
		.amdhsa_fp16_overflow 0
		.amdhsa_exception_fp_ieee_invalid_op 0
		.amdhsa_exception_fp_denorm_src 0
		.amdhsa_exception_fp_ieee_div_zero 0
		.amdhsa_exception_fp_ieee_overflow 0
		.amdhsa_exception_fp_ieee_underflow 0
		.amdhsa_exception_fp_ieee_inexact 0
		.amdhsa_exception_int_div_zero 0
	.end_amdhsa_kernel
	.section	.text._ZL13mul_mat_vec_qIL9ggml_type20ELi8ELb0ELb0EEvPKvS2_PKi31ggml_cuda_mm_fusion_args_devicePfj15HIP_vector_typeIjLj3EEjjjS8_jjjS8_jjjj,"axG",@progbits,_ZL13mul_mat_vec_qIL9ggml_type20ELi8ELb0ELb0EEvPKvS2_PKi31ggml_cuda_mm_fusion_args_devicePfj15HIP_vector_typeIjLj3EEjjjS8_jjjS8_jjjj,comdat
.Lfunc_end239:
	.size	_ZL13mul_mat_vec_qIL9ggml_type20ELi8ELb0ELb0EEvPKvS2_PKi31ggml_cuda_mm_fusion_args_devicePfj15HIP_vector_typeIjLj3EEjjjS8_jjjS8_jjjj, .Lfunc_end239-_ZL13mul_mat_vec_qIL9ggml_type20ELi8ELb0ELb0EEvPKvS2_PKi31ggml_cuda_mm_fusion_args_devicePfj15HIP_vector_typeIjLj3EEjjjS8_jjjS8_jjjj
                                        ; -- End function
	.set _ZL13mul_mat_vec_qIL9ggml_type20ELi8ELb0ELb0EEvPKvS2_PKi31ggml_cuda_mm_fusion_args_devicePfj15HIP_vector_typeIjLj3EEjjjS8_jjjS8_jjjj.num_vgpr, 45
	.set _ZL13mul_mat_vec_qIL9ggml_type20ELi8ELb0ELb0EEvPKvS2_PKi31ggml_cuda_mm_fusion_args_devicePfj15HIP_vector_typeIjLj3EEjjjS8_jjjS8_jjjj.num_agpr, 0
	.set _ZL13mul_mat_vec_qIL9ggml_type20ELi8ELb0ELb0EEvPKvS2_PKi31ggml_cuda_mm_fusion_args_devicePfj15HIP_vector_typeIjLj3EEjjjS8_jjjS8_jjjj.numbered_sgpr, 30
	.set _ZL13mul_mat_vec_qIL9ggml_type20ELi8ELb0ELb0EEvPKvS2_PKi31ggml_cuda_mm_fusion_args_devicePfj15HIP_vector_typeIjLj3EEjjjS8_jjjS8_jjjj.num_named_barrier, 0
	.set _ZL13mul_mat_vec_qIL9ggml_type20ELi8ELb0ELb0EEvPKvS2_PKi31ggml_cuda_mm_fusion_args_devicePfj15HIP_vector_typeIjLj3EEjjjS8_jjjS8_jjjj.private_seg_size, 0
	.set _ZL13mul_mat_vec_qIL9ggml_type20ELi8ELb0ELb0EEvPKvS2_PKi31ggml_cuda_mm_fusion_args_devicePfj15HIP_vector_typeIjLj3EEjjjS8_jjjS8_jjjj.uses_vcc, 1
	.set _ZL13mul_mat_vec_qIL9ggml_type20ELi8ELb0ELb0EEvPKvS2_PKi31ggml_cuda_mm_fusion_args_devicePfj15HIP_vector_typeIjLj3EEjjjS8_jjjS8_jjjj.uses_flat_scratch, 0
	.set _ZL13mul_mat_vec_qIL9ggml_type20ELi8ELb0ELb0EEvPKvS2_PKi31ggml_cuda_mm_fusion_args_devicePfj15HIP_vector_typeIjLj3EEjjjS8_jjjS8_jjjj.has_dyn_sized_stack, 0
	.set _ZL13mul_mat_vec_qIL9ggml_type20ELi8ELb0ELb0EEvPKvS2_PKi31ggml_cuda_mm_fusion_args_devicePfj15HIP_vector_typeIjLj3EEjjjS8_jjjS8_jjjj.has_recursion, 0
	.set _ZL13mul_mat_vec_qIL9ggml_type20ELi8ELb0ELb0EEvPKvS2_PKi31ggml_cuda_mm_fusion_args_devicePfj15HIP_vector_typeIjLj3EEjjjS8_jjjS8_jjjj.has_indirect_call, 0
	.section	.AMDGPU.csdata,"",@progbits
; Kernel info:
; codeLenInByte = 5248
; TotalNumSgprs: 34
; NumVgprs: 45
; ScratchSize: 0
; MemoryBound: 0
; FloatMode: 240
; IeeeMode: 1
; LDSByteSize: 0 bytes/workgroup (compile time only)
; SGPRBlocks: 4
; VGPRBlocks: 11
; NumSGPRsForWavesPerEU: 34
; NumVGPRsForWavesPerEU: 45
; Occupancy: 5
; WaveLimiterHint : 0
; COMPUTE_PGM_RSRC2:SCRATCH_EN: 0
; COMPUTE_PGM_RSRC2:USER_SGPR: 6
; COMPUTE_PGM_RSRC2:TRAP_HANDLER: 0
; COMPUTE_PGM_RSRC2:TGID_X_EN: 1
; COMPUTE_PGM_RSRC2:TGID_Y_EN: 1
; COMPUTE_PGM_RSRC2:TGID_Z_EN: 1
; COMPUTE_PGM_RSRC2:TIDIG_COMP_CNT: 1
	.section	.text._ZL17mul_mat_vec_q_moeIL9ggml_type23ELi2EEvPKvS2_PKiPfj15HIP_vector_typeIjLj3EEjjjjjjjjj,"axG",@progbits,_ZL17mul_mat_vec_q_moeIL9ggml_type23ELi2EEvPKvS2_PKiPfj15HIP_vector_typeIjLj3EEjjjjjjjjj,comdat
	.globl	_ZL17mul_mat_vec_q_moeIL9ggml_type23ELi2EEvPKvS2_PKiPfj15HIP_vector_typeIjLj3EEjjjjjjjjj ; -- Begin function _ZL17mul_mat_vec_q_moeIL9ggml_type23ELi2EEvPKvS2_PKiPfj15HIP_vector_typeIjLj3EEjjjjjjjjj
	.p2align	8
	.type	_ZL17mul_mat_vec_q_moeIL9ggml_type23ELi2EEvPKvS2_PKiPfj15HIP_vector_typeIjLj3EEjjjjjjjjj,@function
_ZL17mul_mat_vec_q_moeIL9ggml_type23ELi2EEvPKvS2_PKiPfj15HIP_vector_typeIjLj3EEjjjjjjjjj: ; @_ZL17mul_mat_vec_q_moeIL9ggml_type23ELi2EEvPKvS2_PKiPfj15HIP_vector_typeIjLj3EEjjjjjjjjj
; %bb.0:
	s_load_dwordx8 s[8:15], s[4:5], 0x30
	s_waitcnt lgkmcnt(0)
	v_cmp_gt_u32_e32 vcc, s15, v1
	s_and_saveexec_b64 s[0:1], vcc
	s_cbranch_execz .LBB240_7
; %bb.1:
	s_load_dword s1, s[4:5], 0x20
	s_load_dword s0, s[4:5], 0x50
	s_load_dwordx8 s[16:23], s[4:5], 0x0
	v_lshrrev_b32_e32 v6, 3, v0
	s_lshl_b32 s6, s6, 1
	s_waitcnt lgkmcnt(0)
	s_lshr_b32 s15, s1, 8
	v_cmp_gt_u32_e32 vcc, s15, v6
	v_mov_b32_e32 v2, 0
	v_mov_b32_e32 v3, 0
	s_and_saveexec_b64 s[24:25], vcc
	s_cbranch_execz .LBB240_5
; %bb.2:
	v_mul_lo_u32 v2, s0, v1
	v_mov_b32_e32 v3, 0
	v_mov_b32_e32 v7, s21
	s_load_dwordx4 s[0:3], s[4:5], 0x24
	v_add_u32_e32 v2, s7, v2
	v_lshlrev_b64 v[4:5], 2, v[2:3]
	v_lshrrev_b32_e32 v12, 3, v0
	v_add_co_u32_e32 v4, vcc, s20, v4
	v_addc_co_u32_e32 v5, vcc, v7, v5, vcc
	global_load_dword v2, v[4:5], off
	v_mul_lo_u32 v4, s10, v1
	s_waitcnt lgkmcnt(0)
	s_mul_hi_u32 s0, s0, s7
	s_add_i32 s0, s7, s0
	s_movk_i32 s28, 0x120
	v_mad_u64_u32 v[4:5], s[20:21], v4, 36, 0
	s_lshr_b32 s0, s0, s1
	s_mul_i32 s2, s0, s2
	v_mad_u64_u32 v[4:5], s[0:1], v12, s28, v[4:5]
	s_sub_i32 s0, s7, s2
	s_mul_i32 s0, s0, s13
	v_mad_u64_u32 v[4:5], s[0:1], s0, 36, v[4:5]
	v_and_b32_e32 v11, 7, v0
	v_mov_b32_e32 v13, s19
	v_mad_u64_u32 v[4:5], s[0:1], v11, 36, v[4:5]
	v_lshlrev_b32_e32 v10, 2, v0
	s_add_i32 s27, s6, 1
	v_add_co_u32_e32 v4, vcc, s18, v4
	v_addc_co_u32_e32 v5, vcc, v13, v5, vcc
	s_mul_i32 s26, s6, s9
	v_and_b32_e32 v14, 28, v10
	s_mul_i32 s2, s9, s27
	v_add_co_u32_e32 v4, vcc, 32, v4
	s_mov_b64 s[4:5], 0
	s_movk_i32 s3, 0x88
	s_mov_b32 s10, 0xf6eaddcf
	s_mov_b32 s19, 0x71594535
	v_mov_b32_e32 v7, 0xbfad9881
	v_mov_b32_e32 v8, 0x26190d01
	v_bfe_u32 v9, v10, 3, 2
	v_and_b32_e32 v10, 4, v10
	v_lshrrev_b32_e32 v11, 1, v14
	v_lshlrev_b32_e32 v12, 2, v14
	v_addc_co_u32_e32 v5, vcc, 0, v5, vcc
	s_waitcnt vmcnt(0)
	v_mul_lo_u32 v2, v2, s12
	v_add_u32_e32 v13, s26, v2
	v_add_u32_e32 v14, s2, v2
	v_mov_b32_e32 v2, v3
.LBB240_3:                              ; =>This Inner Loop Header: Depth=1
	v_mov_b32_e32 v15, s16
	v_mov_b32_e32 v16, s17
	v_add_u32_e32 v18, v14, v6
	v_mad_i64_i32 v[23:24], s[0:1], v18, s3, v[15:16]
	v_add_u32_e32 v17, v13, v6
	v_mad_i64_i32 v[25:26], s[0:1], v17, s3, v[15:16]
	v_add_co_u32_e32 v27, vcc, v23, v12
	v_addc_co_u32_e32 v28, vcc, 0, v24, vcc
	v_add_co_u32_e32 v29, vcc, v25, v12
	v_addc_co_u32_e32 v30, vcc, 0, v26, vcc
	;; [unrolled: 2-line block ×4, first 2 shown]
	global_load_dwordx4 v[15:18], v[29:30], off offset:8
	global_load_dwordx4 v[19:22], v[27:28], off offset:8
	global_load_ubyte v35, v[31:32], off offset:4
	global_load_dword v36, v[25:26], off
	global_load_ubyte v37, v[33:34], off offset:4
	v_add_u32_e32 v6, 8, v6
	v_cmp_le_u32_e64 s[0:1], s15, v6
	s_or_b64 s[4:5], s[0:1], s[4:5]
	s_waitcnt vmcnt(4)
	v_lshrrev_b32_e32 v26, 1, v15
	v_and_b32_e32 v25, 0x7070707, v15
	v_and_b32_e32 v29, 0x7070707, v17
	v_lshrrev_b32_e32 v30, 1, v17
	v_ashrrev_i32_e32 v44, 4, v17
	v_and_b32_e32 v17, 0x4040404, v26
	v_and_b32_e32 v27, 0x7070707, v16
	v_lshrrev_b32_e32 v28, 1, v16
	s_waitcnt vmcnt(3)
	v_and_b32_e32 v33, 0x7070707, v20
	v_lshrrev_b32_e32 v34, 1, v20
	v_ashrrev_i32_e32 v40, 4, v15
	v_ashrrev_i32_e32 v41, 4, v16
	;; [unrolled: 1-line block ×3, first 2 shown]
	v_perm_b32 v15, s10, v7, v25
	v_perm_b32 v16, s19, v8, v25
	v_or_b32_e32 v17, 0x3020100, v17
	v_and_b32_e32 v20, 0x4040404, v30
	v_and_b32_e32 v31, 0x7070707, v19
	v_lshrrev_b32_e32 v32, 1, v19
	v_and_b32_e32 v38, 0x7070707, v21
	v_lshrrev_b32_e32 v39, 1, v21
	;; [unrolled: 2-line block ×3, first 2 shown]
	v_ashrrev_i32_e32 v45, 4, v18
	v_ashrrev_i32_e32 v46, 4, v19
	;; [unrolled: 1-line block ×3, first 2 shown]
	v_perm_b32 v25, v16, v15, v17
	v_and_b32_e32 v17, 0x4040404, v28
	v_perm_b32 v18, s10, v7, v29
	v_perm_b32 v19, s19, v8, v29
	v_or_b32_e32 v20, 0x3020100, v20
	v_and_b32_e32 v21, 0x4040404, v34
	v_perm_b32 v15, s10, v7, v27
	v_perm_b32 v16, s19, v8, v27
	v_or_b32_e32 v17, 0x3020100, v17
	v_perm_b32 v27, v19, v18, v20
	v_perm_b32 v19, s10, v7, v33
	;; [unrolled: 1-line block ×3, first 2 shown]
	v_or_b32_e32 v21, 0x3020100, v21
	v_lshrrev_b32_e32 v49, 1, v22
	v_perm_b32 v26, v16, v15, v17
	v_perm_b32 v15, s10, v7, v31
	;; [unrolled: 1-line block ×3, first 2 shown]
	v_and_b32_e32 v17, 0x4040404, v32
	v_perm_b32 v29, v20, v19, v21
	v_and_b32_e32 v21, 0x4040404, v39
	v_and_b32_e32 v31, 0x4040404, v43
	;; [unrolled: 1-line block ×3, first 2 shown]
	v_ashrrev_i32_e32 v51, 4, v22
	v_or_b32_e32 v17, 0x3020100, v17
	v_perm_b32 v19, s10, v7, v38
	v_perm_b32 v20, s19, v8, v38
	;; [unrolled: 1-line block ×4, first 2 shown]
	v_or_b32_e32 v21, 0x3020100, v21
	v_or_b32_e32 v31, 0x3020100, v31
	v_and_b32_e32 v33, 0x4040404, v49
	v_perm_b32 v28, v16, v15, v17
	global_load_dwordx4 v[15:18], v[4:5], off offset:-32
	v_perm_b32 v32, v20, v19, v21
	v_perm_b32 v30, v30, v22, v31
	global_load_dwordx4 v[19:22], v[4:5], off offset:-16
	global_load_dword v31, v[23:24], off
	v_perm_b32 v23, s10, v7, v48
	v_perm_b32 v24, s19, v8, v48
	v_or_b32_e32 v33, 0x3020100, v33
	v_perm_b32 v23, v24, v23, v33
	v_lshrrev_b32_e32 v33, 1, v40
	v_and_b32_e32 v24, 0x7070707, v40
	v_and_b32_e32 v33, 0x4040404, v33
	v_perm_b32 v34, s10, v7, v24
	v_perm_b32 v24, s19, v8, v24
	v_or_b32_e32 v33, 0x3020100, v33
	v_perm_b32 v24, v24, v34, v33
	v_lshrrev_b32_e32 v34, 1, v41
	v_and_b32_e32 v33, 0x7070707, v41
	v_and_b32_e32 v34, 0x4040404, v34
	;; [unrolled: 7-line block ×8, first 2 shown]
	v_perm_b32 v44, s10, v7, v42
	v_perm_b32 v42, s19, v8, v42
	v_or_b32_e32 v43, 0x3020100, v43
	v_perm_b32 v42, v42, v44, v43
	global_load_dword v43, v[4:5], off
	s_waitcnt vmcnt(4)
	v_bfe_u32 v37, v37, v10, 4
	v_bfe_u32 v35, v35, v10, 4
	v_add_co_u32_e32 v4, vcc, 0x900, v4
	v_addc_co_u32_e32 v5, vcc, 0, v5, vcc
	s_waitcnt vmcnt(3)
	v_dot4_i32_i8 v25, v25, v16, 0
	v_dot4_i32_i8 v16, v28, v16, 0
	s_waitcnt vmcnt(2)
	v_dot4_i32_i8 v24, v24, v20, v25
	v_dot4_i32_i8 v16, v34, v20, v16
	s_waitcnt vmcnt(1)
	v_lshrrev_b32_sdwa v44, v11, v31 dst_sel:DWORD dst_unused:UNUSED_PAD src0_sel:DWORD src1_sel:WORD_1
	v_dot4_i32_i8 v20, v26, v17, v24
	v_dot4_i32_i8 v16, v29, v17, v16
	v_lshlrev_b32_e32 v44, 4, v44
	v_dot4_i32_i8 v17, v33, v21, v20
	v_dot4_i32_i8 v16, v38, v21, v16
	v_and_or_b32 v37, v44, 48, v37
	v_lshrrev_b32_sdwa v44, v11, v36 dst_sel:DWORD dst_unused:UNUSED_PAD src0_sel:DWORD src1_sel:WORD_1
	v_dot4_i32_i8 v17, v27, v18, v17
	v_dot4_i32_i8 v16, v32, v18, v16
	v_lshlrev_b32_e32 v44, 4, v44
	v_dot4_i32_i8 v17, v39, v22, v17
	v_dot4_i32_i8 v16, v40, v22, v16
	v_and_or_b32 v35, v44, 48, v35
	v_dot4_i32_i8 v17, v30, v19, v17
	v_dot4_i32_i8 v16, v23, v19, v16
	v_subrev_u32_e32 v37, 32, v37
	v_subrev_u32_e32 v35, 32, v35
	v_cvt_f32_f16_e32 v15, v15
	v_cvt_f32_f16_e32 v18, v31
	;; [unrolled: 1-line block ×3, first 2 shown]
	v_mul_f32_e32 v18, v18, v15
	v_mul_f32_e32 v15, v19, v15
	s_waitcnt vmcnt(0)
	v_dot4_i32_i8 v17, v41, v43, v17
	v_dot4_i32_i8 v16, v42, v43, v16
	v_mul_lo_u32 v17, v35, v17
	v_mul_lo_u32 v16, v37, v16
	v_cvt_f32_i32_e32 v17, v17
	v_cvt_f32_i32_e32 v16, v16
	v_fmac_f32_e32 v3, v15, v17
	v_fmac_f32_e32 v2, v18, v16
	s_andn2_b64 exec, exec, s[4:5]
	s_cbranch_execnz .LBB240_3
; %bb.4:
	s_or_b64 exec, exec, s[4:5]
.LBB240_5:
	s_or_b64 exec, exec, s[24:25]
	v_mbcnt_lo_u32_b32 v4, -1, 0
	v_mbcnt_hi_u32_b32 v4, -1, v4
	v_and_b32_e32 v5, 64, v4
	v_add_u32_e32 v5, 64, v5
	v_xor_b32_e32 v6, 32, v4
	v_cmp_lt_i32_e32 vcc, v6, v5
	v_cndmask_b32_e32 v6, v4, v6, vcc
	v_lshlrev_b32_e32 v6, 2, v6
	ds_bpermute_b32 v9, v6, v3
	ds_bpermute_b32 v6, v6, v2
	v_xor_b32_e32 v7, 16, v4
	v_cmp_lt_i32_e32 vcc, v7, v5
	v_cndmask_b32_e32 v7, v4, v7, vcc
	v_lshlrev_b32_e32 v7, 2, v7
	s_waitcnt lgkmcnt(1)
	v_add_f32_e32 v3, v3, v9
	s_waitcnt lgkmcnt(0)
	v_add_f32_e32 v2, v2, v6
	ds_bpermute_b32 v9, v7, v3
	ds_bpermute_b32 v6, v7, v2
	v_xor_b32_e32 v8, 8, v4
	v_cmp_lt_i32_e32 vcc, v8, v5
	v_cndmask_b32_e32 v8, v4, v8, vcc
	v_lshlrev_b32_e32 v8, 2, v8
	s_waitcnt lgkmcnt(1)
	v_add_f32_e32 v3, v3, v9
	s_waitcnt lgkmcnt(0)
	v_add_f32_e32 v2, v2, v6
	;; [unrolled: 10-line block ×5, first 2 shown]
	ds_bpermute_b32 v3, v5, v2
	ds_bpermute_b32 v5, v5, v4
	v_add_u32_e32 v6, s6, v0
	v_cmp_gt_u32_e32 vcc, 2, v0
	v_cmp_gt_u32_e64 s[0:1], s8, v6
	s_and_b64 s[0:1], vcc, s[0:1]
	s_and_b64 exec, exec, s[0:1]
	s_cbranch_execz .LBB240_7
; %bb.6:
	v_mul_lo_u32 v1, s11, v1
	v_cmp_eq_u32_e32 vcc, 1, v0
	s_mul_i32 s0, s14, s7
	v_or_b32_e32 v0, s6, v0
	v_add3_u32 v0, v0, v1, s0
	v_mov_b32_e32 v1, 0
	v_lshlrev_b64 v[0:1], 2, v[0:1]
	s_waitcnt lgkmcnt(1)
	v_add_f32_e32 v2, v2, v3
	s_waitcnt lgkmcnt(0)
	v_add_f32_e32 v3, v4, v5
	v_cndmask_b32_e32 v2, v2, v3, vcc
	v_mov_b32_e32 v3, s23
	v_add_co_u32_e32 v0, vcc, s22, v0
	v_addc_co_u32_e32 v1, vcc, v3, v1, vcc
	global_store_dword v[0:1], v2, off
.LBB240_7:
	s_endpgm
	.section	.rodata,"a",@progbits
	.p2align	6, 0x0
	.amdhsa_kernel _ZL17mul_mat_vec_q_moeIL9ggml_type23ELi2EEvPKvS2_PKiPfj15HIP_vector_typeIjLj3EEjjjjjjjjj
		.amdhsa_group_segment_fixed_size 0
		.amdhsa_private_segment_fixed_size 0
		.amdhsa_kernarg_size 84
		.amdhsa_user_sgpr_count 6
		.amdhsa_user_sgpr_private_segment_buffer 1
		.amdhsa_user_sgpr_dispatch_ptr 0
		.amdhsa_user_sgpr_queue_ptr 0
		.amdhsa_user_sgpr_kernarg_segment_ptr 1
		.amdhsa_user_sgpr_dispatch_id 0
		.amdhsa_user_sgpr_flat_scratch_init 0
		.amdhsa_user_sgpr_private_segment_size 0
		.amdhsa_uses_dynamic_stack 0
		.amdhsa_system_sgpr_private_segment_wavefront_offset 0
		.amdhsa_system_sgpr_workgroup_id_x 1
		.amdhsa_system_sgpr_workgroup_id_y 1
		.amdhsa_system_sgpr_workgroup_id_z 0
		.amdhsa_system_sgpr_workgroup_info 0
		.amdhsa_system_vgpr_workitem_id 1
		.amdhsa_next_free_vgpr 52
		.amdhsa_next_free_sgpr 29
		.amdhsa_reserve_vcc 1
		.amdhsa_reserve_flat_scratch 0
		.amdhsa_float_round_mode_32 0
		.amdhsa_float_round_mode_16_64 0
		.amdhsa_float_denorm_mode_32 3
		.amdhsa_float_denorm_mode_16_64 3
		.amdhsa_dx10_clamp 1
		.amdhsa_ieee_mode 1
		.amdhsa_fp16_overflow 0
		.amdhsa_exception_fp_ieee_invalid_op 0
		.amdhsa_exception_fp_denorm_src 0
		.amdhsa_exception_fp_ieee_div_zero 0
		.amdhsa_exception_fp_ieee_overflow 0
		.amdhsa_exception_fp_ieee_underflow 0
		.amdhsa_exception_fp_ieee_inexact 0
		.amdhsa_exception_int_div_zero 0
	.end_amdhsa_kernel
	.section	.text._ZL17mul_mat_vec_q_moeIL9ggml_type23ELi2EEvPKvS2_PKiPfj15HIP_vector_typeIjLj3EEjjjjjjjjj,"axG",@progbits,_ZL17mul_mat_vec_q_moeIL9ggml_type23ELi2EEvPKvS2_PKiPfj15HIP_vector_typeIjLj3EEjjjjjjjjj,comdat
.Lfunc_end240:
	.size	_ZL17mul_mat_vec_q_moeIL9ggml_type23ELi2EEvPKvS2_PKiPfj15HIP_vector_typeIjLj3EEjjjjjjjjj, .Lfunc_end240-_ZL17mul_mat_vec_q_moeIL9ggml_type23ELi2EEvPKvS2_PKiPfj15HIP_vector_typeIjLj3EEjjjjjjjjj
                                        ; -- End function
	.set _ZL17mul_mat_vec_q_moeIL9ggml_type23ELi2EEvPKvS2_PKiPfj15HIP_vector_typeIjLj3EEjjjjjjjjj.num_vgpr, 52
	.set _ZL17mul_mat_vec_q_moeIL9ggml_type23ELi2EEvPKvS2_PKiPfj15HIP_vector_typeIjLj3EEjjjjjjjjj.num_agpr, 0
	.set _ZL17mul_mat_vec_q_moeIL9ggml_type23ELi2EEvPKvS2_PKiPfj15HIP_vector_typeIjLj3EEjjjjjjjjj.numbered_sgpr, 29
	.set _ZL17mul_mat_vec_q_moeIL9ggml_type23ELi2EEvPKvS2_PKiPfj15HIP_vector_typeIjLj3EEjjjjjjjjj.num_named_barrier, 0
	.set _ZL17mul_mat_vec_q_moeIL9ggml_type23ELi2EEvPKvS2_PKiPfj15HIP_vector_typeIjLj3EEjjjjjjjjj.private_seg_size, 0
	.set _ZL17mul_mat_vec_q_moeIL9ggml_type23ELi2EEvPKvS2_PKiPfj15HIP_vector_typeIjLj3EEjjjjjjjjj.uses_vcc, 1
	.set _ZL17mul_mat_vec_q_moeIL9ggml_type23ELi2EEvPKvS2_PKiPfj15HIP_vector_typeIjLj3EEjjjjjjjjj.uses_flat_scratch, 0
	.set _ZL17mul_mat_vec_q_moeIL9ggml_type23ELi2EEvPKvS2_PKiPfj15HIP_vector_typeIjLj3EEjjjjjjjjj.has_dyn_sized_stack, 0
	.set _ZL17mul_mat_vec_q_moeIL9ggml_type23ELi2EEvPKvS2_PKiPfj15HIP_vector_typeIjLj3EEjjjjjjjjj.has_recursion, 0
	.set _ZL17mul_mat_vec_q_moeIL9ggml_type23ELi2EEvPKvS2_PKiPfj15HIP_vector_typeIjLj3EEjjjjjjjjj.has_indirect_call, 0
	.section	.AMDGPU.csdata,"",@progbits
; Kernel info:
; codeLenInByte = 2064
; TotalNumSgprs: 33
; NumVgprs: 52
; ScratchSize: 0
; MemoryBound: 0
; FloatMode: 240
; IeeeMode: 1
; LDSByteSize: 0 bytes/workgroup (compile time only)
; SGPRBlocks: 4
; VGPRBlocks: 12
; NumSGPRsForWavesPerEU: 33
; NumVGPRsForWavesPerEU: 52
; Occupancy: 4
; WaveLimiterHint : 1
; COMPUTE_PGM_RSRC2:SCRATCH_EN: 0
; COMPUTE_PGM_RSRC2:USER_SGPR: 6
; COMPUTE_PGM_RSRC2:TRAP_HANDLER: 0
; COMPUTE_PGM_RSRC2:TGID_X_EN: 1
; COMPUTE_PGM_RSRC2:TGID_Y_EN: 1
; COMPUTE_PGM_RSRC2:TGID_Z_EN: 0
; COMPUTE_PGM_RSRC2:TIDIG_COMP_CNT: 1
	.section	.text._ZL13mul_mat_vec_qIL9ggml_type23ELi1ELb1ELb1EEvPKvS2_PKi31ggml_cuda_mm_fusion_args_devicePfj15HIP_vector_typeIjLj3EEjjjS8_jjjS8_jjjj,"axG",@progbits,_ZL13mul_mat_vec_qIL9ggml_type23ELi1ELb1ELb1EEvPKvS2_PKi31ggml_cuda_mm_fusion_args_devicePfj15HIP_vector_typeIjLj3EEjjjS8_jjjS8_jjjj,comdat
	.globl	_ZL13mul_mat_vec_qIL9ggml_type23ELi1ELb1ELb1EEvPKvS2_PKi31ggml_cuda_mm_fusion_args_devicePfj15HIP_vector_typeIjLj3EEjjjS8_jjjS8_jjjj ; -- Begin function _ZL13mul_mat_vec_qIL9ggml_type23ELi1ELb1ELb1EEvPKvS2_PKi31ggml_cuda_mm_fusion_args_devicePfj15HIP_vector_typeIjLj3EEjjjS8_jjjS8_jjjj
	.p2align	8
	.type	_ZL13mul_mat_vec_qIL9ggml_type23ELi1ELb1ELb1EEvPKvS2_PKi31ggml_cuda_mm_fusion_args_devicePfj15HIP_vector_typeIjLj3EEjjjS8_jjjS8_jjjj,@function
_ZL13mul_mat_vec_qIL9ggml_type23ELi1ELb1ELb1EEvPKvS2_PKi31ggml_cuda_mm_fusion_args_devicePfj15HIP_vector_typeIjLj3EEjjjS8_jjjS8_jjjj: ; @_ZL13mul_mat_vec_qIL9ggml_type23ELi1ELb1ELb1EEvPKvS2_PKi31ggml_cuda_mm_fusion_args_devicePfj15HIP_vector_typeIjLj3EEjjjS8_jjjS8_jjjj
; %bb.0:
	s_load_dwordx8 s[12:19], s[4:5], 0x0
	s_load_dwordx4 s[28:31], s[4:5], 0x20
	s_load_dwordx4 s[36:39], s[4:5], 0x40
	;; [unrolled: 1-line block ×3, first 2 shown]
	s_mov_b32 s34, s7
	s_waitcnt lgkmcnt(0)
	s_cmp_lg_u64 s[16:17], 0
	s_cselect_b64 s[0:1], -1, 0
	s_cmp_eq_u64 s[16:17], 0
	s_mov_b64 s[2:3], 0
	s_cbranch_scc1 .LBB241_5
; %bb.1:
	s_mov_b32 s35, 0
	s_lshl_b64 s[10:11], s[34:35], 2
	s_add_u32 s10, s16, s10
	s_addc_u32 s11, s17, s11
	s_load_dword s35, s[10:11], 0x0
	s_load_dword s33, s[4:5], 0x50
	;; [unrolled: 1-line block ×3, first 2 shown]
	s_andn2_b64 vcc, exec, s[2:3]
	s_cbranch_vccnz .LBB241_3
.LBB241_2:
	s_load_dwordx2 s[2:3], s[4:5], 0x5c
	s_waitcnt lgkmcnt(0)
	s_mul_hi_u32 s2, s2, s34
	s_add_i32 s2, s34, s2
	s_lshr_b32 s35, s2, s3
.LBB241_3:
	s_andn2_b64 vcc, exec, s[0:1]
	s_cbranch_vccnz .LBB241_6
; %bb.4:
	s_mul_hi_u32 s0, s37, s34
	s_add_i32 s0, s34, s0
	s_lshr_b32 s0, s0, s38
	s_mul_i32 s0, s0, s39
	s_sub_i32 s37, s34, s0
	s_waitcnt lgkmcnt(0)
	s_mov_b32 s43, s35
	s_branch .LBB241_7
.LBB241_5:
                                        ; implicit-def: $sgpr35
	s_load_dword s33, s[4:5], 0x50
	s_load_dword s42, s[4:5], 0x78
	s_branch .LBB241_2
.LBB241_6:
	s_mov_b32 s43, s34
	s_mov_b32 s37, s34
.LBB241_7:
	s_load_dword s9, s[4:5], 0x58
	s_load_dwordx4 s[24:27], s[4:5], 0x80
	s_lshl_b32 s16, s6, 1
	s_cmp_eq_u64 s[18:19], 0
	s_cselect_b64 s[0:1], -1, 0
	v_mov_b32_e32 v27, 0
	s_and_b64 vcc, exec, s[0:1]
	v_cmp_gt_u32_e64 s[2:3], 2, v0
	v_cmp_eq_u32_e64 s[6:7], 0, v1
	v_add_u32_e32 v26, s16, v0
	v_mov_b32_e32 v28, 0
	s_cbranch_vccnz .LBB241_11
; %bb.8:
	s_waitcnt lgkmcnt(0)
	v_cmp_gt_u32_e32 vcc, s9, v26
	s_and_b64 s[2:3], s[2:3], vcc
	s_mov_b32 s11, 0
	s_and_b64 s[6:7], s[2:3], s[6:7]
	v_mov_b32_e32 v28, 0
	s_and_saveexec_b64 s[2:3], s[6:7]
	s_cbranch_execz .LBB241_10
; %bb.9:
	s_mul_i32 s10, s26, s8
	s_lshl_b64 s[6:7], s[10:11], 2
	s_add_u32 s17, s18, s6
	s_mul_i32 s10, s43, s22
	s_addc_u32 s18, s19, s7
	s_lshl_b64 s[6:7], s[10:11], 2
	s_add_u32 s10, s17, s6
	s_addc_u32 s11, s18, s7
	s_ashr_i32 s17, s16, 31
	s_lshl_b64 s[6:7], s[16:17], 2
	s_add_u32 s6, s10, s6
	s_addc_u32 s7, s11, s7
	v_lshlrev_b32_e32 v2, 2, v0
	global_load_dword v28, v2, s[6:7]
.LBB241_10:
	s_or_b64 exec, exec, s[2:3]
.LBB241_11:
	s_cmp_lg_u64 s[28:29], 0
	s_cselect_b64 s[18:19], -1, 0
	s_cmp_eq_u64 s[28:29], 0
	s_cselect_b64 s[38:39], -1, 0
	s_cmp_lg_u64 s[30:31], 0
	s_cselect_b64 s[2:3], -1, 0
	s_and_b64 s[6:7], s[2:3], s[18:19]
	s_andn2_b64 vcc, exec, s[6:7]
	s_waitcnt lgkmcnt(0)
	v_cmp_gt_u32_e64 s[6:7], s9, v26
	s_cbranch_vccnz .LBB241_15
; %bb.12:
	v_cmp_gt_u32_e32 vcc, 2, v0
	v_cmp_eq_u32_e64 s[10:11], 0, v1
	s_and_b64 s[6:7], vcc, s[6:7]
	s_mov_b32 s41, 0
	s_and_b64 s[10:11], s[6:7], s[10:11]
	v_mov_b32_e32 v27, 0
	s_and_saveexec_b64 s[6:7], s[10:11]
	s_cbranch_execz .LBB241_14
; %bb.13:
	s_mul_i32 s40, s26, s8
	s_lshl_b64 s[10:11], s[40:41], 2
	s_add_u32 s17, s30, s10
	s_mul_i32 s40, s43, s22
	s_addc_u32 s27, s31, s11
	s_lshl_b64 s[10:11], s[40:41], 2
	s_add_u32 s30, s17, s10
	s_addc_u32 s27, s27, s11
	s_ashr_i32 s17, s16, 31
	s_lshl_b64 s[10:11], s[16:17], 2
	s_add_u32 s10, s30, s10
	s_addc_u32 s11, s27, s11
	v_lshlrev_b32_e32 v2, 2, v0
	global_load_dword v27, v2, s[10:11]
.LBB241_14:
	s_or_b64 exec, exec, s[6:7]
.LBB241_15:
	v_lshl_add_u32 v2, v1, 6, v0
	v_mov_b32_e32 v20, 0
	s_lshr_b32 s17, s36, 8
	v_lshrrev_b32_e32 v31, 3, v2
	v_mov_b32_e32 v21, v20
	v_mov_b32_e32 v18, v20
	v_cmp_gt_u32_e32 vcc, s17, v31
	v_lshlrev_b32_e32 v25, 2, v0
	v_cndmask_b32_e64 v29, 0, 1, s[18:19]
	v_mov_b32_e32 v30, v20
	v_mov_b32_e32 v19, v21
	s_and_saveexec_b64 s[30:31], vcc
	s_cbranch_execz .LBB241_23
; %bb.16:
	s_mul_hi_u32 s6, s23, s8
	s_add_i32 s6, s8, s6
	s_lshr_b32 s6, s6, s42
	s_mul_i32 s7, s35, s20
	s_mul_i32 s6, s6, s24
	;; [unrolled: 1-line block ×3, first 2 shown]
	s_add_i32 s21, s7, s6
	s_mul_hi_u32 s6, s11, 36
	s_mul_i32 s11, s11, 36
	v_lshrrev_b32_e32 v6, 3, v2
	v_mov_b32_e32 v2, s11
	v_mov_b32_e32 v3, s6
	s_movk_i32 s6, 0x120
	v_mad_u64_u32 v[2:3], s[6:7], v6, s6, v[2:3]
	s_mul_i32 s10, s25, s8
	s_mul_i32 s6, s16, s33
	s_add_i32 s20, s21, s6
	v_mad_u64_u32 v[2:3], s[6:7], s10, 36, v[2:3]
	v_and_b32_e32 v5, 7, v0
	s_add_i32 s6, s16, 1
	s_mul_i32 s33, s33, s6
	v_mad_u64_u32 v[2:3], s[6:7], v5, 36, v[2:3]
	v_mov_b32_e32 v5, s15
	v_and_b32_e32 v4, 28, v25
	v_add_co_u32_e32 v2, vcc, s14, v2
	v_addc_co_u32_e32 v3, vcc, v5, v3, vcc
	v_mov_b32_e32 v18, 0
	v_add_co_u32_e32 v21, vcc, 32, v2
	v_mov_b32_e32 v24, s13
	v_bfe_u32 v32, v25, 3, 2
	v_and_b32_e32 v33, 4, v25
	v_lshrrev_b32_e32 v34, 1, v4
	s_add_i32 s21, s21, s33
	v_addc_co_u32_e32 v22, vcc, 0, v3, vcc
	v_mov_b32_e32 v19, v18
	s_mov_b64 s[14:15], 0
	s_movk_i32 s23, 0x88
	s_mov_b32 s24, 0xf6eaddcf
	s_mov_b32 s25, 0x71594535
	v_mov_b32_e32 v23, s12
	v_lshlrev_b32_e32 v35, 2, v4
	v_cmp_ne_u32_e64 s[6:7], 1, v29
	v_mov_b32_e32 v36, 0xbfad9881
	v_mov_b32_e32 v37, 0x26190d01
	v_mov_b32_e32 v30, v18
	v_mov_b32_e32 v20, v18
	s_branch .LBB241_18
.LBB241_17:                             ;   in Loop: Header=BB241_18 Depth=1
	s_waitcnt vmcnt(3)
	v_ashrrev_i32_e32 v43, 4, v10
	v_and_b32_e32 v44, 0x7070707, v10
	v_lshrrev_b32_e32 v10, 1, v10
	v_and_b32_e32 v46, 0x7070707, v43
	v_and_b32_e32 v10, 0x4040404, v10
	v_lshrrev_b32_e32 v43, 1, v43
	v_perm_b32 v45, s24, v36, v44
	v_perm_b32 v44, s25, v37, v44
	v_or_b32_e32 v10, 0x3020100, v10
	v_and_b32_e32 v43, 0x4040404, v43
	v_perm_b32 v47, s24, v36, v46
	v_perm_b32 v46, s25, v37, v46
	v_perm_b32 v10, v44, v45, v10
	v_or_b32_e32 v43, 0x3020100, v43
	v_perm_b32 v43, v46, v47, v43
	v_dot4_i32_i8 v10, v10, v7, 0
	v_dot4_i32_i8 v10, v43, v3, v10
	v_ashrrev_i32_e32 v43, 4, v11
	v_and_b32_e32 v44, 0x7070707, v11
	v_lshrrev_b32_e32 v11, 1, v11
	v_and_b32_e32 v46, 0x7070707, v43
	v_and_b32_e32 v11, 0x4040404, v11
	v_lshrrev_b32_e32 v43, 1, v43
	v_perm_b32 v45, s24, v36, v44
	v_perm_b32 v44, s25, v37, v44
	v_or_b32_e32 v11, 0x3020100, v11
	v_and_b32_e32 v43, 0x4040404, v43
	v_perm_b32 v47, s24, v36, v46
	v_perm_b32 v46, s25, v37, v46
	v_perm_b32 v11, v44, v45, v11
	v_or_b32_e32 v43, 0x3020100, v43
	v_perm_b32 v43, v46, v47, v43
	v_dot4_i32_i8 v10, v11, v8, v10
	v_dot4_i32_i8 v10, v43, v4, v10
	;; [unrolled: 17-line block ×4, first 2 shown]
	v_and_b32_e32 v11, 0xff, v40
	v_lshrrev_b32_sdwa v12, v34, v38 dst_sel:DWORD dst_unused:UNUSED_PAD src0_sel:DWORD src1_sel:WORD_1
	v_bfe_u32 v11, v11, v33, 4
	v_lshlrev_b32_e32 v12, 4, v12
	v_and_or_b32 v11, v12, 48, v11
	v_subrev_u32_e32 v11, 32, v11
	v_mul_lo_u32 v10, v11, v10
	s_waitcnt vmcnt(2)
	v_ashrrev_i32_e32 v11, 4, v14
	v_and_b32_e32 v12, 0x7070707, v14
	v_lshrrev_b32_e32 v14, 1, v14
	v_and_b32_e32 v40, 0x7070707, v11
	v_and_b32_e32 v14, 0x4040404, v14
	v_lshrrev_b32_e32 v11, 1, v11
	v_perm_b32 v13, s24, v36, v12
	v_perm_b32 v12, s25, v37, v12
	v_or_b32_e32 v14, 0x3020100, v14
	v_and_b32_e32 v11, 0x4040404, v11
	v_perm_b32 v43, s24, v36, v40
	v_perm_b32 v40, s25, v37, v40
	;; [unrolled: 1-line block ×3, first 2 shown]
	v_or_b32_e32 v11, 0x3020100, v11
	v_perm_b32 v11, v40, v43, v11
	v_dot4_i32_i8 v7, v12, v7, 0
	v_dot4_i32_i8 v3, v11, v3, v7
	v_ashrrev_i32_e32 v7, 4, v15
	v_and_b32_e32 v11, 0x7070707, v15
	v_lshrrev_b32_e32 v15, 1, v15
	v_and_b32_e32 v13, 0x7070707, v7
	v_and_b32_e32 v15, 0x4040404, v15
	v_lshrrev_b32_e32 v7, 1, v7
	v_perm_b32 v12, s24, v36, v11
	v_perm_b32 v11, s25, v37, v11
	v_or_b32_e32 v15, 0x3020100, v15
	v_and_b32_e32 v7, 0x4040404, v7
	v_perm_b32 v14, s24, v36, v13
	v_perm_b32 v13, s25, v37, v13
	;; [unrolled: 1-line block ×3, first 2 shown]
	v_or_b32_e32 v7, 0x3020100, v7
	v_perm_b32 v7, v13, v14, v7
	v_dot4_i32_i8 v3, v11, v8, v3
	v_dot4_i32_i8 v3, v7, v4, v3
	v_ashrrev_i32_e32 v4, 4, v16
	v_lshrrev_b32_e32 v13, 1, v16
	v_and_b32_e32 v7, 0x7070707, v16
	v_and_b32_e32 v11, 0x7070707, v4
	;; [unrolled: 1-line block ×3, first 2 shown]
	v_lshrrev_b32_e32 v4, 1, v4
	v_perm_b32 v8, s24, v36, v7
	v_perm_b32 v7, s25, v37, v7
	v_or_b32_e32 v13, 0x3020100, v13
	v_and_b32_e32 v4, 0x4040404, v4
	v_perm_b32 v12, s24, v36, v11
	v_perm_b32 v11, s25, v37, v11
	;; [unrolled: 1-line block ×3, first 2 shown]
	v_or_b32_e32 v4, 0x3020100, v4
	v_perm_b32 v4, v11, v12, v4
	v_dot4_i32_i8 v3, v7, v9, v3
	v_dot4_i32_i8 v3, v4, v5, v3
	v_ashrrev_i32_e32 v4, 4, v17
	v_lshrrev_b32_e32 v11, 1, v17
	v_and_b32_e32 v5, 0x7070707, v17
	v_and_b32_e32 v8, 0x7070707, v4
	;; [unrolled: 1-line block ×3, first 2 shown]
	v_lshrrev_b32_e32 v4, 1, v4
	v_perm_b32 v7, s24, v36, v5
	v_perm_b32 v5, s25, v37, v5
	v_or_b32_e32 v11, 0x3020100, v11
	v_and_b32_e32 v4, 0x4040404, v4
	v_perm_b32 v9, s24, v36, v8
	v_perm_b32 v8, s25, v37, v8
	;; [unrolled: 1-line block ×3, first 2 shown]
	v_or_b32_e32 v4, 0x3020100, v4
	v_perm_b32 v4, v8, v9, v4
	v_dot4_i32_i8 v2, v5, v2, v3
	v_dot4_i32_i8 v2, v4, v39, v2
	s_waitcnt vmcnt(0)
	v_lshrrev_b32_sdwa v4, v34, v41 dst_sel:DWORD dst_unused:UNUSED_PAD src0_sel:DWORD src1_sel:WORD_1
	v_bfe_u32 v3, v42, v33, 4
	v_lshlrev_b32_e32 v4, 4, v4
	v_and_or_b32 v3, v4, 48, v3
	v_subrev_u32_e32 v3, 32, v3
	v_mul_lo_u32 v2, v3, v2
	v_cvt_f32_f16_e32 v3, v38
	v_cvt_f32_i32_e32 v4, v10
	v_cvt_f32_f16_e32 v5, v41
	v_cvt_f32_i32_e32 v2, v2
	v_mul_f32_e32 v3, v3, v6
	v_add_u32_e32 v31, 16, v31
	v_fmac_f32_e32 v30, v3, v4
	v_mul_f32_e32 v3, v5, v6
	v_add_co_u32_e32 v21, vcc, 0x1200, v21
	v_cmp_le_u32_e64 s[10:11], s17, v31
	v_fmac_f32_e32 v20, v3, v2
	s_or_b64 s[14:15], s[10:11], s[14:15]
	v_addc_co_u32_e32 v22, vcc, 0, v22, vcc
	s_andn2_b64 exec, exec, s[14:15]
	s_cbranch_execz .LBB241_22
.LBB241_18:                             ; =>This Inner Loop Header: Depth=1
	v_add_u32_e32 v14, s20, v31
	v_mad_i64_i32 v[15:16], s[10:11], v14, s23, v[23:24]
	v_add_co_u32_e32 v41, vcc, v15, v35
	v_addc_co_u32_e32 v42, vcc, 0, v16, vcc
	v_add_co_u32_e32 v43, vcc, v15, v32
	v_addc_co_u32_e32 v44, vcc, 0, v16, vcc
	global_load_dwordx4 v[6:9], v[21:22], off offset:-32
	global_load_dwordx4 v[2:5], v[21:22], off offset:-16
	global_load_dword v39, v[21:22], off
	global_load_ubyte v40, v[43:44], off offset:4
	global_load_dword v38, v[15:16], off
	global_load_dwordx4 v[10:13], v[41:42], off offset:8
	s_and_b64 vcc, exec, s[6:7]
	s_waitcnt vmcnt(5)
	v_cvt_f32_f16_e32 v6, v6
	s_cbranch_vccnz .LBB241_20
; %bb.19:                               ;   in Loop: Header=BB241_18 Depth=1
	v_mov_b32_e32 v15, s28
	v_mov_b32_e32 v16, s29
	v_mad_i64_i32 v[41:42], s[10:11], v14, s23, v[15:16]
	v_add_co_u32_e32 v14, vcc, v41, v35
	v_addc_co_u32_e32 v15, vcc, 0, v42, vcc
	global_load_dword v43, v[41:42], off
	s_nop 0
	global_load_dwordx4 v[14:17], v[14:15], off offset:8
	v_add_co_u32_e32 v41, vcc, v41, v32
	v_addc_co_u32_e32 v42, vcc, 0, v42, vcc
	global_load_ubyte v41, v[41:42], off offset:4
	s_waitcnt vmcnt(2)
	v_lshrrev_b32_sdwa v42, v34, v43 dst_sel:DWORD dst_unused:UNUSED_PAD src0_sel:DWORD src1_sel:WORD_1
	v_lshlrev_b32_e32 v42, 4, v42
	s_waitcnt vmcnt(1)
	v_ashrrev_i32_e32 v44, 4, v14
	v_and_b32_e32 v45, 0x7070707, v14
	v_lshrrev_b32_e32 v14, 1, v14
	v_and_b32_e32 v53, 0x7070707, v44
	v_and_b32_e32 v14, 0x4040404, v14
	v_lshrrev_b32_e32 v44, 1, v44
	v_ashrrev_i32_e32 v46, 4, v15
	v_and_b32_e32 v47, 0x7070707, v15
	v_lshrrev_b32_e32 v15, 1, v15
	s_waitcnt vmcnt(0)
	v_bfe_u32 v41, v41, v33, 4
	v_perm_b32 v52, s24, v36, v45
	v_perm_b32 v45, s25, v37, v45
	v_or_b32_e32 v14, 0x3020100, v14
	v_and_b32_e32 v44, 0x4040404, v44
	v_and_b32_e32 v55, 0x7070707, v46
	;; [unrolled: 1-line block ×3, first 2 shown]
	v_lshrrev_b32_e32 v46, 1, v46
	v_and_or_b32 v41, v42, 48, v41
	v_perm_b32 v42, s24, v36, v53
	v_perm_b32 v53, s25, v37, v53
	;; [unrolled: 1-line block ×3, first 2 shown]
	v_or_b32_e32 v44, 0x3020100, v44
	v_ashrrev_i32_e32 v48, 4, v16
	v_and_b32_e32 v49, 0x7070707, v16
	v_lshrrev_b32_e32 v16, 1, v16
	v_perm_b32 v54, s24, v36, v47
	v_perm_b32 v47, s25, v37, v47
	v_or_b32_e32 v15, 0x3020100, v15
	v_and_b32_e32 v46, 0x4040404, v46
	v_perm_b32 v42, v53, v42, v44
	v_dot4_i32_i8 v14, v14, v7, 0
	v_and_b32_e32 v57, 0x7070707, v48
	v_and_b32_e32 v16, 0x4040404, v16
	v_lshrrev_b32_e32 v48, 1, v48
	v_perm_b32 v60, s24, v36, v55
	v_perm_b32 v55, s25, v37, v55
	;; [unrolled: 1-line block ×3, first 2 shown]
	v_or_b32_e32 v45, 0x3020100, v46
	v_dot4_i32_i8 v14, v42, v3, v14
	v_ashrrev_i32_e32 v50, 4, v17
	v_and_b32_e32 v51, 0x7070707, v17
	v_lshrrev_b32_e32 v17, 1, v17
	v_perm_b32 v56, s24, v36, v49
	v_perm_b32 v49, s25, v37, v49
	v_or_b32_e32 v16, 0x3020100, v16
	v_and_b32_e32 v48, 0x4040404, v48
	v_perm_b32 v44, v55, v60, v45
	v_dot4_i32_i8 v14, v15, v8, v14
	v_and_b32_e32 v59, 0x7070707, v50
	v_and_b32_e32 v17, 0x4040404, v17
	v_lshrrev_b32_e32 v50, 1, v50
	v_perm_b32 v61, s24, v36, v57
	v_perm_b32 v57, s25, v37, v57
	;; [unrolled: 1-line block ×3, first 2 shown]
	v_or_b32_e32 v46, 0x3020100, v48
	v_dot4_i32_i8 v14, v44, v4, v14
	v_perm_b32 v58, s24, v36, v51
	v_perm_b32 v51, s25, v37, v51
	v_or_b32_e32 v17, 0x3020100, v17
	v_and_b32_e32 v50, 0x4040404, v50
	v_perm_b32 v45, v57, v61, v46
	v_dot4_i32_i8 v14, v16, v9, v14
	v_perm_b32 v62, s24, v36, v59
	v_perm_b32 v59, s25, v37, v59
	;; [unrolled: 1-line block ×3, first 2 shown]
	v_or_b32_e32 v47, 0x3020100, v50
	v_dot4_i32_i8 v14, v45, v5, v14
	v_perm_b32 v46, v59, v62, v47
	v_dot4_i32_i8 v14, v17, v2, v14
	v_dot4_i32_i8 v14, v46, v39, v14
	v_subrev_u32_e32 v15, 32, v41
	v_mul_lo_u32 v14, v14, v15
	v_cvt_f32_f16_e32 v15, v43
	v_cvt_f32_i32_e32 v14, v14
	v_mul_f32_e32 v15, v6, v15
	v_fma_f32 v18, v15, v14, v18
.LBB241_20:                             ;   in Loop: Header=BB241_18 Depth=1
	v_mov_b32_e32 v15, s13
	v_add_u32_e32 v43, s21, v31
	v_mov_b32_e32 v14, s12
	v_mad_i64_i32 v[44:45], s[10:11], v43, s23, v[14:15]
	v_add_co_u32_e32 v46, vcc, v44, v35
	v_addc_co_u32_e32 v47, vcc, 0, v45, vcc
	v_add_co_u32_e32 v48, vcc, v44, v32
	v_addc_co_u32_e32 v49, vcc, 0, v45, vcc
	global_load_dwordx4 v[14:17], v[46:47], off offset:8
	global_load_ubyte v42, v[48:49], off offset:4
	global_load_dword v41, v[44:45], off
	s_and_b64 vcc, exec, s[6:7]
	s_cbranch_vccnz .LBB241_17
; %bb.21:                               ;   in Loop: Header=BB241_18 Depth=1
	v_mov_b32_e32 v45, s29
	v_mov_b32_e32 v44, s28
	v_mad_i64_i32 v[47:48], s[10:11], v43, s23, v[44:45]
	v_add_co_u32_e32 v43, vcc, v47, v35
	v_addc_co_u32_e32 v44, vcc, 0, v48, vcc
	global_load_dwordx4 v[43:46], v[43:44], off offset:8
	s_waitcnt vmcnt(0)
	v_ashrrev_i32_e32 v49, 4, v43
	v_and_b32_e32 v50, 0x7070707, v43
	v_lshrrev_b32_e32 v43, 1, v43
	v_and_b32_e32 v52, 0x7070707, v49
	v_and_b32_e32 v43, 0x4040404, v43
	v_lshrrev_b32_e32 v49, 1, v49
	v_perm_b32 v51, s24, v36, v50
	v_perm_b32 v50, s25, v37, v50
	v_or_b32_e32 v43, 0x3020100, v43
	v_and_b32_e32 v49, 0x4040404, v49
	v_perm_b32 v53, s24, v36, v52
	v_perm_b32 v52, s25, v37, v52
	v_perm_b32 v43, v50, v51, v43
	v_or_b32_e32 v49, 0x3020100, v49
	v_perm_b32 v49, v52, v53, v49
	v_dot4_i32_i8 v43, v43, v7, 0
	v_dot4_i32_i8 v43, v49, v3, v43
	v_ashrrev_i32_e32 v49, 4, v44
	v_and_b32_e32 v50, 0x7070707, v44
	v_lshrrev_b32_e32 v44, 1, v44
	v_and_b32_e32 v52, 0x7070707, v49
	v_and_b32_e32 v44, 0x4040404, v44
	v_lshrrev_b32_e32 v49, 1, v49
	v_perm_b32 v51, s24, v36, v50
	v_perm_b32 v50, s25, v37, v50
	v_or_b32_e32 v44, 0x3020100, v44
	v_and_b32_e32 v49, 0x4040404, v49
	v_perm_b32 v53, s24, v36, v52
	v_perm_b32 v52, s25, v37, v52
	v_perm_b32 v44, v50, v51, v44
	v_or_b32_e32 v49, 0x3020100, v49
	v_perm_b32 v49, v52, v53, v49
	v_dot4_i32_i8 v43, v44, v8, v43
	v_dot4_i32_i8 v43, v49, v4, v43
	;; [unrolled: 17-line block ×4, first 2 shown]
	v_add_co_u32_e32 v43, vcc, v47, v32
	v_addc_co_u32_e32 v44, vcc, 0, v48, vcc
	global_load_ubyte v43, v[43:44], off offset:4
	s_waitcnt vmcnt(0)
	v_bfe_u32 v43, v43, v33, 4
	global_load_dword v44, v[47:48], off
	s_waitcnt vmcnt(0)
	v_lshrrev_b32_sdwa v46, v34, v44 dst_sel:DWORD dst_unused:UNUSED_PAD src0_sel:DWORD src1_sel:WORD_1
	v_lshlrev_b32_e32 v46, 4, v46
	v_and_or_b32 v43, v46, 48, v43
	v_subrev_u32_e32 v43, 32, v43
	v_mul_lo_u32 v43, v45, v43
	v_cvt_f32_f16_e32 v44, v44
	v_cvt_f32_i32_e32 v43, v43
	v_mul_f32_e32 v44, v6, v44
	v_fma_f32 v19, v44, v43, v19
	s_branch .LBB241_17
.LBB241_22:
	s_or_b64 exec, exec, s[14:15]
.LBB241_23:
	s_or_b64 exec, exec, s[30:31]
	s_load_dword s14, s[4:5], 0x30
	v_cmp_eq_u32_e64 s[6:7], 0, v1
	v_cmp_ne_u32_e32 vcc, 0, v1
	s_and_saveexec_b64 s[10:11], vcc
	s_cbranch_execz .LBB241_28
; %bb.24:
	v_lshl_or_b32 v1, v1, 9, v25
	v_add_u32_e32 v2, 0xfffffe00, v1
	s_mov_b64 s[12:13], -1
	s_and_b64 vcc, exec, s[38:39]
	ds_write_b32 v2, v30
	s_cbranch_vccz .LBB241_26
; %bb.25:
	ds_write_b32 v2, v20 offset:256
	s_mov_b64 s[12:13], 0
.LBB241_26:
	s_andn2_b64 vcc, exec, s[12:13]
	s_cbranch_vccnz .LBB241_28
; %bb.27:
	ds_write_b32 v2, v20 offset:256
	ds_write2st64_b32 v1, v18, v19 offset1:1
.LBB241_28:
	s_or_b64 exec, exec, s[10:11]
	s_waitcnt vmcnt(0) lgkmcnt(0)
	s_barrier
	s_and_saveexec_b64 s[10:11], s[6:7]
	s_cbranch_execz .LBB241_61
; %bb.29:
	ds_read_b32 v3, v25
	v_cmp_ne_u32_e64 s[6:7], 1, v29
	s_andn2_b64 vcc, exec, s[18:19]
	v_or_b32_e32 v2, 0x200, v25
	s_cbranch_vccnz .LBB241_31
; %bb.30:
	ds_read_b32 v1, v2
	s_waitcnt lgkmcnt(0)
	v_add_f32_e32 v18, v18, v1
.LBB241_31:
	v_mbcnt_lo_u32_b32 v1, -1, 0
	v_mbcnt_hi_u32_b32 v4, -1, v1
	v_and_b32_e32 v1, 64, v4
	v_add_u32_e32 v9, 64, v1
	v_xor_b32_e32 v1, 32, v4
	v_cmp_lt_i32_e32 vcc, v1, v9
	v_cndmask_b32_e32 v1, v4, v1, vcc
	v_lshlrev_b32_e32 v1, 2, v1
	s_waitcnt lgkmcnt(0)
	v_add_f32_e32 v3, v30, v3
	ds_bpermute_b32 v6, v1, v3
	v_xor_b32_e32 v5, 16, v4
	v_cmp_lt_i32_e32 vcc, v5, v9
	v_cndmask_b32_e32 v5, v4, v5, vcc
	v_lshlrev_b32_e32 v5, 2, v5
	s_waitcnt lgkmcnt(0)
	v_add_f32_e32 v3, v3, v6
	ds_bpermute_b32 v7, v5, v3
	;; [unrolled: 7-line block ×6, first 2 shown]
	s_and_b64 vcc, exec, s[6:7]
	s_cbranch_vccnz .LBB241_33
; %bb.32:
	ds_bpermute_b32 v10, v1, v18
	s_waitcnt lgkmcnt(0)
	v_add_f32_e32 v10, v18, v10
	ds_bpermute_b32 v11, v5, v10
	s_waitcnt lgkmcnt(0)
	v_add_f32_e32 v10, v10, v11
	;; [unrolled: 3-line block ×6, first 2 shown]
.LBB241_33:
	ds_read_b32 v10, v25 offset:256
	s_and_b64 vcc, exec, s[6:7]
	s_cbranch_vccnz .LBB241_35
; %bb.34:
	ds_read_b32 v2, v2 offset:256
	s_waitcnt lgkmcnt(0)
	v_add_f32_e32 v19, v19, v2
.LBB241_35:
	s_waitcnt lgkmcnt(0)
	v_add_f32_e32 v2, v20, v10
	ds_bpermute_b32 v10, v1, v2
	s_and_b64 vcc, exec, s[6:7]
	s_waitcnt lgkmcnt(0)
	v_add_f32_e32 v2, v2, v10
	ds_bpermute_b32 v10, v5, v2
	s_waitcnt lgkmcnt(0)
	v_add_f32_e32 v2, v2, v10
	ds_bpermute_b32 v10, v6, v2
	;; [unrolled: 3-line block ×5, first 2 shown]
	s_cbranch_vccnz .LBB241_37
; %bb.36:
	ds_bpermute_b32 v1, v1, v19
	s_waitcnt lgkmcnt(0)
	v_add_f32_e32 v1, v19, v1
	ds_bpermute_b32 v5, v5, v1
	s_waitcnt lgkmcnt(0)
	v_add_f32_e32 v1, v1, v5
	ds_bpermute_b32 v5, v6, v1
	s_waitcnt lgkmcnt(0)
	v_add_f32_e32 v1, v1, v5
	ds_bpermute_b32 v5, v7, v1
	s_waitcnt lgkmcnt(0)
	v_add_f32_e32 v1, v1, v5
	ds_bpermute_b32 v5, v8, v1
	s_waitcnt lgkmcnt(0)
	v_add_f32_e32 v1, v1, v5
	ds_bpermute_b32 v5, v9, v1
	s_waitcnt lgkmcnt(0)
	v_add_f32_e32 v19, v1, v5
.LBB241_37:
	v_cmp_gt_u32_e32 vcc, s9, v26
	v_cmp_gt_u32_e64 s[10:11], 2, v0
	s_and_b64 s[10:11], s[10:11], vcc
	s_and_b64 exec, exec, s[10:11]
	s_cbranch_execz .LBB241_61
; %bb.38:
	v_add_f32_e32 v1, v3, v4
	s_waitcnt lgkmcnt(0)
	v_add_f32_e32 v2, v2, v10
	v_cmp_eq_u32_e64 s[10:11], 1, v0
	v_cndmask_b32_e64 v0, v1, v2, s[10:11]
	v_add_f32_e32 v1, v28, v0
	s_and_b64 vcc, exec, s[6:7]
	v_cndmask_b32_e64 v0, v1, v0, s[0:1]
	s_cbranch_vccnz .LBB241_60
; %bb.39:
	v_cndmask_b32_e64 v1, v18, v19, s[10:11]
	v_add_f32_e32 v2, v27, v1
	v_cndmask_b32_e64 v1, v1, v2, s[2:3]
	s_cmp_lt_i32 s14, 2
	s_mov_b64 s[0:1], 0
	s_cbranch_scc1 .LBB241_43
; %bb.40:
	s_cmp_gt_i32 s14, 2
	s_cbranch_scc0 .LBB241_44
; %bb.41:
	s_cmp_eq_u32 s14, 3
	s_cbranch_scc0 .LBB241_45
; %bb.42:
	v_max_f32_e32 v2, v1, v1
	v_min_f32_e32 v2, 0x40e00000, v2
	v_mul_f32_e32 v3, 0xbfd9db23, v2
	s_mov_b32 s2, 0x3fb8aa3b
	v_mul_f32_e32 v4, 0x3fb8aa3b, v3
	v_fma_f32 v5, v3, s2, -v4
	v_rndne_f32_e32 v6, v4
	v_fmac_f32_e32 v5, 0x32a5705f, v3
	v_sub_f32_e32 v4, v4, v6
	v_add_f32_e32 v4, v4, v5
	v_exp_f32_e32 v4, v4
	v_cvt_i32_f32_e32 v5, v6
	s_mov_b32 s2, 0xc2ce8ed0
	v_cmp_ngt_f32_e32 vcc, s2, v3
	s_mov_b32 s2, 0x42b17218
	v_ldexp_f32 v4, v4, v5
	v_cndmask_b32_e32 v4, 0, v4, vcc
	v_mov_b32_e32 v5, 0x7f800000
	v_cmp_nlt_f32_e32 vcc, s2, v3
	v_cndmask_b32_e32 v3, v5, v4, vcc
	v_add_f32_e32 v3, 1.0, v3
	v_div_scale_f32 v4, s[2:3], v3, v3, v2
	v_div_scale_f32 v5, vcc, v2, v3, v2
	s_mov_b64 s[2:3], 0
	v_rcp_f32_e32 v6, v4
	v_fma_f32 v7, -v4, v6, 1.0
	v_fmac_f32_e32 v6, v7, v6
	v_mul_f32_e32 v7, v5, v6
	v_fma_f32 v8, -v4, v7, v5
	v_fmac_f32_e32 v7, v8, v6
	v_fma_f32 v4, -v4, v7, v5
	v_div_fmas_f32 v4, v4, v6, v7
	v_max_f32_e32 v5, v0, v0
	v_min_f32_e32 v5, 0x40e00000, v5
	v_max_f32_e32 v5, 0xc0e00000, v5
	v_add_f32_e32 v5, 1.0, v5
	v_div_fixup_f32 v2, v4, v3, v2
	v_mul_f32_e32 v2, v5, v2
	s_branch .LBB241_46
.LBB241_43:
                                        ; implicit-def: $vgpr2
	s_mov_b64 s[2:3], 0
	s_cbranch_execnz .LBB241_50
	s_branch .LBB241_51
.LBB241_44:
	s_mov_b64 s[6:7], -1
	s_mov_b64 s[2:3], 0
                                        ; implicit-def: $vgpr2
	s_branch .LBB241_47
.LBB241_45:
	s_mov_b64 s[2:3], -1
                                        ; implicit-def: $vgpr2
.LBB241_46:
	s_mov_b64 s[6:7], 0
.LBB241_47:
	s_and_b64 vcc, exec, s[6:7]
	s_cbranch_vccz .LBB241_49
; %bb.48:
	v_mul_f32_e32 v2, 0xbfb8aa3b, v1
	s_mov_b32 s6, 0xbfb8aa3b
	v_rndne_f32_e32 v3, v2
	v_sub_f32_e32 v4, v2, v3
	v_fma_f32 v2, v1, s6, -v2
	v_fmac_f32_e32 v2, 0xb2a5705f, v1
	v_add_f32_e32 v2, v4, v2
	v_exp_f32_e32 v2, v2
	v_cvt_i32_f32_e32 v3, v3
	s_mov_b32 s6, 0x42ce8ed0
	v_cmp_nlt_f32_e32 vcc, s6, v1
	s_mov_b32 s6, 0xc2b17218
	v_ldexp_f32 v2, v2, v3
	v_cndmask_b32_e32 v2, 0, v2, vcc
	v_mov_b32_e32 v3, 0x7f800000
	v_cmp_ngt_f32_e32 vcc, s6, v1
	v_cndmask_b32_e32 v2, v3, v2, vcc
	v_add_f32_e32 v2, 1.0, v2
	v_div_scale_f32 v3, s[6:7], v2, v2, v1
	v_div_scale_f32 v4, vcc, v1, v2, v1
	v_rcp_f32_e32 v5, v3
	v_fma_f32 v6, -v3, v5, 1.0
	v_fmac_f32_e32 v5, v6, v5
	v_mul_f32_e32 v6, v4, v5
	v_fma_f32 v7, -v3, v6, v4
	v_fmac_f32_e32 v6, v7, v5
	v_fma_f32 v3, -v3, v6, v4
	v_div_fmas_f32 v3, v3, v5, v6
	v_div_fixup_f32 v2, v3, v2, v1
	v_mul_f32_e32 v2, v0, v2
.LBB241_49:
	s_branch .LBB241_51
.LBB241_50:
	s_cmp_lg_u32 s14, 1
	s_mov_b64 s[0:1], -1
	s_cselect_b64 s[2:3], -1, 0
.LBB241_51:
	s_andn2_b64 vcc, exec, s[2:3]
	s_cbranch_vccz .LBB241_53
; %bb.52:
	s_andn2_b64 vcc, exec, s[0:1]
	s_cbranch_vccz .LBB241_54
	s_branch .LBB241_59
.LBB241_53:
	v_mul_f32_e32 v2, v1, v0
	s_cbranch_execnz .LBB241_59
.LBB241_54:
	v_mul_f32_e32 v3, 0x3d372713, v1
	v_mul_f32_e32 v2, 0x3f4c422a, v1
	v_fma_f32 v3, v1, v3, 1.0
	v_mul_f32_e32 v2, v2, v3
	s_mov_b32 s0, 0x3f200000
	v_cmp_nlt_f32_e64 s[0:1], |v2|, s0
                                        ; implicit-def: $vgpr3
	s_and_saveexec_b64 s[2:3], s[0:1]
	s_xor_b64 s[0:1], exec, s[2:3]
	s_cbranch_execz .LBB241_56
; %bb.55:
	v_add_f32_e64 v3, |v2|, |v2|
	v_mul_f32_e32 v4, 0x3fb8aa3b, v3
	s_mov_b32 s2, 0x3fb8aa3b
	v_rndne_f32_e32 v5, v4
	v_sub_f32_e32 v6, v4, v5
	v_fma_f32 v4, v3, s2, -v4
	v_fmac_f32_e32 v4, 0x32a5705f, v3
	v_add_f32_e32 v4, v6, v4
	v_exp_f32_e32 v4, v4
	v_cvt_i32_f32_e32 v5, v5
	s_mov_b32 s2, 0xc2ce8ed0
	v_cmp_ngt_f32_e32 vcc, s2, v3
	s_mov_b32 s2, 0x42b17218
	v_ldexp_f32 v4, v4, v5
	v_cndmask_b32_e32 v4, 0, v4, vcc
	v_mov_b32_e32 v5, 0x7f800000
	v_cmp_nlt_f32_e32 vcc, s2, v3
	v_cndmask_b32_e32 v3, v5, v4, vcc
	v_add_f32_e32 v3, 1.0, v3
	v_rcp_f32_e32 v3, v3
	v_fma_f32 v3, v3, -2.0, 1.0
.LBB241_56:
	s_andn2_saveexec_b64 s[0:1], s[0:1]
	s_cbranch_execz .LBB241_58
; %bb.57:
	v_mul_f32_e32 v3, v2, v2
	v_mov_b32_e32 v4, 0x3ca908c9
	v_fmac_f32_e32 v4, 0xbbbac73d, v3
	v_mov_b32_e32 v5, 0xbd5c1c4e
	v_fmac_f32_e32 v5, v3, v4
	;; [unrolled: 2-line block ×4, first 2 shown]
	v_mul_f32_e64 v4, |v2|, v5
	v_fma_f32 v3, v3, v4, |v2|
.LBB241_58:
	s_or_b64 exec, exec, s[0:1]
	s_brev_b32 s0, -2
	v_bfi_b32 v2, s0, v3, v2
	v_mul_f32_e32 v1, 0.5, v1
	v_add_f32_e32 v2, 1.0, v2
	v_mul_f32_e32 v1, v1, v2
	v_mul_f32_e32 v2, v0, v1
.LBB241_59:
	v_mov_b32_e32 v0, v2
.LBB241_60:
	s_load_dwordx2 s[0:1], s[4:5], 0x38
	s_mul_i32 s3, s22, s34
	s_mul_i32 s2, s26, s8
	s_add_i32 s3, s3, s16
	s_add_i32 s2, s3, s2
	s_mov_b32 s3, 0
	s_lshl_b64 s[2:3], s[2:3], 2
	s_waitcnt lgkmcnt(0)
	s_add_u32 s0, s0, s2
	s_addc_u32 s1, s1, s3
	global_store_dword v25, v0, s[0:1]
.LBB241_61:
	s_endpgm
	.section	.rodata,"a",@progbits
	.p2align	6, 0x0
	.amdhsa_kernel _ZL13mul_mat_vec_qIL9ggml_type23ELi1ELb1ELb1EEvPKvS2_PKi31ggml_cuda_mm_fusion_args_devicePfj15HIP_vector_typeIjLj3EEjjjS8_jjjS8_jjjj
		.amdhsa_group_segment_fixed_size 1024
		.amdhsa_private_segment_fixed_size 0
		.amdhsa_kernarg_size 144
		.amdhsa_user_sgpr_count 6
		.amdhsa_user_sgpr_private_segment_buffer 1
		.amdhsa_user_sgpr_dispatch_ptr 0
		.amdhsa_user_sgpr_queue_ptr 0
		.amdhsa_user_sgpr_kernarg_segment_ptr 1
		.amdhsa_user_sgpr_dispatch_id 0
		.amdhsa_user_sgpr_flat_scratch_init 0
		.amdhsa_user_sgpr_private_segment_size 0
		.amdhsa_uses_dynamic_stack 0
		.amdhsa_system_sgpr_private_segment_wavefront_offset 0
		.amdhsa_system_sgpr_workgroup_id_x 1
		.amdhsa_system_sgpr_workgroup_id_y 1
		.amdhsa_system_sgpr_workgroup_id_z 1
		.amdhsa_system_sgpr_workgroup_info 0
		.amdhsa_system_vgpr_workitem_id 1
		.amdhsa_next_free_vgpr 63
		.amdhsa_next_free_sgpr 44
		.amdhsa_reserve_vcc 1
		.amdhsa_reserve_flat_scratch 0
		.amdhsa_float_round_mode_32 0
		.amdhsa_float_round_mode_16_64 0
		.amdhsa_float_denorm_mode_32 3
		.amdhsa_float_denorm_mode_16_64 3
		.amdhsa_dx10_clamp 1
		.amdhsa_ieee_mode 1
		.amdhsa_fp16_overflow 0
		.amdhsa_exception_fp_ieee_invalid_op 0
		.amdhsa_exception_fp_denorm_src 0
		.amdhsa_exception_fp_ieee_div_zero 0
		.amdhsa_exception_fp_ieee_overflow 0
		.amdhsa_exception_fp_ieee_underflow 0
		.amdhsa_exception_fp_ieee_inexact 0
		.amdhsa_exception_int_div_zero 0
	.end_amdhsa_kernel
	.section	.text._ZL13mul_mat_vec_qIL9ggml_type23ELi1ELb1ELb1EEvPKvS2_PKi31ggml_cuda_mm_fusion_args_devicePfj15HIP_vector_typeIjLj3EEjjjS8_jjjS8_jjjj,"axG",@progbits,_ZL13mul_mat_vec_qIL9ggml_type23ELi1ELb1ELb1EEvPKvS2_PKi31ggml_cuda_mm_fusion_args_devicePfj15HIP_vector_typeIjLj3EEjjjS8_jjjS8_jjjj,comdat
.Lfunc_end241:
	.size	_ZL13mul_mat_vec_qIL9ggml_type23ELi1ELb1ELb1EEvPKvS2_PKi31ggml_cuda_mm_fusion_args_devicePfj15HIP_vector_typeIjLj3EEjjjS8_jjjS8_jjjj, .Lfunc_end241-_ZL13mul_mat_vec_qIL9ggml_type23ELi1ELb1ELb1EEvPKvS2_PKi31ggml_cuda_mm_fusion_args_devicePfj15HIP_vector_typeIjLj3EEjjjS8_jjjS8_jjjj
                                        ; -- End function
	.set _ZL13mul_mat_vec_qIL9ggml_type23ELi1ELb1ELb1EEvPKvS2_PKi31ggml_cuda_mm_fusion_args_devicePfj15HIP_vector_typeIjLj3EEjjjS8_jjjS8_jjjj.num_vgpr, 63
	.set _ZL13mul_mat_vec_qIL9ggml_type23ELi1ELb1ELb1EEvPKvS2_PKi31ggml_cuda_mm_fusion_args_devicePfj15HIP_vector_typeIjLj3EEjjjS8_jjjS8_jjjj.num_agpr, 0
	.set _ZL13mul_mat_vec_qIL9ggml_type23ELi1ELb1ELb1EEvPKvS2_PKi31ggml_cuda_mm_fusion_args_devicePfj15HIP_vector_typeIjLj3EEjjjS8_jjjS8_jjjj.numbered_sgpr, 44
	.set _ZL13mul_mat_vec_qIL9ggml_type23ELi1ELb1ELb1EEvPKvS2_PKi31ggml_cuda_mm_fusion_args_devicePfj15HIP_vector_typeIjLj3EEjjjS8_jjjS8_jjjj.num_named_barrier, 0
	.set _ZL13mul_mat_vec_qIL9ggml_type23ELi1ELb1ELb1EEvPKvS2_PKi31ggml_cuda_mm_fusion_args_devicePfj15HIP_vector_typeIjLj3EEjjjS8_jjjS8_jjjj.private_seg_size, 0
	.set _ZL13mul_mat_vec_qIL9ggml_type23ELi1ELb1ELb1EEvPKvS2_PKi31ggml_cuda_mm_fusion_args_devicePfj15HIP_vector_typeIjLj3EEjjjS8_jjjS8_jjjj.uses_vcc, 1
	.set _ZL13mul_mat_vec_qIL9ggml_type23ELi1ELb1ELb1EEvPKvS2_PKi31ggml_cuda_mm_fusion_args_devicePfj15HIP_vector_typeIjLj3EEjjjS8_jjjS8_jjjj.uses_flat_scratch, 0
	.set _ZL13mul_mat_vec_qIL9ggml_type23ELi1ELb1ELb1EEvPKvS2_PKi31ggml_cuda_mm_fusion_args_devicePfj15HIP_vector_typeIjLj3EEjjjS8_jjjS8_jjjj.has_dyn_sized_stack, 0
	.set _ZL13mul_mat_vec_qIL9ggml_type23ELi1ELb1ELb1EEvPKvS2_PKi31ggml_cuda_mm_fusion_args_devicePfj15HIP_vector_typeIjLj3EEjjjS8_jjjS8_jjjj.has_recursion, 0
	.set _ZL13mul_mat_vec_qIL9ggml_type23ELi1ELb1ELb1EEvPKvS2_PKi31ggml_cuda_mm_fusion_args_devicePfj15HIP_vector_typeIjLj3EEjjjS8_jjjS8_jjjj.has_indirect_call, 0
	.section	.AMDGPU.csdata,"",@progbits
; Kernel info:
; codeLenInByte = 5064
; TotalNumSgprs: 48
; NumVgprs: 63
; ScratchSize: 0
; MemoryBound: 0
; FloatMode: 240
; IeeeMode: 1
; LDSByteSize: 1024 bytes/workgroup (compile time only)
; SGPRBlocks: 5
; VGPRBlocks: 15
; NumSGPRsForWavesPerEU: 48
; NumVGPRsForWavesPerEU: 63
; Occupancy: 4
; WaveLimiterHint : 0
; COMPUTE_PGM_RSRC2:SCRATCH_EN: 0
; COMPUTE_PGM_RSRC2:USER_SGPR: 6
; COMPUTE_PGM_RSRC2:TRAP_HANDLER: 0
; COMPUTE_PGM_RSRC2:TGID_X_EN: 1
; COMPUTE_PGM_RSRC2:TGID_Y_EN: 1
; COMPUTE_PGM_RSRC2:TGID_Z_EN: 1
; COMPUTE_PGM_RSRC2:TIDIG_COMP_CNT: 1
	.section	.text._ZL13mul_mat_vec_qIL9ggml_type23ELi1ELb0ELb1EEvPKvS2_PKi31ggml_cuda_mm_fusion_args_devicePfj15HIP_vector_typeIjLj3EEjjjS8_jjjS8_jjjj,"axG",@progbits,_ZL13mul_mat_vec_qIL9ggml_type23ELi1ELb0ELb1EEvPKvS2_PKi31ggml_cuda_mm_fusion_args_devicePfj15HIP_vector_typeIjLj3EEjjjS8_jjjS8_jjjj,comdat
	.globl	_ZL13mul_mat_vec_qIL9ggml_type23ELi1ELb0ELb1EEvPKvS2_PKi31ggml_cuda_mm_fusion_args_devicePfj15HIP_vector_typeIjLj3EEjjjS8_jjjS8_jjjj ; -- Begin function _ZL13mul_mat_vec_qIL9ggml_type23ELi1ELb0ELb1EEvPKvS2_PKi31ggml_cuda_mm_fusion_args_devicePfj15HIP_vector_typeIjLj3EEjjjS8_jjjS8_jjjj
	.p2align	8
	.type	_ZL13mul_mat_vec_qIL9ggml_type23ELi1ELb0ELb1EEvPKvS2_PKi31ggml_cuda_mm_fusion_args_devicePfj15HIP_vector_typeIjLj3EEjjjS8_jjjS8_jjjj,@function
_ZL13mul_mat_vec_qIL9ggml_type23ELi1ELb0ELb1EEvPKvS2_PKi31ggml_cuda_mm_fusion_args_devicePfj15HIP_vector_typeIjLj3EEjjjS8_jjjS8_jjjj: ; @_ZL13mul_mat_vec_qIL9ggml_type23ELi1ELb0ELb1EEvPKvS2_PKi31ggml_cuda_mm_fusion_args_devicePfj15HIP_vector_typeIjLj3EEjjjS8_jjjS8_jjjj
; %bb.0:
	s_load_dwordx2 s[0:1], s[4:5], 0x10
	s_load_dwordx4 s[16:19], s[4:5], 0x40
	s_mov_b32 s10, s7
	s_mov_b64 s[14:15], 0
	s_waitcnt lgkmcnt(0)
	s_cmp_lg_u64 s[0:1], 0
	s_cselect_b64 s[12:13], -1, 0
	s_cmp_eq_u64 s[0:1], 0
	s_cbranch_scc1 .LBB242_5
; %bb.1:
	s_mov_b32 s11, 0
	s_lshl_b64 s[2:3], s[10:11], 2
	s_add_u32 s0, s0, s2
	s_addc_u32 s1, s1, s3
	s_load_dword s21, s[0:1], 0x0
	s_nop 0
	s_load_dwordx4 s[0:3], s[4:5], 0x68
	s_load_dword s20, s[4:5], 0x50
	s_andn2_b64 vcc, exec, s[14:15]
	s_cbranch_vccnz .LBB242_3
.LBB242_2:
	s_load_dwordx2 s[14:15], s[4:5], 0x5c
	s_waitcnt lgkmcnt(0)
	s_mul_hi_u32 s7, s14, s10
	s_add_i32 s7, s10, s7
	s_lshr_b32 s21, s7, s15
.LBB242_3:
	s_load_dword s22, s[4:5], 0x78
	s_andn2_b64 vcc, exec, s[12:13]
	s_cbranch_vccnz .LBB242_6
; %bb.4:
	s_mul_hi_u32 s7, s17, s10
	s_add_i32 s7, s10, s7
	s_lshr_b32 s7, s7, s18
	s_mul_i32 s7, s7, s19
	s_sub_i32 s23, s10, s7
	s_branch .LBB242_7
.LBB242_5:
                                        ; implicit-def: $sgpr21
	s_load_dwordx4 s[0:3], s[4:5], 0x68
	s_load_dword s20, s[4:5], 0x50
	s_branch .LBB242_2
.LBB242_6:
	s_mov_b32 s23, s10
.LBB242_7:
	s_load_dwordx4 s[12:15], s[4:5], 0x80
	v_lshl_add_u32 v2, v1, 6, v0
	s_lshr_b32 s11, s16, 8
	v_lshrrev_b32_e32 v9, 3, v2
	s_lshl_b32 s9, s6, 1
	v_cmp_gt_u32_e32 vcc, s11, v9
	v_mov_b32_e32 v8, 0
	v_lshlrev_b32_e32 v6, 2, v0
	v_mov_b32_e32 v7, 0
	s_and_saveexec_b64 s[6:7], vcc
	s_cbranch_execz .LBB242_11
; %bb.8:
	s_waitcnt lgkmcnt(0)
	s_mul_hi_u32 s3, s3, s8
	s_add_i32 s3, s8, s3
	s_lshr_b32 s3, s3, s22
	s_mul_i32 s0, s21, s0
	s_mul_i32 s3, s3, s12
	;; [unrolled: 1-line block ×4, first 2 shown]
	s_add_i32 s13, s0, s3
	s_mul_hi_u32 s0, s1, 36
	s_mul_i32 s1, s1, 36
	v_lshrrev_b32_e32 v5, 3, v2
	v_mov_b32_e32 v2, s1
	v_mov_b32_e32 v3, s0
	s_movk_i32 s0, 0x120
	v_mad_u64_u32 v[2:3], s[0:1], v5, s0, v[2:3]
	s_mul_i32 s0, s9, s20
	s_add_i32 s3, s13, s0
	v_mad_u64_u32 v[2:3], s[0:1], s12, 36, v[2:3]
	s_load_dwordx4 s[16:19], s[4:5], 0x0
	v_and_b32_e32 v4, 7, v0
	s_add_i32 s0, s9, 1
	s_mul_i32 s20, s20, s0
	v_mad_u64_u32 v[2:3], s[0:1], v4, 36, v[2:3]
	s_waitcnt lgkmcnt(0)
	v_mov_b32_e32 v4, s19
	v_and_b32_e32 v8, 28, v6
	v_add_co_u32_e32 v2, vcc, s18, v2
	v_addc_co_u32_e32 v3, vcc, v4, v3, vcc
	v_add_co_u32_e32 v2, vcc, 32, v2
	v_mov_b32_e32 v4, s16
	v_mov_b32_e32 v7, 0
	v_bfe_u32 v10, v6, 3, 2
	v_and_b32_e32 v11, 4, v6
	v_lshrrev_b32_e32 v12, 1, v8
	s_add_i32 s12, s13, s20
	v_addc_co_u32_e32 v3, vcc, 0, v3, vcc
	s_mov_b64 s[0:1], 0
	s_movk_i32 s13, 0x88
	v_mov_b32_e32 v5, s17
	v_lshlrev_b32_e32 v13, 2, v8
	s_mov_b32 s15, 0xf6eaddcf
	s_mov_b32 s16, 0x71594535
	v_mov_b32_e32 v14, 0xbfad9881
	v_mov_b32_e32 v15, 0x26190d01
	;; [unrolled: 1-line block ×3, first 2 shown]
.LBB242_9:                              ; =>This Inner Loop Header: Depth=1
	global_load_dword v31, v[2:3], off
	global_load_dwordx4 v[17:20], v[2:3], off offset:-16
	global_load_dwordx4 v[21:24], v[2:3], off offset:-32
	s_waitcnt vmcnt(0)
	v_cvt_f32_f16_e32 v16, v21
	v_add_u32_e32 v21, s3, v9
	v_mad_i64_i32 v[29:30], s[18:19], v21, s13, v[4:5]
	v_add_co_u32_e32 v25, vcc, v29, v13
	v_addc_co_u32_e32 v26, vcc, 0, v30, vcc
	global_load_dwordx4 v[25:28], v[25:26], off offset:8
	s_waitcnt vmcnt(0)
	v_ashrrev_i32_e32 v21, 4, v25
	v_and_b32_e32 v32, 0x7070707, v25
	v_lshrrev_b32_e32 v25, 1, v25
	v_and_b32_e32 v34, 0x7070707, v21
	v_and_b32_e32 v25, 0x4040404, v25
	v_lshrrev_b32_e32 v21, 1, v21
	v_perm_b32 v33, s15, v14, v32
	v_perm_b32 v32, s16, v15, v32
	v_or_b32_e32 v25, 0x3020100, v25
	v_and_b32_e32 v21, 0x4040404, v21
	v_perm_b32 v35, s15, v14, v34
	v_perm_b32 v34, s16, v15, v34
	v_perm_b32 v25, v32, v33, v25
	v_or_b32_e32 v21, 0x3020100, v21
	v_perm_b32 v21, v34, v35, v21
	v_dot4_i32_i8 v25, v25, v22, 0
	v_dot4_i32_i8 v21, v21, v18, v25
	v_ashrrev_i32_e32 v25, 4, v26
	v_and_b32_e32 v32, 0x7070707, v26
	v_lshrrev_b32_e32 v26, 1, v26
	v_and_b32_e32 v34, 0x7070707, v25
	v_and_b32_e32 v26, 0x4040404, v26
	v_lshrrev_b32_e32 v25, 1, v25
	v_perm_b32 v33, s15, v14, v32
	v_perm_b32 v32, s16, v15, v32
	v_or_b32_e32 v26, 0x3020100, v26
	v_and_b32_e32 v25, 0x4040404, v25
	v_perm_b32 v35, s15, v14, v34
	v_perm_b32 v34, s16, v15, v34
	v_perm_b32 v26, v32, v33, v26
	v_or_b32_e32 v25, 0x3020100, v25
	v_perm_b32 v25, v34, v35, v25
	v_dot4_i32_i8 v21, v26, v23, v21
	v_dot4_i32_i8 v21, v25, v19, v21
	;; [unrolled: 17-line block ×4, first 2 shown]
	v_add_co_u32_e32 v25, vcc, v29, v10
	v_addc_co_u32_e32 v26, vcc, 0, v30, vcc
	global_load_ubyte v25, v[25:26], off offset:4
	s_waitcnt vmcnt(0)
	v_bfe_u32 v25, v25, v11, 4
	global_load_dword v26, v[29:30], off
	s_waitcnt vmcnt(0)
	v_lshrrev_b32_sdwa v27, v12, v26 dst_sel:DWORD dst_unused:UNUSED_PAD src0_sel:DWORD src1_sel:WORD_1
	v_lshlrev_b32_e32 v27, 4, v27
	v_and_or_b32 v25, v27, 48, v25
	v_subrev_u32_e32 v25, 32, v25
	v_mul_lo_u32 v21, v25, v21
	v_cvt_f32_f16_e32 v25, v26
	v_cvt_f32_i32_e32 v21, v21
	v_mul_f32_e32 v25, v25, v16
	v_fmac_f32_e32 v7, v25, v21
	v_add_u32_e32 v21, s12, v9
	v_mad_i64_i32 v[29:30], s[18:19], v21, s13, v[4:5]
	v_add_u32_e32 v9, 16, v9
	v_add_co_u32_e32 v25, vcc, v29, v13
	v_addc_co_u32_e32 v26, vcc, 0, v30, vcc
	global_load_dwordx4 v[25:28], v[25:26], off offset:8
	s_waitcnt vmcnt(0)
	v_ashrrev_i32_e32 v21, 4, v25
	v_and_b32_e32 v32, 0x7070707, v25
	v_lshrrev_b32_e32 v25, 1, v25
	v_and_b32_e32 v34, 0x7070707, v21
	v_and_b32_e32 v25, 0x4040404, v25
	v_lshrrev_b32_e32 v21, 1, v21
	v_perm_b32 v33, s15, v14, v32
	v_perm_b32 v32, s16, v15, v32
	v_or_b32_e32 v25, 0x3020100, v25
	v_and_b32_e32 v21, 0x4040404, v21
	v_perm_b32 v35, s15, v14, v34
	v_perm_b32 v34, s16, v15, v34
	;; [unrolled: 1-line block ×3, first 2 shown]
	v_or_b32_e32 v21, 0x3020100, v21
	v_perm_b32 v21, v34, v35, v21
	v_dot4_i32_i8 v22, v25, v22, 0
	v_dot4_i32_i8 v18, v21, v18, v22
	v_ashrrev_i32_e32 v21, 4, v26
	v_and_b32_e32 v22, 0x7070707, v26
	v_lshrrev_b32_e32 v26, 1, v26
	v_and_b32_e32 v32, 0x7070707, v21
	v_and_b32_e32 v26, 0x4040404, v26
	v_lshrrev_b32_e32 v21, 1, v21
	v_perm_b32 v25, s15, v14, v22
	v_perm_b32 v22, s16, v15, v22
	v_or_b32_e32 v26, 0x3020100, v26
	v_and_b32_e32 v21, 0x4040404, v21
	v_perm_b32 v33, s15, v14, v32
	v_perm_b32 v32, s16, v15, v32
	;; [unrolled: 1-line block ×3, first 2 shown]
	v_or_b32_e32 v21, 0x3020100, v21
	v_perm_b32 v21, v32, v33, v21
	v_dot4_i32_i8 v18, v22, v23, v18
	v_dot4_i32_i8 v18, v21, v19, v18
	v_ashrrev_i32_e32 v19, 4, v27
	v_lshrrev_b32_e32 v26, 1, v27
	v_and_b32_e32 v21, 0x7070707, v27
	v_and_b32_e32 v23, 0x7070707, v19
	;; [unrolled: 1-line block ×3, first 2 shown]
	v_lshrrev_b32_e32 v19, 1, v19
	v_perm_b32 v22, s15, v14, v21
	v_perm_b32 v21, s16, v15, v21
	v_or_b32_e32 v26, 0x3020100, v26
	v_and_b32_e32 v19, 0x4040404, v19
	v_perm_b32 v25, s15, v14, v23
	v_perm_b32 v23, s16, v15, v23
	;; [unrolled: 1-line block ×3, first 2 shown]
	v_or_b32_e32 v19, 0x3020100, v19
	v_perm_b32 v19, v23, v25, v19
	v_dot4_i32_i8 v18, v21, v24, v18
	v_dot4_i32_i8 v18, v19, v20, v18
	v_ashrrev_i32_e32 v19, 4, v28
	v_lshrrev_b32_e32 v24, 1, v28
	v_and_b32_e32 v20, 0x7070707, v28
	v_and_b32_e32 v22, 0x7070707, v19
	;; [unrolled: 1-line block ×3, first 2 shown]
	v_lshrrev_b32_e32 v19, 1, v19
	v_perm_b32 v21, s15, v14, v20
	v_perm_b32 v20, s16, v15, v20
	v_or_b32_e32 v24, 0x3020100, v24
	v_and_b32_e32 v19, 0x4040404, v19
	v_perm_b32 v23, s15, v14, v22
	v_perm_b32 v22, s16, v15, v22
	;; [unrolled: 1-line block ×3, first 2 shown]
	v_or_b32_e32 v19, 0x3020100, v19
	v_perm_b32 v19, v22, v23, v19
	v_dot4_i32_i8 v17, v20, v17, v18
	v_dot4_i32_i8 v19, v19, v31, v17
	v_add_co_u32_e32 v17, vcc, v29, v10
	v_addc_co_u32_e32 v18, vcc, 0, v30, vcc
	global_load_ubyte v17, v[17:18], off offset:4
	v_add_co_u32_e32 v2, vcc, 0x1200, v2
	global_load_dword v18, v[29:30], off
	v_addc_co_u32_e32 v3, vcc, 0, v3, vcc
	v_cmp_le_u32_e32 vcc, s11, v9
	s_or_b64 s[0:1], vcc, s[0:1]
	s_waitcnt vmcnt(1)
	v_bfe_u32 v17, v17, v11, 4
	s_waitcnt vmcnt(0)
	v_lshrrev_b32_sdwa v20, v12, v18 dst_sel:DWORD dst_unused:UNUSED_PAD src0_sel:DWORD src1_sel:WORD_1
	v_lshlrev_b32_e32 v20, 4, v20
	v_and_or_b32 v17, v20, 48, v17
	v_subrev_u32_e32 v17, 32, v17
	v_mul_lo_u32 v17, v17, v19
	v_cvt_f32_f16_e32 v18, v18
	v_cvt_f32_i32_e32 v17, v17
	v_mul_f32_e32 v16, v18, v16
	v_fmac_f32_e32 v8, v16, v17
	s_andn2_b64 exec, exec, s[0:1]
	s_cbranch_execnz .LBB242_9
; %bb.10:
	s_or_b64 exec, exec, s[0:1]
.LBB242_11:
	s_or_b64 exec, exec, s[6:7]
	v_cmp_eq_u32_e32 vcc, 0, v1
	s_waitcnt lgkmcnt(0)
	v_cmp_ne_u32_e64 s[0:1], 0, v1
	s_and_saveexec_b64 s[6:7], s[0:1]
; %bb.12:
	v_lshl_or_b32 v1, v1, 9, v6
	v_add_u32_e32 v1, 0xfffffe00, v1
	ds_write2st64_b32 v1, v7, v8 offset1:1
; %bb.13:
	s_or_b64 exec, exec, s[6:7]
	s_waitcnt lgkmcnt(0)
	s_barrier
	s_and_saveexec_b64 s[0:1], vcc
	s_cbranch_execz .LBB242_16
; %bb.14:
	v_mbcnt_lo_u32_b32 v1, -1, 0
	v_mbcnt_hi_u32_b32 v3, -1, v1
	v_and_b32_e32 v1, 64, v3
	v_add_u32_e32 v4, 64, v1
	v_xor_b32_e32 v1, 32, v3
	v_cmp_lt_i32_e32 vcc, v1, v4
	v_cndmask_b32_e32 v1, v3, v1, vcc
	v_lshlrev_b32_e32 v5, 2, v1
	v_xor_b32_e32 v1, 16, v3
	v_cmp_lt_i32_e32 vcc, v1, v4
	v_cndmask_b32_e32 v1, v3, v1, vcc
	v_lshlrev_b32_e32 v9, 2, v1
	ds_read2st64_b32 v[1:2], v6 offset1:1
	v_xor_b32_e32 v10, 8, v3
	v_cmp_lt_i32_e32 vcc, v10, v4
	v_cndmask_b32_e32 v10, v3, v10, vcc
	v_lshlrev_b32_e32 v10, 2, v10
	s_waitcnt lgkmcnt(0)
	v_add_f32_e32 v1, v7, v1
	v_add_f32_e32 v2, v8, v2
	ds_bpermute_b32 v7, v5, v1
	ds_bpermute_b32 v5, v5, v2
	v_xor_b32_e32 v11, 4, v3
	v_cmp_lt_i32_e32 vcc, v11, v4
	v_cndmask_b32_e32 v8, v3, v11, vcc
	s_waitcnt lgkmcnt(1)
	v_add_f32_e32 v1, v1, v7
	s_waitcnt lgkmcnt(0)
	v_add_f32_e32 v2, v2, v5
	ds_bpermute_b32 v7, v9, v1
	ds_bpermute_b32 v5, v9, v2
	v_lshlrev_b32_e32 v8, 2, v8
	v_xor_b32_e32 v9, 2, v3
	v_cmp_lt_i32_e32 vcc, v9, v4
	s_waitcnt lgkmcnt(1)
	v_add_f32_e32 v1, v1, v7
	s_waitcnt lgkmcnt(0)
	v_add_f32_e32 v2, v2, v5
	ds_bpermute_b32 v7, v10, v1
	ds_bpermute_b32 v5, v10, v2
	v_cndmask_b32_e32 v9, v3, v9, vcc
	s_load_dword s0, s[4:5], 0x58
	s_mov_b32 s3, 0
	s_waitcnt lgkmcnt(0)
	v_add_f32_e32 v1, v1, v7
	v_add_f32_e32 v2, v2, v5
	ds_bpermute_b32 v7, v8, v1
	ds_bpermute_b32 v5, v8, v2
	v_lshlrev_b32_e32 v8, 2, v9
	v_xor_b32_e32 v9, 1, v3
	v_cmp_lt_i32_e32 vcc, v9, v4
	s_waitcnt lgkmcnt(1)
	v_add_f32_e32 v1, v1, v7
	s_waitcnt lgkmcnt(0)
	v_add_f32_e32 v5, v2, v5
	ds_bpermute_b32 v7, v8, v1
	ds_bpermute_b32 v8, v8, v5
	v_cndmask_b32_e32 v2, v3, v9, vcc
	v_lshlrev_b32_e32 v4, 2, v2
	s_waitcnt lgkmcnt(1)
	v_add_f32_e32 v1, v1, v7
	s_waitcnt lgkmcnt(0)
	v_add_f32_e32 v3, v5, v8
	ds_bpermute_b32 v2, v4, v1
	ds_bpermute_b32 v4, v4, v3
	v_or_b32_e32 v5, s9, v0
	v_cmp_gt_u32_e32 vcc, s0, v5
	v_cmp_gt_u32_e64 s[0:1], 2, v0
	s_and_b64 s[0:1], s[0:1], vcc
	s_and_b64 exec, exec, s[0:1]
	s_cbranch_execz .LBB242_16
; %bb.15:
	s_load_dwordx2 s[0:1], s[4:5], 0x38
	s_mul_i32 s2, s2, s10
	s_add_i32 s2, s2, s9
	s_mul_i32 s4, s14, s8
	s_add_i32 s2, s2, s4
	s_lshl_b64 s[2:3], s[2:3], 2
	s_waitcnt lgkmcnt(0)
	s_add_u32 s0, s0, s2
	v_add_f32_e32 v3, v3, v4
	v_add_f32_e32 v1, v1, v2
	v_cmp_eq_u32_e32 vcc, 1, v0
	s_addc_u32 s1, s1, s3
	v_cndmask_b32_e32 v0, v1, v3, vcc
	global_store_dword v6, v0, s[0:1]
.LBB242_16:
	s_endpgm
	.section	.rodata,"a",@progbits
	.p2align	6, 0x0
	.amdhsa_kernel _ZL13mul_mat_vec_qIL9ggml_type23ELi1ELb0ELb1EEvPKvS2_PKi31ggml_cuda_mm_fusion_args_devicePfj15HIP_vector_typeIjLj3EEjjjS8_jjjS8_jjjj
		.amdhsa_group_segment_fixed_size 512
		.amdhsa_private_segment_fixed_size 0
		.amdhsa_kernarg_size 144
		.amdhsa_user_sgpr_count 6
		.amdhsa_user_sgpr_private_segment_buffer 1
		.amdhsa_user_sgpr_dispatch_ptr 0
		.amdhsa_user_sgpr_queue_ptr 0
		.amdhsa_user_sgpr_kernarg_segment_ptr 1
		.amdhsa_user_sgpr_dispatch_id 0
		.amdhsa_user_sgpr_flat_scratch_init 0
		.amdhsa_user_sgpr_private_segment_size 0
		.amdhsa_uses_dynamic_stack 0
		.amdhsa_system_sgpr_private_segment_wavefront_offset 0
		.amdhsa_system_sgpr_workgroup_id_x 1
		.amdhsa_system_sgpr_workgroup_id_y 1
		.amdhsa_system_sgpr_workgroup_id_z 1
		.amdhsa_system_sgpr_workgroup_info 0
		.amdhsa_system_vgpr_workitem_id 1
		.amdhsa_next_free_vgpr 36
		.amdhsa_next_free_sgpr 24
		.amdhsa_reserve_vcc 1
		.amdhsa_reserve_flat_scratch 0
		.amdhsa_float_round_mode_32 0
		.amdhsa_float_round_mode_16_64 0
		.amdhsa_float_denorm_mode_32 3
		.amdhsa_float_denorm_mode_16_64 3
		.amdhsa_dx10_clamp 1
		.amdhsa_ieee_mode 1
		.amdhsa_fp16_overflow 0
		.amdhsa_exception_fp_ieee_invalid_op 0
		.amdhsa_exception_fp_denorm_src 0
		.amdhsa_exception_fp_ieee_div_zero 0
		.amdhsa_exception_fp_ieee_overflow 0
		.amdhsa_exception_fp_ieee_underflow 0
		.amdhsa_exception_fp_ieee_inexact 0
		.amdhsa_exception_int_div_zero 0
	.end_amdhsa_kernel
	.section	.text._ZL13mul_mat_vec_qIL9ggml_type23ELi1ELb0ELb1EEvPKvS2_PKi31ggml_cuda_mm_fusion_args_devicePfj15HIP_vector_typeIjLj3EEjjjS8_jjjS8_jjjj,"axG",@progbits,_ZL13mul_mat_vec_qIL9ggml_type23ELi1ELb0ELb1EEvPKvS2_PKi31ggml_cuda_mm_fusion_args_devicePfj15HIP_vector_typeIjLj3EEjjjS8_jjjS8_jjjj,comdat
.Lfunc_end242:
	.size	_ZL13mul_mat_vec_qIL9ggml_type23ELi1ELb0ELb1EEvPKvS2_PKi31ggml_cuda_mm_fusion_args_devicePfj15HIP_vector_typeIjLj3EEjjjS8_jjjS8_jjjj, .Lfunc_end242-_ZL13mul_mat_vec_qIL9ggml_type23ELi1ELb0ELb1EEvPKvS2_PKi31ggml_cuda_mm_fusion_args_devicePfj15HIP_vector_typeIjLj3EEjjjS8_jjjS8_jjjj
                                        ; -- End function
	.set _ZL13mul_mat_vec_qIL9ggml_type23ELi1ELb0ELb1EEvPKvS2_PKi31ggml_cuda_mm_fusion_args_devicePfj15HIP_vector_typeIjLj3EEjjjS8_jjjS8_jjjj.num_vgpr, 36
	.set _ZL13mul_mat_vec_qIL9ggml_type23ELi1ELb0ELb1EEvPKvS2_PKi31ggml_cuda_mm_fusion_args_devicePfj15HIP_vector_typeIjLj3EEjjjS8_jjjS8_jjjj.num_agpr, 0
	.set _ZL13mul_mat_vec_qIL9ggml_type23ELi1ELb0ELb1EEvPKvS2_PKi31ggml_cuda_mm_fusion_args_devicePfj15HIP_vector_typeIjLj3EEjjjS8_jjjS8_jjjj.numbered_sgpr, 24
	.set _ZL13mul_mat_vec_qIL9ggml_type23ELi1ELb0ELb1EEvPKvS2_PKi31ggml_cuda_mm_fusion_args_devicePfj15HIP_vector_typeIjLj3EEjjjS8_jjjS8_jjjj.num_named_barrier, 0
	.set _ZL13mul_mat_vec_qIL9ggml_type23ELi1ELb0ELb1EEvPKvS2_PKi31ggml_cuda_mm_fusion_args_devicePfj15HIP_vector_typeIjLj3EEjjjS8_jjjS8_jjjj.private_seg_size, 0
	.set _ZL13mul_mat_vec_qIL9ggml_type23ELi1ELb0ELb1EEvPKvS2_PKi31ggml_cuda_mm_fusion_args_devicePfj15HIP_vector_typeIjLj3EEjjjS8_jjjS8_jjjj.uses_vcc, 1
	.set _ZL13mul_mat_vec_qIL9ggml_type23ELi1ELb0ELb1EEvPKvS2_PKi31ggml_cuda_mm_fusion_args_devicePfj15HIP_vector_typeIjLj3EEjjjS8_jjjS8_jjjj.uses_flat_scratch, 0
	.set _ZL13mul_mat_vec_qIL9ggml_type23ELi1ELb0ELb1EEvPKvS2_PKi31ggml_cuda_mm_fusion_args_devicePfj15HIP_vector_typeIjLj3EEjjjS8_jjjS8_jjjj.has_dyn_sized_stack, 0
	.set _ZL13mul_mat_vec_qIL9ggml_type23ELi1ELb0ELb1EEvPKvS2_PKi31ggml_cuda_mm_fusion_args_devicePfj15HIP_vector_typeIjLj3EEjjjS8_jjjS8_jjjj.has_recursion, 0
	.set _ZL13mul_mat_vec_qIL9ggml_type23ELi1ELb0ELb1EEvPKvS2_PKi31ggml_cuda_mm_fusion_args_devicePfj15HIP_vector_typeIjLj3EEjjjS8_jjjS8_jjjj.has_indirect_call, 0
	.section	.AMDGPU.csdata,"",@progbits
; Kernel info:
; codeLenInByte = 2244
; TotalNumSgprs: 28
; NumVgprs: 36
; ScratchSize: 0
; MemoryBound: 0
; FloatMode: 240
; IeeeMode: 1
; LDSByteSize: 512 bytes/workgroup (compile time only)
; SGPRBlocks: 3
; VGPRBlocks: 8
; NumSGPRsForWavesPerEU: 28
; NumVGPRsForWavesPerEU: 36
; Occupancy: 7
; WaveLimiterHint : 0
; COMPUTE_PGM_RSRC2:SCRATCH_EN: 0
; COMPUTE_PGM_RSRC2:USER_SGPR: 6
; COMPUTE_PGM_RSRC2:TRAP_HANDLER: 0
; COMPUTE_PGM_RSRC2:TGID_X_EN: 1
; COMPUTE_PGM_RSRC2:TGID_Y_EN: 1
; COMPUTE_PGM_RSRC2:TGID_Z_EN: 1
; COMPUTE_PGM_RSRC2:TIDIG_COMP_CNT: 1
	.section	.text._ZL13mul_mat_vec_qIL9ggml_type23ELi1ELb1ELb0EEvPKvS2_PKi31ggml_cuda_mm_fusion_args_devicePfj15HIP_vector_typeIjLj3EEjjjS8_jjjS8_jjjj,"axG",@progbits,_ZL13mul_mat_vec_qIL9ggml_type23ELi1ELb1ELb0EEvPKvS2_PKi31ggml_cuda_mm_fusion_args_devicePfj15HIP_vector_typeIjLj3EEjjjS8_jjjS8_jjjj,comdat
	.globl	_ZL13mul_mat_vec_qIL9ggml_type23ELi1ELb1ELb0EEvPKvS2_PKi31ggml_cuda_mm_fusion_args_devicePfj15HIP_vector_typeIjLj3EEjjjS8_jjjS8_jjjj ; -- Begin function _ZL13mul_mat_vec_qIL9ggml_type23ELi1ELb1ELb0EEvPKvS2_PKi31ggml_cuda_mm_fusion_args_devicePfj15HIP_vector_typeIjLj3EEjjjS8_jjjS8_jjjj
	.p2align	8
	.type	_ZL13mul_mat_vec_qIL9ggml_type23ELi1ELb1ELb0EEvPKvS2_PKi31ggml_cuda_mm_fusion_args_devicePfj15HIP_vector_typeIjLj3EEjjjS8_jjjS8_jjjj,@function
_ZL13mul_mat_vec_qIL9ggml_type23ELi1ELb1ELb0EEvPKvS2_PKi31ggml_cuda_mm_fusion_args_devicePfj15HIP_vector_typeIjLj3EEjjjS8_jjjS8_jjjj: ; @_ZL13mul_mat_vec_qIL9ggml_type23ELi1ELb1ELb0EEvPKvS2_PKi31ggml_cuda_mm_fusion_args_devicePfj15HIP_vector_typeIjLj3EEjjjS8_jjjS8_jjjj
; %bb.0:
	s_load_dwordx8 s[12:19], s[4:5], 0x0
	s_load_dwordx4 s[28:31], s[4:5], 0x20
	s_load_dwordx4 s[36:39], s[4:5], 0x40
	;; [unrolled: 1-line block ×3, first 2 shown]
	s_mov_b32 s34, s7
	s_waitcnt lgkmcnt(0)
	s_cmp_lg_u64 s[16:17], 0
	s_cselect_b64 s[0:1], -1, 0
	s_cmp_eq_u64 s[16:17], 0
	s_mov_b64 s[2:3], 0
	s_cbranch_scc1 .LBB243_5
; %bb.1:
	s_mov_b32 s35, 0
	s_lshl_b64 s[10:11], s[34:35], 2
	s_add_u32 s10, s16, s10
	s_addc_u32 s11, s17, s11
	s_load_dword s9, s[10:11], 0x0
	s_load_dword s33, s[4:5], 0x50
	s_load_dword s35, s[4:5], 0x78
	s_andn2_b64 vcc, exec, s[2:3]
	s_cbranch_vccnz .LBB243_3
.LBB243_2:
	s_load_dwordx2 s[2:3], s[4:5], 0x5c
	s_waitcnt lgkmcnt(0)
	s_mul_hi_u32 s2, s2, s34
	s_add_i32 s2, s34, s2
	s_lshr_b32 s9, s2, s3
.LBB243_3:
	s_andn2_b64 vcc, exec, s[0:1]
	s_cbranch_vccnz .LBB243_6
; %bb.4:
	s_mul_hi_u32 s0, s37, s34
	s_add_i32 s0, s34, s0
	s_lshr_b32 s0, s0, s38
	s_mul_i32 s0, s0, s39
	s_sub_i32 s37, s34, s0
	s_waitcnt lgkmcnt(0)
	s_mov_b32 s2, s9
	s_branch .LBB243_7
.LBB243_5:
                                        ; implicit-def: $sgpr9
	s_load_dword s33, s[4:5], 0x50
	s_load_dword s35, s[4:5], 0x78
	s_branch .LBB243_2
.LBB243_6:
	s_mov_b32 s2, s34
	s_mov_b32 s37, s34
.LBB243_7:
	s_load_dwordx4 s[24:27], s[4:5], 0x80
	s_cmp_lg_u64 s[18:19], 0
	v_or_b32_e32 v2, v0, v1
	s_cselect_b64 s[0:1], -1, 0
	v_cmp_eq_u32_e32 vcc, 0, v2
	s_mov_b32 s17, 0
	s_and_b64 s[38:39], s[0:1], vcc
	v_mov_b32_e32 v19, 0
	s_mul_i32 s10, s2, s22
	v_lshlrev_b32_e32 v18, 2, v0
	v_mov_b32_e32 v20, 0
	s_and_saveexec_b64 s[2:3], s[38:39]
	s_cbranch_execz .LBB243_9
; %bb.8:
	s_waitcnt lgkmcnt(0)
	s_mul_i32 s16, s26, s8
	s_lshl_b64 s[38:39], s[16:17], 2
	s_add_u32 s7, s18, s38
	s_mov_b32 s11, s17
	s_addc_u32 s18, s19, s39
	s_lshl_b64 s[16:17], s[10:11], 2
	s_add_u32 s11, s7, s16
	s_addc_u32 s18, s18, s17
	s_ashr_i32 s7, s6, 31
	s_lshl_b64 s[16:17], s[6:7], 2
	s_add_u32 s16, s11, s16
	s_addc_u32 s17, s18, s17
	global_load_dword v20, v18, s[16:17]
.LBB243_9:
	s_or_b64 exec, exec, s[2:3]
	s_cmp_lg_u64 s[28:29], 0
	s_cselect_b64 s[16:17], -1, 0
	s_cmp_lg_u64 s[30:31], 0
	s_cselect_b64 s[2:3], -1, 0
	s_and_b64 s[18:19], s[2:3], s[16:17]
	s_and_b64 s[38:39], s[18:19], vcc
	s_and_saveexec_b64 s[18:19], s[38:39]
	s_cbranch_execz .LBB243_11
; %bb.10:
	s_waitcnt lgkmcnt(0)
	s_mul_i32 s38, s26, s8
	s_mov_b32 s39, 0
	s_lshl_b64 s[40:41], s[38:39], 2
	s_add_u32 s7, s30, s40
	s_mov_b32 s11, s39
	s_addc_u32 s27, s31, s41
	s_lshl_b64 s[10:11], s[10:11], 2
	s_add_u32 s30, s7, s10
	s_addc_u32 s27, s27, s11
	s_ashr_i32 s7, s6, 31
	s_lshl_b64 s[10:11], s[6:7], 2
	s_add_u32 s10, s30, s10
	s_addc_u32 s11, s27, s11
	global_load_dword v19, v18, s[10:11]
.LBB243_11:
	s_or_b64 exec, exec, s[18:19]
	v_lshl_add_u32 v2, v1, 6, v0
	s_lshr_b32 s7, s36, 8
	v_lshrrev_b32_e32 v24, 3, v2
	v_cmp_gt_u32_e32 vcc, s7, v24
	v_mov_b32_e32 v22, 0
	v_cndmask_b32_e64 v23, 0, 1, s[16:17]
	v_mov_b32_e32 v21, 0
	s_and_saveexec_b64 s[18:19], vcc
	s_cbranch_execz .LBB243_17
; %bb.12:
	s_mul_hi_u32 s10, s23, s8
	s_add_i32 s10, s8, s10
	s_waitcnt lgkmcnt(0)
	s_lshr_b32 s10, s10, s35
	s_mul_i32 s33, s33, s6
	s_mul_i32 s10, s10, s24
	;; [unrolled: 1-line block ×4, first 2 shown]
	s_add_i32 s10, s10, s33
	s_add_i32 s9, s9, s10
	s_mul_hi_u32 s10, s11, 36
	s_mul_i32 s11, s11, 36
	v_lshrrev_b32_e32 v5, 3, v2
	v_mov_b32_e32 v2, s11
	v_mov_b32_e32 v3, s10
	s_movk_i32 s10, 0x120
	v_mad_u64_u32 v[2:3], s[10:11], v5, s10, v[2:3]
	s_mul_i32 s20, s25, s8
	v_and_b32_e32 v5, 7, v0
	v_mad_u64_u32 v[2:3], s[10:11], s20, 36, v[2:3]
	v_and_b32_e32 v4, 28, v18
	v_mov_b32_e32 v17, s13
	v_mad_u64_u32 v[2:3], s[10:11], v5, 36, v[2:3]
	v_mov_b32_e32 v5, s15
	v_mov_b32_e32 v22, 0
	v_add_co_u32_e32 v2, vcc, s14, v2
	v_addc_co_u32_e32 v3, vcc, v5, v3, vcc
	v_add_co_u32_e32 v14, vcc, 32, v2
	v_bfe_u32 v25, v18, 3, 2
	v_and_b32_e32 v26, 4, v18
	v_lshrrev_b32_e32 v27, 1, v4
	v_addc_co_u32_e32 v15, vcc, 0, v3, vcc
	s_mov_b64 s[14:15], 0
	s_movk_i32 s20, 0x88
	v_mov_b32_e32 v16, s12
	v_lshlrev_b32_e32 v28, 2, v4
	s_mov_b32 s21, 0xf6eaddcf
	s_mov_b32 s23, 0x71594535
	v_cmp_ne_u32_e64 s[10:11], 1, v23
	v_mov_b32_e32 v29, 0xbfad9881
	v_mov_b32_e32 v30, 0x26190d01
	;; [unrolled: 1-line block ×3, first 2 shown]
	s_branch .LBB243_14
.LBB243_13:                             ;   in Loop: Header=BB243_14 Depth=1
	s_waitcnt vmcnt(0)
	v_ashrrev_i32_e32 v34, 4, v10
	v_and_b32_e32 v35, 0x7070707, v10
	v_lshrrev_b32_e32 v10, 1, v10
	v_and_b32_e32 v37, 0x7070707, v34
	v_and_b32_e32 v10, 0x4040404, v10
	v_lshrrev_b32_e32 v34, 1, v34
	v_perm_b32 v36, s21, v29, v35
	v_perm_b32 v35, s23, v30, v35
	v_or_b32_e32 v10, 0x3020100, v10
	v_and_b32_e32 v34, 0x4040404, v34
	v_perm_b32 v38, s21, v29, v37
	v_perm_b32 v37, s23, v30, v37
	v_perm_b32 v10, v35, v36, v10
	v_or_b32_e32 v34, 0x3020100, v34
	v_perm_b32 v34, v37, v38, v34
	v_dot4_i32_i8 v7, v10, v7, 0
	v_dot4_i32_i8 v3, v34, v3, v7
	v_ashrrev_i32_e32 v7, 4, v11
	v_and_b32_e32 v10, 0x7070707, v11
	v_lshrrev_b32_e32 v11, 1, v11
	v_and_b32_e32 v35, 0x7070707, v7
	v_and_b32_e32 v11, 0x4040404, v11
	v_lshrrev_b32_e32 v7, 1, v7
	v_perm_b32 v34, s21, v29, v10
	v_perm_b32 v10, s23, v30, v10
	v_or_b32_e32 v11, 0x3020100, v11
	v_and_b32_e32 v7, 0x4040404, v7
	v_perm_b32 v36, s21, v29, v35
	v_perm_b32 v35, s23, v30, v35
	v_perm_b32 v10, v10, v34, v11
	v_or_b32_e32 v7, 0x3020100, v7
	v_perm_b32 v7, v35, v36, v7
	v_dot4_i32_i8 v3, v10, v8, v3
	v_dot4_i32_i8 v3, v7, v4, v3
	;; [unrolled: 17-line block ×3, first 2 shown]
	v_ashrrev_i32_e32 v4, 4, v13
	v_lshrrev_b32_e32 v10, 1, v13
	v_and_b32_e32 v5, 0x7070707, v13
	v_and_b32_e32 v8, 0x7070707, v4
	v_and_b32_e32 v10, 0x4040404, v10
	v_lshrrev_b32_e32 v4, 1, v4
	v_perm_b32 v7, s21, v29, v5
	v_perm_b32 v5, s23, v30, v5
	v_or_b32_e32 v10, 0x3020100, v10
	v_and_b32_e32 v4, 0x4040404, v4
	v_perm_b32 v9, s21, v29, v8
	v_perm_b32 v8, s23, v30, v8
	;; [unrolled: 1-line block ×3, first 2 shown]
	v_or_b32_e32 v4, 0x3020100, v4
	v_perm_b32 v4, v8, v9, v4
	v_dot4_i32_i8 v2, v5, v2, v3
	v_dot4_i32_i8 v2, v4, v32, v2
	v_and_b32_e32 v3, 0xff, v33
	v_lshrrev_b32_sdwa v4, v27, v31 dst_sel:DWORD dst_unused:UNUSED_PAD src0_sel:DWORD src1_sel:WORD_1
	v_bfe_u32 v3, v3, v26, 4
	v_lshlrev_b32_e32 v4, 4, v4
	v_and_or_b32 v3, v4, 48, v3
	v_subrev_u32_e32 v3, 32, v3
	v_mul_lo_u32 v2, v3, v2
	v_cvt_f32_f16_e32 v3, v31
	v_add_u32_e32 v24, 16, v24
	v_add_co_u32_e32 v14, vcc, 0x1200, v14
	v_cvt_f32_i32_e32 v2, v2
	v_mul_f32_e32 v3, v3, v6
	v_cmp_le_u32_e64 s[12:13], s7, v24
	s_or_b64 s[14:15], s[12:13], s[14:15]
	v_fmac_f32_e32 v22, v3, v2
	v_addc_co_u32_e32 v15, vcc, 0, v15, vcc
	s_andn2_b64 exec, exec, s[14:15]
	s_cbranch_execz .LBB243_16
.LBB243_14:                             ; =>This Inner Loop Header: Depth=1
	v_add_u32_e32 v34, s9, v24
	v_mad_i64_i32 v[35:36], s[12:13], v34, s20, v[16:17]
	v_add_co_u32_e32 v37, vcc, v35, v28
	v_addc_co_u32_e32 v38, vcc, 0, v36, vcc
	v_add_co_u32_e32 v39, vcc, v35, v25
	v_addc_co_u32_e32 v40, vcc, 0, v36, vcc
	global_load_dwordx4 v[6:9], v[14:15], off offset:-32
	global_load_dwordx4 v[2:5], v[14:15], off offset:-16
	global_load_dword v32, v[14:15], off
	global_load_ubyte v33, v[39:40], off offset:4
	global_load_dword v31, v[35:36], off
	global_load_dwordx4 v[10:13], v[37:38], off offset:8
	s_and_b64 vcc, exec, s[10:11]
	s_waitcnt vmcnt(5)
	v_cvt_f32_f16_e32 v6, v6
	s_cbranch_vccnz .LBB243_13
; %bb.15:                               ;   in Loop: Header=BB243_14 Depth=1
	v_mov_b32_e32 v36, s29
	v_mov_b32_e32 v35, s28
	v_mad_i64_i32 v[38:39], s[12:13], v34, s20, v[35:36]
	v_add_co_u32_e32 v40, vcc, v38, v25
	v_addc_co_u32_e32 v41, vcc, 0, v39, vcc
	v_add_co_u32_e32 v34, vcc, v38, v28
	v_addc_co_u32_e32 v35, vcc, 0, v39, vcc
	global_load_dwordx4 v[34:37], v[34:35], off offset:8
	s_waitcnt vmcnt(0)
	v_ashrrev_i32_e32 v42, 4, v34
	v_and_b32_e32 v43, 0x7070707, v34
	v_lshrrev_b32_e32 v34, 1, v34
	v_and_b32_e32 v45, 0x7070707, v42
	v_and_b32_e32 v34, 0x4040404, v34
	v_lshrrev_b32_e32 v42, 1, v42
	v_perm_b32 v44, s21, v29, v43
	v_perm_b32 v43, s23, v30, v43
	v_or_b32_e32 v34, 0x3020100, v34
	v_and_b32_e32 v42, 0x4040404, v42
	v_perm_b32 v46, s21, v29, v45
	v_perm_b32 v45, s23, v30, v45
	v_perm_b32 v34, v43, v44, v34
	v_or_b32_e32 v42, 0x3020100, v42
	v_perm_b32 v42, v45, v46, v42
	v_dot4_i32_i8 v34, v34, v7, 0
	v_dot4_i32_i8 v34, v42, v3, v34
	v_ashrrev_i32_e32 v42, 4, v35
	v_and_b32_e32 v43, 0x7070707, v35
	v_lshrrev_b32_e32 v35, 1, v35
	v_and_b32_e32 v45, 0x7070707, v42
	v_and_b32_e32 v35, 0x4040404, v35
	v_lshrrev_b32_e32 v42, 1, v42
	v_perm_b32 v44, s21, v29, v43
	v_perm_b32 v43, s23, v30, v43
	v_or_b32_e32 v35, 0x3020100, v35
	v_and_b32_e32 v42, 0x4040404, v42
	v_perm_b32 v46, s21, v29, v45
	v_perm_b32 v45, s23, v30, v45
	v_perm_b32 v35, v43, v44, v35
	v_or_b32_e32 v42, 0x3020100, v42
	v_perm_b32 v42, v45, v46, v42
	v_dot4_i32_i8 v34, v35, v8, v34
	v_dot4_i32_i8 v34, v42, v4, v34
	;; [unrolled: 17-line block ×4, first 2 shown]
	global_load_ubyte v35, v[40:41], off offset:4
	global_load_dword v36, v[38:39], off
	s_waitcnt vmcnt(1)
	v_bfe_u32 v35, v35, v26, 4
	s_waitcnt vmcnt(0)
	v_lshrrev_b32_sdwa v37, v27, v36 dst_sel:DWORD dst_unused:UNUSED_PAD src0_sel:DWORD src1_sel:WORD_1
	v_lshlrev_b32_e32 v37, 4, v37
	v_and_or_b32 v35, v37, 48, v35
	v_subrev_u32_e32 v35, 32, v35
	v_mul_lo_u32 v34, v34, v35
	v_cvt_f32_f16_e32 v35, v36
	v_cvt_f32_i32_e32 v34, v34
	v_mul_f32_e32 v35, v6, v35
	v_fmac_f32_e32 v21, v35, v34
	s_branch .LBB243_13
.LBB243_16:
	s_or_b64 exec, exec, s[14:15]
.LBB243_17:
	s_or_b64 exec, exec, s[18:19]
	s_load_dword s7, s[4:5], 0x30
	v_cmp_eq_u32_e64 s[10:11], 0, v1
	v_cmp_ne_u32_e32 vcc, 0, v1
	s_and_saveexec_b64 s[12:13], vcc
	s_cbranch_execz .LBB243_21
; %bb.18:
	s_and_b64 vcc, exec, s[16:17]
	s_cbranch_vccz .LBB243_20
; %bb.19:
	v_lshl_add_u32 v2, v1, 8, v18
	ds_write_b32 v2, v21
.LBB243_20:
	v_lshlrev_b32_e32 v1, 8, v1
	s_waitcnt lgkmcnt(0)
	s_movk_i32 s9, 0xff00
	v_add3_u32 v1, v1, v18, s9
	ds_write_b32 v1, v22
.LBB243_21:
	s_or_b64 exec, exec, s[12:13]
	s_waitcnt vmcnt(0) lgkmcnt(0)
	s_barrier
	s_and_saveexec_b64 s[12:13], s[10:11]
	s_cbranch_execz .LBB243_50
; %bb.22:
	ds_read_b32 v2, v18
	v_cmp_ne_u32_e64 s[10:11], 1, v23
	s_and_b64 vcc, exec, s[10:11]
	s_cbranch_vccnz .LBB243_24
; %bb.23:
	ds_read_b32 v1, v18 offset:256
	s_waitcnt lgkmcnt(0)
	v_add_f32_e32 v21, v21, v1
.LBB243_24:
	v_mbcnt_lo_u32_b32 v1, -1, 0
	v_mbcnt_hi_u32_b32 v3, -1, v1
	v_and_b32_e32 v1, 64, v3
	v_add_u32_e32 v4, 64, v1
	v_xor_b32_e32 v1, 32, v3
	v_cmp_lt_i32_e32 vcc, v1, v4
	v_cndmask_b32_e32 v1, v3, v1, vcc
	v_lshlrev_b32_e32 v1, 2, v1
	s_waitcnt lgkmcnt(0)
	v_add_f32_e32 v5, v22, v2
	ds_bpermute_b32 v6, v1, v5
	v_xor_b32_e32 v2, 16, v3
	v_cmp_lt_i32_e32 vcc, v2, v4
	v_cndmask_b32_e32 v2, v3, v2, vcc
	v_lshlrev_b32_e32 v2, 2, v2
	s_waitcnt lgkmcnt(0)
	v_add_f32_e32 v6, v5, v6
	ds_bpermute_b32 v7, v2, v6
	;; [unrolled: 7-line block ×6, first 2 shown]
	s_and_b64 vcc, exec, s[10:11]
	s_cbranch_vccnz .LBB243_26
; %bb.25:
	ds_bpermute_b32 v1, v1, v21
	s_waitcnt lgkmcnt(0)
	v_add_f32_e32 v1, v21, v1
	ds_bpermute_b32 v2, v2, v1
	s_waitcnt lgkmcnt(0)
	v_add_f32_e32 v1, v1, v2
	;; [unrolled: 3-line block ×6, first 2 shown]
.LBB243_26:
	v_cmp_eq_u32_e32 vcc, 0, v0
	s_and_b64 exec, exec, vcc
	s_cbranch_execz .LBB243_50
; %bb.27:
	s_waitcnt lgkmcnt(0)
	v_add_f32_e32 v0, v3, v4
	v_add_f32_e32 v1, v20, v0
	s_and_b64 vcc, exec, s[10:11]
	v_cndmask_b32_e64 v0, v0, v1, s[0:1]
	s_cbranch_vccnz .LBB243_49
; %bb.28:
	v_add_f32_e32 v1, v19, v21
	v_cndmask_b32_e64 v1, v21, v1, s[2:3]
	s_cmp_lt_i32 s7, 2
	s_mov_b64 s[0:1], 0
	s_cbranch_scc1 .LBB243_32
; %bb.29:
	s_cmp_gt_i32 s7, 2
	s_cbranch_scc0 .LBB243_33
; %bb.30:
	s_cmp_eq_u32 s7, 3
	s_cbranch_scc0 .LBB243_34
; %bb.31:
	v_max_f32_e32 v2, v1, v1
	v_min_f32_e32 v2, 0x40e00000, v2
	v_mul_f32_e32 v3, 0xbfd9db23, v2
	s_mov_b32 s2, 0x3fb8aa3b
	v_mul_f32_e32 v4, 0x3fb8aa3b, v3
	v_fma_f32 v5, v3, s2, -v4
	v_rndne_f32_e32 v6, v4
	v_fmac_f32_e32 v5, 0x32a5705f, v3
	v_sub_f32_e32 v4, v4, v6
	v_add_f32_e32 v4, v4, v5
	v_exp_f32_e32 v4, v4
	v_cvt_i32_f32_e32 v5, v6
	s_mov_b32 s2, 0xc2ce8ed0
	v_cmp_ngt_f32_e32 vcc, s2, v3
	s_mov_b32 s2, 0x42b17218
	v_ldexp_f32 v4, v4, v5
	v_cndmask_b32_e32 v4, 0, v4, vcc
	v_mov_b32_e32 v5, 0x7f800000
	v_cmp_nlt_f32_e32 vcc, s2, v3
	v_cndmask_b32_e32 v3, v5, v4, vcc
	v_add_f32_e32 v3, 1.0, v3
	v_div_scale_f32 v4, s[2:3], v3, v3, v2
	v_div_scale_f32 v5, vcc, v2, v3, v2
	s_mov_b64 s[2:3], 0
	v_rcp_f32_e32 v6, v4
	v_fma_f32 v7, -v4, v6, 1.0
	v_fmac_f32_e32 v6, v7, v6
	v_mul_f32_e32 v7, v5, v6
	v_fma_f32 v8, -v4, v7, v5
	v_fmac_f32_e32 v7, v8, v6
	v_fma_f32 v4, -v4, v7, v5
	v_div_fmas_f32 v4, v4, v6, v7
	v_max_f32_e32 v5, v0, v0
	v_min_f32_e32 v5, 0x40e00000, v5
	v_max_f32_e32 v5, 0xc0e00000, v5
	v_add_f32_e32 v5, 1.0, v5
	v_div_fixup_f32 v2, v4, v3, v2
	v_mul_f32_e32 v2, v5, v2
	s_branch .LBB243_35
.LBB243_32:
                                        ; implicit-def: $vgpr2
	s_mov_b64 s[2:3], 0
	s_cbranch_execnz .LBB243_39
	s_branch .LBB243_40
.LBB243_33:
	s_mov_b64 s[10:11], -1
	s_mov_b64 s[2:3], 0
                                        ; implicit-def: $vgpr2
	s_branch .LBB243_36
.LBB243_34:
	s_mov_b64 s[2:3], -1
                                        ; implicit-def: $vgpr2
.LBB243_35:
	s_mov_b64 s[10:11], 0
.LBB243_36:
	s_and_b64 vcc, exec, s[10:11]
	s_cbranch_vccz .LBB243_38
; %bb.37:
	v_mul_f32_e32 v2, 0xbfb8aa3b, v1
	s_mov_b32 s9, 0xbfb8aa3b
	v_rndne_f32_e32 v3, v2
	v_sub_f32_e32 v4, v2, v3
	v_fma_f32 v2, v1, s9, -v2
	v_fmac_f32_e32 v2, 0xb2a5705f, v1
	v_add_f32_e32 v2, v4, v2
	v_exp_f32_e32 v2, v2
	v_cvt_i32_f32_e32 v3, v3
	s_mov_b32 s9, 0x42ce8ed0
	v_cmp_nlt_f32_e32 vcc, s9, v1
	s_mov_b32 s9, 0xc2b17218
	v_ldexp_f32 v2, v2, v3
	v_cndmask_b32_e32 v2, 0, v2, vcc
	v_mov_b32_e32 v3, 0x7f800000
	v_cmp_ngt_f32_e32 vcc, s9, v1
	v_cndmask_b32_e32 v2, v3, v2, vcc
	v_add_f32_e32 v2, 1.0, v2
	v_div_scale_f32 v3, s[10:11], v2, v2, v1
	v_div_scale_f32 v4, vcc, v1, v2, v1
	v_rcp_f32_e32 v5, v3
	v_fma_f32 v6, -v3, v5, 1.0
	v_fmac_f32_e32 v5, v6, v5
	v_mul_f32_e32 v6, v4, v5
	v_fma_f32 v7, -v3, v6, v4
	v_fmac_f32_e32 v6, v7, v5
	v_fma_f32 v3, -v3, v6, v4
	v_div_fmas_f32 v3, v3, v5, v6
	v_div_fixup_f32 v2, v3, v2, v1
	v_mul_f32_e32 v2, v0, v2
.LBB243_38:
	s_branch .LBB243_40
.LBB243_39:
	s_cmp_lg_u32 s7, 1
	s_mov_b64 s[0:1], -1
	s_cselect_b64 s[2:3], -1, 0
.LBB243_40:
	s_andn2_b64 vcc, exec, s[2:3]
	s_cbranch_vccz .LBB243_42
; %bb.41:
	s_andn2_b64 vcc, exec, s[0:1]
	s_cbranch_vccz .LBB243_43
	s_branch .LBB243_48
.LBB243_42:
	v_mul_f32_e32 v2, v1, v0
	s_cbranch_execnz .LBB243_48
.LBB243_43:
	v_mul_f32_e32 v3, 0x3d372713, v1
	v_mul_f32_e32 v2, 0x3f4c422a, v1
	v_fma_f32 v3, v1, v3, 1.0
	v_mul_f32_e32 v2, v2, v3
	s_mov_b32 s0, 0x3f200000
	v_cmp_nlt_f32_e64 s[0:1], |v2|, s0
                                        ; implicit-def: $vgpr3
	s_and_saveexec_b64 s[2:3], s[0:1]
	s_xor_b64 s[0:1], exec, s[2:3]
	s_cbranch_execz .LBB243_45
; %bb.44:
	v_add_f32_e64 v3, |v2|, |v2|
	v_mul_f32_e32 v4, 0x3fb8aa3b, v3
	s_mov_b32 s2, 0x3fb8aa3b
	v_rndne_f32_e32 v5, v4
	v_sub_f32_e32 v6, v4, v5
	v_fma_f32 v4, v3, s2, -v4
	v_fmac_f32_e32 v4, 0x32a5705f, v3
	v_add_f32_e32 v4, v6, v4
	v_exp_f32_e32 v4, v4
	v_cvt_i32_f32_e32 v5, v5
	s_mov_b32 s2, 0xc2ce8ed0
	v_cmp_ngt_f32_e32 vcc, s2, v3
	s_mov_b32 s2, 0x42b17218
	v_ldexp_f32 v4, v4, v5
	v_cndmask_b32_e32 v4, 0, v4, vcc
	v_mov_b32_e32 v5, 0x7f800000
	v_cmp_nlt_f32_e32 vcc, s2, v3
	v_cndmask_b32_e32 v3, v5, v4, vcc
	v_add_f32_e32 v3, 1.0, v3
	v_rcp_f32_e32 v3, v3
	v_fma_f32 v3, v3, -2.0, 1.0
.LBB243_45:
	s_andn2_saveexec_b64 s[0:1], s[0:1]
	s_cbranch_execz .LBB243_47
; %bb.46:
	v_mul_f32_e32 v3, v2, v2
	v_mov_b32_e32 v4, 0x3ca908c9
	v_fmac_f32_e32 v4, 0xbbbac73d, v3
	v_mov_b32_e32 v5, 0xbd5c1c4e
	v_fmac_f32_e32 v5, v3, v4
	;; [unrolled: 2-line block ×4, first 2 shown]
	v_mul_f32_e64 v4, |v2|, v5
	v_fma_f32 v3, v3, v4, |v2|
.LBB243_47:
	s_or_b64 exec, exec, s[0:1]
	s_brev_b32 s0, -2
	v_bfi_b32 v2, s0, v3, v2
	v_mul_f32_e32 v1, 0.5, v1
	v_add_f32_e32 v2, 1.0, v2
	v_mul_f32_e32 v1, v1, v2
	v_mul_f32_e32 v2, v0, v1
.LBB243_48:
	v_mov_b32_e32 v0, v2
.LBB243_49:
	s_load_dwordx2 s[0:1], s[4:5], 0x38
	s_mul_i32 s3, s22, s34
	s_mul_i32 s2, s26, s8
	s_add_i32 s3, s3, s6
	s_add_i32 s2, s3, s2
	s_mov_b32 s3, 0
	s_lshl_b64 s[2:3], s[2:3], 2
	s_waitcnt lgkmcnt(0)
	s_add_u32 s0, s0, s2
	s_addc_u32 s1, s1, s3
	global_store_dword v18, v0, s[0:1]
.LBB243_50:
	s_endpgm
	.section	.rodata,"a",@progbits
	.p2align	6, 0x0
	.amdhsa_kernel _ZL13mul_mat_vec_qIL9ggml_type23ELi1ELb1ELb0EEvPKvS2_PKi31ggml_cuda_mm_fusion_args_devicePfj15HIP_vector_typeIjLj3EEjjjS8_jjjS8_jjjj
		.amdhsa_group_segment_fixed_size 512
		.amdhsa_private_segment_fixed_size 0
		.amdhsa_kernarg_size 144
		.amdhsa_user_sgpr_count 6
		.amdhsa_user_sgpr_private_segment_buffer 1
		.amdhsa_user_sgpr_dispatch_ptr 0
		.amdhsa_user_sgpr_queue_ptr 0
		.amdhsa_user_sgpr_kernarg_segment_ptr 1
		.amdhsa_user_sgpr_dispatch_id 0
		.amdhsa_user_sgpr_flat_scratch_init 0
		.amdhsa_user_sgpr_private_segment_size 0
		.amdhsa_uses_dynamic_stack 0
		.amdhsa_system_sgpr_private_segment_wavefront_offset 0
		.amdhsa_system_sgpr_workgroup_id_x 1
		.amdhsa_system_sgpr_workgroup_id_y 1
		.amdhsa_system_sgpr_workgroup_id_z 1
		.amdhsa_system_sgpr_workgroup_info 0
		.amdhsa_system_vgpr_workitem_id 1
		.amdhsa_next_free_vgpr 47
		.amdhsa_next_free_sgpr 42
		.amdhsa_reserve_vcc 1
		.amdhsa_reserve_flat_scratch 0
		.amdhsa_float_round_mode_32 0
		.amdhsa_float_round_mode_16_64 0
		.amdhsa_float_denorm_mode_32 3
		.amdhsa_float_denorm_mode_16_64 3
		.amdhsa_dx10_clamp 1
		.amdhsa_ieee_mode 1
		.amdhsa_fp16_overflow 0
		.amdhsa_exception_fp_ieee_invalid_op 0
		.amdhsa_exception_fp_denorm_src 0
		.amdhsa_exception_fp_ieee_div_zero 0
		.amdhsa_exception_fp_ieee_overflow 0
		.amdhsa_exception_fp_ieee_underflow 0
		.amdhsa_exception_fp_ieee_inexact 0
		.amdhsa_exception_int_div_zero 0
	.end_amdhsa_kernel
	.section	.text._ZL13mul_mat_vec_qIL9ggml_type23ELi1ELb1ELb0EEvPKvS2_PKi31ggml_cuda_mm_fusion_args_devicePfj15HIP_vector_typeIjLj3EEjjjS8_jjjS8_jjjj,"axG",@progbits,_ZL13mul_mat_vec_qIL9ggml_type23ELi1ELb1ELb0EEvPKvS2_PKi31ggml_cuda_mm_fusion_args_devicePfj15HIP_vector_typeIjLj3EEjjjS8_jjjS8_jjjj,comdat
.Lfunc_end243:
	.size	_ZL13mul_mat_vec_qIL9ggml_type23ELi1ELb1ELb0EEvPKvS2_PKi31ggml_cuda_mm_fusion_args_devicePfj15HIP_vector_typeIjLj3EEjjjS8_jjjS8_jjjj, .Lfunc_end243-_ZL13mul_mat_vec_qIL9ggml_type23ELi1ELb1ELb0EEvPKvS2_PKi31ggml_cuda_mm_fusion_args_devicePfj15HIP_vector_typeIjLj3EEjjjS8_jjjS8_jjjj
                                        ; -- End function
	.set _ZL13mul_mat_vec_qIL9ggml_type23ELi1ELb1ELb0EEvPKvS2_PKi31ggml_cuda_mm_fusion_args_devicePfj15HIP_vector_typeIjLj3EEjjjS8_jjjS8_jjjj.num_vgpr, 47
	.set _ZL13mul_mat_vec_qIL9ggml_type23ELi1ELb1ELb0EEvPKvS2_PKi31ggml_cuda_mm_fusion_args_devicePfj15HIP_vector_typeIjLj3EEjjjS8_jjjS8_jjjj.num_agpr, 0
	.set _ZL13mul_mat_vec_qIL9ggml_type23ELi1ELb1ELb0EEvPKvS2_PKi31ggml_cuda_mm_fusion_args_devicePfj15HIP_vector_typeIjLj3EEjjjS8_jjjS8_jjjj.numbered_sgpr, 42
	.set _ZL13mul_mat_vec_qIL9ggml_type23ELi1ELb1ELb0EEvPKvS2_PKi31ggml_cuda_mm_fusion_args_devicePfj15HIP_vector_typeIjLj3EEjjjS8_jjjS8_jjjj.num_named_barrier, 0
	.set _ZL13mul_mat_vec_qIL9ggml_type23ELi1ELb1ELb0EEvPKvS2_PKi31ggml_cuda_mm_fusion_args_devicePfj15HIP_vector_typeIjLj3EEjjjS8_jjjS8_jjjj.private_seg_size, 0
	.set _ZL13mul_mat_vec_qIL9ggml_type23ELi1ELb1ELb0EEvPKvS2_PKi31ggml_cuda_mm_fusion_args_devicePfj15HIP_vector_typeIjLj3EEjjjS8_jjjS8_jjjj.uses_vcc, 1
	.set _ZL13mul_mat_vec_qIL9ggml_type23ELi1ELb1ELb0EEvPKvS2_PKi31ggml_cuda_mm_fusion_args_devicePfj15HIP_vector_typeIjLj3EEjjjS8_jjjS8_jjjj.uses_flat_scratch, 0
	.set _ZL13mul_mat_vec_qIL9ggml_type23ELi1ELb1ELb0EEvPKvS2_PKi31ggml_cuda_mm_fusion_args_devicePfj15HIP_vector_typeIjLj3EEjjjS8_jjjS8_jjjj.has_dyn_sized_stack, 0
	.set _ZL13mul_mat_vec_qIL9ggml_type23ELi1ELb1ELb0EEvPKvS2_PKi31ggml_cuda_mm_fusion_args_devicePfj15HIP_vector_typeIjLj3EEjjjS8_jjjS8_jjjj.has_recursion, 0
	.set _ZL13mul_mat_vec_qIL9ggml_type23ELi1ELb1ELb0EEvPKvS2_PKi31ggml_cuda_mm_fusion_args_devicePfj15HIP_vector_typeIjLj3EEjjjS8_jjjS8_jjjj.has_indirect_call, 0
	.section	.AMDGPU.csdata,"",@progbits
; Kernel info:
; codeLenInByte = 3384
; TotalNumSgprs: 46
; NumVgprs: 47
; ScratchSize: 0
; MemoryBound: 0
; FloatMode: 240
; IeeeMode: 1
; LDSByteSize: 512 bytes/workgroup (compile time only)
; SGPRBlocks: 5
; VGPRBlocks: 11
; NumSGPRsForWavesPerEU: 46
; NumVGPRsForWavesPerEU: 47
; Occupancy: 5
; WaveLimiterHint : 0
; COMPUTE_PGM_RSRC2:SCRATCH_EN: 0
; COMPUTE_PGM_RSRC2:USER_SGPR: 6
; COMPUTE_PGM_RSRC2:TRAP_HANDLER: 0
; COMPUTE_PGM_RSRC2:TGID_X_EN: 1
; COMPUTE_PGM_RSRC2:TGID_Y_EN: 1
; COMPUTE_PGM_RSRC2:TGID_Z_EN: 1
; COMPUTE_PGM_RSRC2:TIDIG_COMP_CNT: 1
	.section	.text._ZL13mul_mat_vec_qIL9ggml_type23ELi1ELb0ELb0EEvPKvS2_PKi31ggml_cuda_mm_fusion_args_devicePfj15HIP_vector_typeIjLj3EEjjjS8_jjjS8_jjjj,"axG",@progbits,_ZL13mul_mat_vec_qIL9ggml_type23ELi1ELb0ELb0EEvPKvS2_PKi31ggml_cuda_mm_fusion_args_devicePfj15HIP_vector_typeIjLj3EEjjjS8_jjjS8_jjjj,comdat
	.globl	_ZL13mul_mat_vec_qIL9ggml_type23ELi1ELb0ELb0EEvPKvS2_PKi31ggml_cuda_mm_fusion_args_devicePfj15HIP_vector_typeIjLj3EEjjjS8_jjjS8_jjjj ; -- Begin function _ZL13mul_mat_vec_qIL9ggml_type23ELi1ELb0ELb0EEvPKvS2_PKi31ggml_cuda_mm_fusion_args_devicePfj15HIP_vector_typeIjLj3EEjjjS8_jjjS8_jjjj
	.p2align	8
	.type	_ZL13mul_mat_vec_qIL9ggml_type23ELi1ELb0ELb0EEvPKvS2_PKi31ggml_cuda_mm_fusion_args_devicePfj15HIP_vector_typeIjLj3EEjjjS8_jjjS8_jjjj,@function
_ZL13mul_mat_vec_qIL9ggml_type23ELi1ELb0ELb0EEvPKvS2_PKi31ggml_cuda_mm_fusion_args_devicePfj15HIP_vector_typeIjLj3EEjjjS8_jjjS8_jjjj: ; @_ZL13mul_mat_vec_qIL9ggml_type23ELi1ELb0ELb0EEvPKvS2_PKi31ggml_cuda_mm_fusion_args_devicePfj15HIP_vector_typeIjLj3EEjjjS8_jjjS8_jjjj
; %bb.0:
	s_load_dwordx2 s[0:1], s[4:5], 0x10
	s_load_dwordx4 s[16:19], s[4:5], 0x40
	s_mov_b32 s10, s7
	s_mov_b64 s[14:15], 0
	s_waitcnt lgkmcnt(0)
	s_cmp_lg_u64 s[0:1], 0
	s_cselect_b64 s[12:13], -1, 0
	s_cmp_eq_u64 s[0:1], 0
	s_cbranch_scc1 .LBB244_5
; %bb.1:
	s_mov_b32 s11, 0
	s_lshl_b64 s[2:3], s[10:11], 2
	s_add_u32 s0, s0, s2
	s_addc_u32 s1, s1, s3
	s_load_dword s9, s[0:1], 0x0
	s_nop 0
	s_load_dwordx4 s[0:3], s[4:5], 0x68
	s_load_dword s11, s[4:5], 0x50
	s_andn2_b64 vcc, exec, s[14:15]
	s_cbranch_vccnz .LBB244_3
.LBB244_2:
	s_load_dwordx2 s[14:15], s[4:5], 0x5c
	s_waitcnt lgkmcnt(0)
	s_mul_hi_u32 s7, s14, s10
	s_add_i32 s7, s10, s7
	s_lshr_b32 s9, s7, s15
.LBB244_3:
	s_load_dword s22, s[4:5], 0x78
	s_andn2_b64 vcc, exec, s[12:13]
	s_cbranch_vccnz .LBB244_6
; %bb.4:
	s_mul_hi_u32 s7, s17, s10
	s_add_i32 s7, s10, s7
	s_lshr_b32 s7, s7, s18
	s_mul_i32 s7, s7, s19
	s_sub_i32 s23, s10, s7
	s_branch .LBB244_7
.LBB244_5:
                                        ; implicit-def: $sgpr9
	s_load_dwordx4 s[0:3], s[4:5], 0x68
	s_load_dword s11, s[4:5], 0x50
	s_branch .LBB244_2
.LBB244_6:
	s_mov_b32 s23, s10
.LBB244_7:
	s_load_dwordx4 s[12:15], s[4:5], 0x80
	v_lshl_add_u32 v2, v1, 6, v0
	s_lshr_b32 s7, s16, 8
	v_lshrrev_b32_e32 v8, 3, v2
	v_cmp_gt_u32_e32 vcc, s7, v8
	v_mov_b32_e32 v7, 0
	v_lshlrev_b32_e32 v6, 2, v0
	s_and_saveexec_b64 s[20:21], vcc
	s_cbranch_execz .LBB244_11
; %bb.8:
	s_waitcnt lgkmcnt(0)
	s_mul_hi_u32 s3, s3, s8
	s_add_i32 s3, s8, s3
	s_lshr_b32 s3, s3, s22
	s_mul_i32 s11, s11, s6
	s_mul_i32 s3, s3, s12
	;; [unrolled: 1-line block ×4, first 2 shown]
	s_add_i32 s3, s3, s11
	s_add_i32 s3, s0, s3
	s_mul_hi_u32 s0, s1, 36
	s_mul_i32 s1, s1, 36
	v_lshrrev_b32_e32 v4, 3, v2
	v_mov_b32_e32 v2, s1
	v_mov_b32_e32 v3, s0
	s_movk_i32 s0, 0x120
	v_mad_u64_u32 v[2:3], s[0:1], v4, s0, v[2:3]
	s_mul_i32 s9, s13, s8
	s_load_dwordx4 s[16:19], s[4:5], 0x0
	v_mad_u64_u32 v[2:3], s[0:1], s9, 36, v[2:3]
	v_and_b32_e32 v4, 7, v0
	v_and_b32_e32 v12, 28, v6
	v_mad_u64_u32 v[2:3], s[0:1], v4, 36, v[2:3]
	s_waitcnt lgkmcnt(0)
	v_mov_b32_e32 v4, s19
	v_mov_b32_e32 v7, 0
	v_add_co_u32_e32 v2, vcc, s18, v2
	v_addc_co_u32_e32 v3, vcc, v4, v3, vcc
	v_add_co_u32_e32 v2, vcc, 32, v2
	v_mov_b32_e32 v4, s16
	v_bfe_u32 v9, v6, 3, 2
	v_and_b32_e32 v10, 4, v6
	v_lshrrev_b32_e32 v11, 1, v12
	v_addc_co_u32_e32 v3, vcc, 0, v3, vcc
	s_mov_b64 s[12:13], 0
	s_movk_i32 s9, 0x88
	v_mov_b32_e32 v5, s17
	v_lshlrev_b32_e32 v12, 2, v12
	s_mov_b32 s11, 0xf6eaddcf
	s_mov_b32 s15, 0x71594535
	v_mov_b32_e32 v13, 0xbfad9881
	v_mov_b32_e32 v14, 0x26190d01
.LBB244_9:                              ; =>This Inner Loop Header: Depth=1
	v_add_u32_e32 v15, s3, v8
	v_mad_i64_i32 v[19:20], s[0:1], v15, s9, v[4:5]
	v_add_u32_e32 v8, 16, v8
	v_cmp_le_u32_e64 s[0:1], s7, v8
	v_add_co_u32_e32 v21, vcc, v19, v12
	v_addc_co_u32_e32 v22, vcc, 0, v20, vcc
	v_add_co_u32_e32 v23, vcc, v19, v9
	v_addc_co_u32_e32 v24, vcc, 0, v20, vcc
	global_load_dwordx4 v[15:18], v[21:22], off offset:8
	global_load_ubyte v25, v[23:24], off offset:4
	global_load_dword v26, v[19:20], off
	s_or_b64 s[12:13], s[0:1], s[12:13]
	s_waitcnt vmcnt(2)
	v_lshrrev_b32_e32 v20, 1, v15
	v_lshrrev_b32_e32 v22, 1, v16
	v_and_b32_e32 v19, 0x7070707, v15
	v_and_b32_e32 v21, 0x7070707, v16
	v_lshrrev_b32_e32 v28, 1, v18
	v_and_b32_e32 v20, 0x4040404, v20
	v_and_b32_e32 v22, 0x4040404, v22
	;; [unrolled: 1-line block ×3, first 2 shown]
	v_lshrrev_b32_e32 v24, 1, v17
	v_and_b32_e32 v27, 0x7070707, v18
	v_perm_b32 v33, s11, v13, v19
	v_perm_b32 v19, s15, v14, v19
	;; [unrolled: 1-line block ×4, first 2 shown]
	v_or_b32_e32 v20, 0x3020100, v20
	v_or_b32_e32 v22, 0x3020100, v22
	v_and_b32_e32 v28, 0x4040404, v28
	v_ashrrev_i32_e32 v29, 4, v15
	v_perm_b32 v33, v19, v33, v20
	v_perm_b32 v19, s11, v13, v23
	;; [unrolled: 1-line block ×3, first 2 shown]
	v_and_b32_e32 v23, 0x4040404, v24
	v_perm_b32 v24, v21, v34, v22
	v_perm_b32 v34, s11, v13, v27
	;; [unrolled: 1-line block ×3, first 2 shown]
	v_or_b32_e32 v28, 0x3020100, v28
	v_perm_b32 v27, v27, v34, v28
	v_and_b32_e32 v28, 0x7070707, v29
	v_lshrrev_b32_e32 v29, 1, v29
	v_and_b32_e32 v29, 0x4040404, v29
	v_ashrrev_i32_e32 v30, 4, v16
	v_perm_b32 v34, s11, v13, v28
	v_perm_b32 v28, s15, v14, v28
	v_or_b32_e32 v29, 0x3020100, v29
	v_perm_b32 v28, v28, v34, v29
	v_and_b32_e32 v29, 0x7070707, v30
	v_lshrrev_b32_e32 v30, 1, v30
	v_and_b32_e32 v30, 0x4040404, v30
	v_ashrrev_i32_e32 v31, 4, v17
	v_ashrrev_i32_e32 v32, 4, v18
	global_load_dwordx4 v[15:18], v[2:3], off offset:-32
	v_or_b32_e32 v23, 0x3020100, v23
	v_perm_b32 v34, s11, v13, v29
	v_perm_b32 v29, s15, v14, v29
	v_or_b32_e32 v30, 0x3020100, v30
	v_perm_b32 v23, v20, v19, v23
	global_load_dwordx4 v[19:22], v[2:3], off offset:-16
	v_perm_b32 v29, v29, v34, v30
	v_and_b32_e32 v30, 0x7070707, v31
	v_lshrrev_b32_e32 v31, 1, v31
	v_and_b32_e32 v31, 0x4040404, v31
	v_perm_b32 v34, s11, v13, v30
	v_perm_b32 v30, s15, v14, v30
	v_or_b32_e32 v31, 0x3020100, v31
	v_perm_b32 v30, v30, v34, v31
	v_and_b32_e32 v31, 0x7070707, v32
	v_lshrrev_b32_e32 v32, 1, v32
	v_and_b32_e32 v32, 0x4040404, v32
	v_perm_b32 v34, s11, v13, v31
	v_perm_b32 v31, s15, v14, v31
	v_or_b32_e32 v32, 0x3020100, v32
	v_perm_b32 v31, v31, v34, v32
	global_load_dword v32, v[2:3], off
	s_waitcnt vmcnt(3)
	v_lshrrev_b32_sdwa v34, v11, v26 dst_sel:DWORD dst_unused:UNUSED_PAD src0_sel:DWORD src1_sel:WORD_1
	v_bfe_u32 v25, v25, v10, 4
	v_lshlrev_b32_e32 v34, 4, v34
	v_and_or_b32 v25, v34, 48, v25
	v_subrev_u32_e32 v25, 32, v25
	v_add_co_u32_e32 v2, vcc, 0x1200, v2
	v_addc_co_u32_e32 v3, vcc, 0, v3, vcc
	s_waitcnt vmcnt(2)
	v_dot4_i32_i8 v16, v33, v16, 0
	v_cvt_f32_f16_e32 v15, v15
	s_waitcnt vmcnt(1)
	v_dot4_i32_i8 v16, v28, v20, v16
	v_dot4_i32_i8 v16, v24, v17, v16
	;; [unrolled: 1-line block ×6, first 2 shown]
	v_cvt_f32_f16_e32 v17, v26
	v_mul_f32_e32 v15, v17, v15
	s_waitcnt vmcnt(0)
	v_dot4_i32_i8 v16, v31, v32, v16
	v_mul_lo_u32 v16, v25, v16
	v_cvt_f32_i32_e32 v16, v16
	v_fmac_f32_e32 v7, v15, v16
	s_andn2_b64 exec, exec, s[12:13]
	s_cbranch_execnz .LBB244_9
; %bb.10:
	s_or_b64 exec, exec, s[12:13]
.LBB244_11:
	s_or_b64 exec, exec, s[20:21]
	v_cmp_eq_u32_e32 vcc, 0, v1
	s_waitcnt lgkmcnt(0)
	v_cmp_ne_u32_e64 s[0:1], 0, v1
	s_and_saveexec_b64 s[12:13], s[0:1]
; %bb.12:
	v_lshlrev_b32_e32 v1, 8, v1
	s_movk_i32 s0, 0xff00
	v_add3_u32 v1, v1, v6, s0
	ds_write_b32 v1, v7
; %bb.13:
	s_or_b64 exec, exec, s[12:13]
	s_waitcnt lgkmcnt(0)
	s_barrier
	s_and_saveexec_b64 s[0:1], vcc
	s_cbranch_execz .LBB244_16
; %bb.14:
	v_mbcnt_lo_u32_b32 v2, -1, 0
	ds_read_b32 v1, v6
	v_mbcnt_hi_u32_b32 v2, -1, v2
	v_and_b32_e32 v3, 64, v2
	v_add_u32_e32 v3, 64, v3
	v_xor_b32_e32 v4, 32, v2
	v_cmp_lt_i32_e32 vcc, v4, v3
	v_cndmask_b32_e32 v4, v2, v4, vcc
	v_lshlrev_b32_e32 v4, 2, v4
	s_waitcnt lgkmcnt(0)
	v_add_f32_e32 v1, v7, v1
	ds_bpermute_b32 v4, v4, v1
	v_xor_b32_e32 v5, 16, v2
	v_cmp_lt_i32_e32 vcc, v5, v3
	v_cndmask_b32_e32 v5, v2, v5, vcc
	v_lshlrev_b32_e32 v5, 2, v5
	s_waitcnt lgkmcnt(0)
	v_add_f32_e32 v1, v1, v4
	ds_bpermute_b32 v4, v5, v1
	;; [unrolled: 7-line block ×6, first 2 shown]
	s_mov_b32 s1, 0
	v_cmp_eq_u32_e32 vcc, 0, v0
	s_and_b64 exec, exec, vcc
	s_cbranch_execz .LBB244_16
; %bb.15:
	s_load_dwordx2 s[4:5], s[4:5], 0x38
	s_mul_i32 s0, s2, s10
	s_add_i32 s0, s0, s6
	s_mul_i32 s2, s14, s8
	s_add_i32 s0, s0, s2
	s_lshl_b64 s[0:1], s[0:1], 2
	s_waitcnt lgkmcnt(0)
	s_add_u32 s0, s4, s0
	v_add_f32_e32 v0, v1, v2
	s_addc_u32 s1, s5, s1
	v_mov_b32_e32 v1, 0
	global_store_dword v1, v0, s[0:1]
.LBB244_16:
	s_endpgm
	.section	.rodata,"a",@progbits
	.p2align	6, 0x0
	.amdhsa_kernel _ZL13mul_mat_vec_qIL9ggml_type23ELi1ELb0ELb0EEvPKvS2_PKi31ggml_cuda_mm_fusion_args_devicePfj15HIP_vector_typeIjLj3EEjjjS8_jjjS8_jjjj
		.amdhsa_group_segment_fixed_size 256
		.amdhsa_private_segment_fixed_size 0
		.amdhsa_kernarg_size 144
		.amdhsa_user_sgpr_count 6
		.amdhsa_user_sgpr_private_segment_buffer 1
		.amdhsa_user_sgpr_dispatch_ptr 0
		.amdhsa_user_sgpr_queue_ptr 0
		.amdhsa_user_sgpr_kernarg_segment_ptr 1
		.amdhsa_user_sgpr_dispatch_id 0
		.amdhsa_user_sgpr_flat_scratch_init 0
		.amdhsa_user_sgpr_private_segment_size 0
		.amdhsa_uses_dynamic_stack 0
		.amdhsa_system_sgpr_private_segment_wavefront_offset 0
		.amdhsa_system_sgpr_workgroup_id_x 1
		.amdhsa_system_sgpr_workgroup_id_y 1
		.amdhsa_system_sgpr_workgroup_id_z 1
		.amdhsa_system_sgpr_workgroup_info 0
		.amdhsa_system_vgpr_workitem_id 1
		.amdhsa_next_free_vgpr 35
		.amdhsa_next_free_sgpr 24
		.amdhsa_reserve_vcc 1
		.amdhsa_reserve_flat_scratch 0
		.amdhsa_float_round_mode_32 0
		.amdhsa_float_round_mode_16_64 0
		.amdhsa_float_denorm_mode_32 3
		.amdhsa_float_denorm_mode_16_64 3
		.amdhsa_dx10_clamp 1
		.amdhsa_ieee_mode 1
		.amdhsa_fp16_overflow 0
		.amdhsa_exception_fp_ieee_invalid_op 0
		.amdhsa_exception_fp_denorm_src 0
		.amdhsa_exception_fp_ieee_div_zero 0
		.amdhsa_exception_fp_ieee_overflow 0
		.amdhsa_exception_fp_ieee_underflow 0
		.amdhsa_exception_fp_ieee_inexact 0
		.amdhsa_exception_int_div_zero 0
	.end_amdhsa_kernel
	.section	.text._ZL13mul_mat_vec_qIL9ggml_type23ELi1ELb0ELb0EEvPKvS2_PKi31ggml_cuda_mm_fusion_args_devicePfj15HIP_vector_typeIjLj3EEjjjS8_jjjS8_jjjj,"axG",@progbits,_ZL13mul_mat_vec_qIL9ggml_type23ELi1ELb0ELb0EEvPKvS2_PKi31ggml_cuda_mm_fusion_args_devicePfj15HIP_vector_typeIjLj3EEjjjS8_jjjS8_jjjj,comdat
.Lfunc_end244:
	.size	_ZL13mul_mat_vec_qIL9ggml_type23ELi1ELb0ELb0EEvPKvS2_PKi31ggml_cuda_mm_fusion_args_devicePfj15HIP_vector_typeIjLj3EEjjjS8_jjjS8_jjjj, .Lfunc_end244-_ZL13mul_mat_vec_qIL9ggml_type23ELi1ELb0ELb0EEvPKvS2_PKi31ggml_cuda_mm_fusion_args_devicePfj15HIP_vector_typeIjLj3EEjjjS8_jjjS8_jjjj
                                        ; -- End function
	.set _ZL13mul_mat_vec_qIL9ggml_type23ELi1ELb0ELb0EEvPKvS2_PKi31ggml_cuda_mm_fusion_args_devicePfj15HIP_vector_typeIjLj3EEjjjS8_jjjS8_jjjj.num_vgpr, 35
	.set _ZL13mul_mat_vec_qIL9ggml_type23ELi1ELb0ELb0EEvPKvS2_PKi31ggml_cuda_mm_fusion_args_devicePfj15HIP_vector_typeIjLj3EEjjjS8_jjjS8_jjjj.num_agpr, 0
	.set _ZL13mul_mat_vec_qIL9ggml_type23ELi1ELb0ELb0EEvPKvS2_PKi31ggml_cuda_mm_fusion_args_devicePfj15HIP_vector_typeIjLj3EEjjjS8_jjjS8_jjjj.numbered_sgpr, 24
	.set _ZL13mul_mat_vec_qIL9ggml_type23ELi1ELb0ELb0EEvPKvS2_PKi31ggml_cuda_mm_fusion_args_devicePfj15HIP_vector_typeIjLj3EEjjjS8_jjjS8_jjjj.num_named_barrier, 0
	.set _ZL13mul_mat_vec_qIL9ggml_type23ELi1ELb0ELb0EEvPKvS2_PKi31ggml_cuda_mm_fusion_args_devicePfj15HIP_vector_typeIjLj3EEjjjS8_jjjS8_jjjj.private_seg_size, 0
	.set _ZL13mul_mat_vec_qIL9ggml_type23ELi1ELb0ELb0EEvPKvS2_PKi31ggml_cuda_mm_fusion_args_devicePfj15HIP_vector_typeIjLj3EEjjjS8_jjjS8_jjjj.uses_vcc, 1
	.set _ZL13mul_mat_vec_qIL9ggml_type23ELi1ELb0ELb0EEvPKvS2_PKi31ggml_cuda_mm_fusion_args_devicePfj15HIP_vector_typeIjLj3EEjjjS8_jjjS8_jjjj.uses_flat_scratch, 0
	.set _ZL13mul_mat_vec_qIL9ggml_type23ELi1ELb0ELb0EEvPKvS2_PKi31ggml_cuda_mm_fusion_args_devicePfj15HIP_vector_typeIjLj3EEjjjS8_jjjS8_jjjj.has_dyn_sized_stack, 0
	.set _ZL13mul_mat_vec_qIL9ggml_type23ELi1ELb0ELb0EEvPKvS2_PKi31ggml_cuda_mm_fusion_args_devicePfj15HIP_vector_typeIjLj3EEjjjS8_jjjS8_jjjj.has_recursion, 0
	.set _ZL13mul_mat_vec_qIL9ggml_type23ELi1ELb0ELb0EEvPKvS2_PKi31ggml_cuda_mm_fusion_args_devicePfj15HIP_vector_typeIjLj3EEjjjS8_jjjS8_jjjj.has_indirect_call, 0
	.section	.AMDGPU.csdata,"",@progbits
; Kernel info:
; codeLenInByte = 1492
; TotalNumSgprs: 28
; NumVgprs: 35
; ScratchSize: 0
; MemoryBound: 0
; FloatMode: 240
; IeeeMode: 1
; LDSByteSize: 256 bytes/workgroup (compile time only)
; SGPRBlocks: 3
; VGPRBlocks: 8
; NumSGPRsForWavesPerEU: 28
; NumVGPRsForWavesPerEU: 35
; Occupancy: 7
; WaveLimiterHint : 0
; COMPUTE_PGM_RSRC2:SCRATCH_EN: 0
; COMPUTE_PGM_RSRC2:USER_SGPR: 6
; COMPUTE_PGM_RSRC2:TRAP_HANDLER: 0
; COMPUTE_PGM_RSRC2:TGID_X_EN: 1
; COMPUTE_PGM_RSRC2:TGID_Y_EN: 1
; COMPUTE_PGM_RSRC2:TGID_Z_EN: 1
; COMPUTE_PGM_RSRC2:TIDIG_COMP_CNT: 1
	.section	.text._ZL13mul_mat_vec_qIL9ggml_type23ELi2ELb0ELb0EEvPKvS2_PKi31ggml_cuda_mm_fusion_args_devicePfj15HIP_vector_typeIjLj3EEjjjS8_jjjS8_jjjj,"axG",@progbits,_ZL13mul_mat_vec_qIL9ggml_type23ELi2ELb0ELb0EEvPKvS2_PKi31ggml_cuda_mm_fusion_args_devicePfj15HIP_vector_typeIjLj3EEjjjS8_jjjS8_jjjj,comdat
	.globl	_ZL13mul_mat_vec_qIL9ggml_type23ELi2ELb0ELb0EEvPKvS2_PKi31ggml_cuda_mm_fusion_args_devicePfj15HIP_vector_typeIjLj3EEjjjS8_jjjS8_jjjj ; -- Begin function _ZL13mul_mat_vec_qIL9ggml_type23ELi2ELb0ELb0EEvPKvS2_PKi31ggml_cuda_mm_fusion_args_devicePfj15HIP_vector_typeIjLj3EEjjjS8_jjjS8_jjjj
	.p2align	8
	.type	_ZL13mul_mat_vec_qIL9ggml_type23ELi2ELb0ELb0EEvPKvS2_PKi31ggml_cuda_mm_fusion_args_devicePfj15HIP_vector_typeIjLj3EEjjjS8_jjjS8_jjjj,@function
_ZL13mul_mat_vec_qIL9ggml_type23ELi2ELb0ELb0EEvPKvS2_PKi31ggml_cuda_mm_fusion_args_devicePfj15HIP_vector_typeIjLj3EEjjjS8_jjjS8_jjjj: ; @_ZL13mul_mat_vec_qIL9ggml_type23ELi2ELb0ELb0EEvPKvS2_PKi31ggml_cuda_mm_fusion_args_devicePfj15HIP_vector_typeIjLj3EEjjjS8_jjjS8_jjjj
; %bb.0:
	s_load_dword s9, s[4:5], 0x40
	s_load_dwordx4 s[0:3], s[4:5], 0x50
	s_load_dword s25, s[4:5], 0x60
	s_load_dwordx4 s[12:15], s[4:5], 0x68
	;; [unrolled: 2-line block ×3, first 2 shown]
	v_lshl_add_u32 v2, v1, 6, v0
	s_waitcnt lgkmcnt(0)
	s_lshr_b32 s9, s9, 8
	v_lshrrev_b32_e32 v13, 3, v2
	s_lshl_b32 s6, s6, 1
	v_cmp_gt_u32_e32 vcc, s9, v13
	v_mov_b32_e32 v11, 0
	v_lshlrev_b32_e32 v8, 2, v0
	v_mov_b32_e32 v12, 0
	v_mov_b32_e32 v10, 0
	;; [unrolled: 1-line block ×3, first 2 shown]
	s_and_saveexec_b64 s[10:11], vcc
	s_cbranch_execz .LBB245_4
; %bb.1:
	s_mul_hi_u32 s3, s3, s7
	s_add_i32 s3, s7, s3
	s_load_dwordx4 s[20:23], s[4:5], 0x0
	s_lshr_b32 s3, s3, s25
	s_mul_i32 s3, s3, s12
	s_mul_hi_u32 s12, s15, s8
	s_add_i32 s12, s8, s12
	s_lshr_b32 s12, s12, s24
	s_mul_i32 s19, s17, s8
	s_mul_i32 s15, s12, s16
	;; [unrolled: 1-line block ×3, first 2 shown]
	s_mul_hi_u32 s12, s19, 36
	s_waitcnt lgkmcnt(0)
	s_add_u32 s16, s22, s16
	s_addc_u32 s17, s23, s12
	s_mul_i32 s12, s13, s7
	s_mul_hi_u32 s13, s12, 36
	s_mul_i32 s12, s12, 36
	s_add_u32 s16, s16, s12
	s_addc_u32 s17, s17, s13
	v_and_b32_e32 v6, 7, v0
	v_mad_u64_u32 v[2:3], s[16:17], v6, 36, s[16:17]
	v_mov_b32_e32 v4, s12
	s_movk_i32 s16, 0x120
	v_mov_b32_e32 v5, s13
	v_mad_u64_u32 v[4:5], s[12:13], v13, s16, v[4:5]
	s_add_i32 s16, s6, 1
	v_and_b32_e32 v10, 28, v8
	v_mad_u64_u32 v[4:5], s[12:13], s19, 36, v[4:5]
	s_add_i32 s15, s15, s3
	s_mul_i32 s3, s6, s0
	v_mad_u64_u32 v[4:5], s[12:13], v6, 36, v[4:5]
	v_mov_b32_e32 v6, s23
	s_mul_i32 s0, s0, s16
	v_add_co_u32_e32 v4, vcc, s22, v4
	v_addc_co_u32_e32 v5, vcc, v6, v5, vcc
	v_add_co_u32_e32 v4, vcc, 16, v4
	v_mov_b32_e32 v6, s20
	v_mov_b32_e32 v9, 0
	v_bfe_u32 v14, v8, 3, 2
	v_and_b32_e32 v15, 4, v8
	v_lshrrev_b32_e32 v16, 1, v10
	s_add_i32 s3, s15, s3
	s_add_i32 s15, s15, s0
	v_lshl_add_u32 v17, v13, 3, s1
	v_addc_co_u32_e32 v5, vcc, 0, v5, vcc
	s_mov_b64 s[12:13], 0
	s_movk_i32 s16, 0x88
	v_mov_b32_e32 v7, s21
	v_lshlrev_b32_e32 v18, 2, v10
	s_mov_b32 s17, 0xf6eaddcf
	s_mov_b32 s19, 0x71594535
	v_mov_b32_e32 v19, 0xbfad9881
	v_mov_b32_e32 v20, 0x26190d01
	;; [unrolled: 1-line block ×5, first 2 shown]
.LBB245_2:                              ; =>This Inner Loop Header: Depth=1
	v_add_u32_e32 v21, s3, v13
	v_add_u32_e32 v22, s15, v13
	v_mad_i64_i32 v[38:39], s[0:1], v22, s16, v[6:7]
	v_mad_i64_i32 v[40:41], s[0:1], v21, s16, v[6:7]
	v_add_co_u32_e32 v30, vcc, v38, v18
	v_add_co_u32_e64 v32, s[0:1], v40, v18
	v_addc_co_u32_e32 v31, vcc, 0, v39, vcc
	v_addc_co_u32_e64 v33, vcc, 0, v41, s[0:1]
	global_load_dwordx4 v[22:25], v[32:33], off offset:8
	global_load_dwordx4 v[26:29], v[30:31], off offset:8
	v_add_u32_e32 v13, 16, v13
	s_waitcnt vmcnt(1)
	v_lshrrev_b32_e32 v30, 1, v22
	v_and_b32_e32 v21, 0x7070707, v22
	v_lshrrev_b32_e32 v32, 1, v23
	v_and_b32_e32 v30, 0x4040404, v30
	v_and_b32_e32 v31, 0x7070707, v23
	v_perm_b32 v35, s17, v19, v21
	v_perm_b32 v21, s19, v20, v21
	v_or_b32_e32 v30, 0x3020100, v30
	v_and_b32_e32 v32, 0x4040404, v32
	v_and_b32_e32 v33, 0x7070707, v24
	v_lshrrev_b32_e32 v34, 1, v24
	v_perm_b32 v42, v21, v35, v30
	v_perm_b32 v30, s17, v19, v31
	;; [unrolled: 1-line block ×3, first 2 shown]
	v_or_b32_e32 v32, 0x3020100, v32
	v_perm_b32 v43, v31, v30, v32
	v_lshrrev_b32_e32 v30, 1, v25
	v_perm_b32 v31, s17, v19, v33
	v_perm_b32 v32, s19, v20, v33
	v_and_b32_e32 v33, 0x4040404, v34
	v_and_b32_e32 v21, 0x7070707, v25
	v_or_b32_e32 v33, 0x3020100, v33
	v_and_b32_e32 v30, 0x4040404, v30
	v_perm_b32 v44, v32, v31, v33
	v_perm_b32 v32, s17, v19, v21
	;; [unrolled: 1-line block ×3, first 2 shown]
	v_or_b32_e32 v30, 0x3020100, v30
	v_perm_b32 v45, v21, v32, v30
	s_waitcnt vmcnt(0)
	v_lshrrev_b32_e32 v21, 1, v26
	v_and_b32_e32 v31, 0x7070707, v26
	v_and_b32_e32 v21, 0x4040404, v21
	v_perm_b32 v30, s17, v19, v31
	v_perm_b32 v31, s19, v20, v31
	v_or_b32_e32 v21, 0x3020100, v21
	v_perm_b32 v46, v31, v30, v21
	v_lshrrev_b32_e32 v31, 1, v27
	v_and_b32_e32 v21, 0x7070707, v27
	v_and_b32_e32 v31, 0x4040404, v31
	v_perm_b32 v30, s17, v19, v21
	v_perm_b32 v21, s19, v20, v21
	v_or_b32_e32 v31, 0x3020100, v31
	v_perm_b32 v47, v21, v30, v31
	;; [unrolled: 7-line block ×3, first 2 shown]
	v_lshrrev_b32_e32 v31, 1, v29
	v_and_b32_e32 v21, 0x7070707, v29
	v_and_b32_e32 v31, 0x4040404, v31
	v_perm_b32 v30, s17, v19, v21
	v_perm_b32 v21, s19, v20, v21
	v_or_b32_e32 v31, 0x3020100, v31
	v_ashrrev_i32_e32 v22, 4, v22
	v_perm_b32 v21, v21, v30, v31
	v_and_b32_e32 v30, 0x7070707, v22
	v_lshrrev_b32_e32 v22, 1, v22
	v_and_b32_e32 v22, 0x4040404, v22
	v_perm_b32 v31, s17, v19, v30
	v_perm_b32 v30, s19, v20, v30
	v_or_b32_e32 v22, 0x3020100, v22
	v_perm_b32 v49, v30, v31, v22
	v_ashrrev_i32_e32 v22, 4, v23
	v_and_b32_e32 v23, 0x7070707, v22
	v_lshrrev_b32_e32 v22, 1, v22
	v_and_b32_e32 v22, 0x4040404, v22
	v_perm_b32 v30, s17, v19, v23
	v_perm_b32 v23, s19, v20, v23
	v_or_b32_e32 v22, 0x3020100, v22
	v_perm_b32 v50, v23, v30, v22
	global_load_dwordx4 v[30:33], v[4:5], off offset:-16
	global_load_dwordx4 v[34:37], v[4:5], off
	v_ashrrev_i32_e32 v22, 4, v24
	v_and_b32_e32 v23, 0x7070707, v22
	v_lshrrev_b32_e32 v22, 1, v22
	v_and_b32_e32 v22, 0x4040404, v22
	v_perm_b32 v24, s17, v19, v23
	v_perm_b32 v23, s19, v20, v23
	v_or_b32_e32 v22, 0x3020100, v22
	v_perm_b32 v51, v23, v24, v22
	v_ashrrev_i32_e32 v22, 4, v26
	v_and_b32_e32 v23, 0x7070707, v22
	v_lshrrev_b32_e32 v22, 1, v22
	v_and_b32_e32 v22, 0x4040404, v22
	v_perm_b32 v24, s17, v19, v23
	v_perm_b32 v23, s19, v20, v23
	v_or_b32_e32 v22, 0x3020100, v22
	v_perm_b32 v24, v23, v24, v22
	v_ashrrev_i32_e32 v22, 4, v27
	v_and_b32_e32 v23, 0x7070707, v22
	v_lshrrev_b32_e32 v22, 1, v22
	v_and_b32_e32 v22, 0x4040404, v22
	v_perm_b32 v26, s17, v19, v23
	v_perm_b32 v23, s19, v20, v23
	v_or_b32_e32 v22, 0x3020100, v22
	v_perm_b32 v26, v23, v26, v22
	v_ashrrev_i32_e32 v22, 4, v28
	v_and_b32_e32 v23, 0x7070707, v22
	v_lshrrev_b32_e32 v22, 1, v22
	v_and_b32_e32 v22, 0x4040404, v22
	v_perm_b32 v27, s17, v19, v23
	v_perm_b32 v23, s19, v20, v23
	v_or_b32_e32 v22, 0x3020100, v22
	v_perm_b32 v27, v23, v27, v22
	s_waitcnt vmcnt(1)
	v_dot4_i32_i8 v22, v42, v31, 0
	v_dot4_i32_i8 v23, v46, v31, 0
	s_waitcnt vmcnt(0)
	v_dot4_i32_i8 v22, v49, v35, v22
	v_dot4_i32_i8 v23, v24, v35, v23
	;; [unrolled: 1-line block ×12, first 2 shown]
	v_mad_u64_u32 v[22:23], s[0:1], v17, 36, v[2:3]
	v_cvt_f32_f16_e32 v53, v30
	v_cmp_le_u32_e64 s[0:1], s9, v13
	global_load_dwordx4 v[30:33], v[22:23], off
	global_load_dwordx4 v[34:37], v[22:23], off offset:16
	v_add_u32_e32 v17, 0x80, v17
	s_or_b64 s[12:13], s[0:1], s[12:13]
	s_waitcnt vmcnt(1)
	v_dot4_i32_i8 v42, v42, v31, 0
	v_dot4_i32_i8 v31, v46, v31, 0
	s_waitcnt vmcnt(0)
	v_dot4_i32_i8 v42, v49, v35, v42
	v_dot4_i32_i8 v24, v24, v35, v31
	;; [unrolled: 1-line block ×8, first 2 shown]
	v_ashrrev_i32_e32 v24, 4, v25
	v_ashrrev_i32_e32 v25, 4, v29
	v_and_b32_e32 v29, 0x7070707, v24
	v_lshrrev_b32_e32 v24, 1, v24
	v_and_b32_e32 v24, 0x4040404, v24
	v_perm_b32 v32, s17, v19, v29
	v_perm_b32 v29, s19, v20, v29
	v_or_b32_e32 v24, 0x3020100, v24
	v_perm_b32 v29, v29, v32, v24
	v_and_b32_e32 v24, 0x7070707, v25
	v_lshrrev_b32_e32 v25, 1, v25
	v_and_b32_e32 v25, 0x4040404, v25
	global_load_dword v33, v[22:23], off offset:32
	v_add_co_u32_e32 v22, vcc, v40, v14
	v_perm_b32 v32, s17, v19, v24
	v_perm_b32 v24, s19, v20, v24
	v_or_b32_e32 v25, 0x3020100, v25
	v_addc_co_u32_e32 v23, vcc, 0, v41, vcc
	global_load_dword v35, v[40:41], off
	v_perm_b32 v32, v24, v32, v25
	v_add_co_u32_e32 v24, vcc, v38, v14
	v_addc_co_u32_e32 v25, vcc, 0, v39, vcc
	global_load_dword v36, v[38:39], off
	global_load_ubyte v40, v[22:23], off offset:4
	global_load_ubyte v41, v[24:25], off offset:4
	v_cvt_f32_f16_e32 v30, v30
	v_dot4_i32_i8 v26, v51, v37, v26
	v_dot4_i32_i8 v27, v27, v37, v31
	;; [unrolled: 1-line block ×4, first 2 shown]
	s_waitcnt vmcnt(4)
	v_dot4_i32_i8 v26, v29, v33, v26
	v_dot4_i32_i8 v21, v32, v33, v21
	s_waitcnt vmcnt(3)
	v_lshrrev_b32_sdwa v22, v16, v35 dst_sel:DWORD dst_unused:UNUSED_PAD src0_sel:DWORD src1_sel:WORD_1
	v_lshlrev_b32_e32 v22, 4, v22
	s_waitcnt vmcnt(2)
	v_cvt_f32_f16_e32 v25, v36
	s_waitcnt vmcnt(1)
	v_bfe_u32 v23, v40, v15, 4
	v_and_or_b32 v22, v22, 48, v23
	v_lshrrev_b32_sdwa v23, v16, v36 dst_sel:DWORD dst_unused:UNUSED_PAD src0_sel:DWORD src1_sel:WORD_1
	v_lshlrev_b32_e32 v23, 4, v23
	s_waitcnt vmcnt(0)
	v_bfe_u32 v24, v41, v15, 4
	v_and_or_b32 v23, v23, 48, v24
	v_cvt_f32_f16_e32 v24, v35
	v_mul_f32_e32 v36, v25, v53
	v_mul_f32_e32 v25, v25, v30
	v_subrev_u32_e32 v22, 32, v22
	v_mul_f32_e32 v35, v24, v53
	v_mul_f32_e32 v24, v24, v30
	global_load_dword v30, v[4:5], off offset:16
	v_subrev_u32_e32 v23, 32, v23
	v_mul_lo_u32 v21, v23, v21
	v_add_co_u32_e32 v4, vcc, 0x1200, v4
	v_addc_co_u32_e32 v5, vcc, 0, v5, vcc
	v_cvt_f32_i32_e32 v21, v21
	v_fmac_f32_e32 v9, v25, v21
	s_waitcnt vmcnt(0)
	v_dot4_i32_i8 v27, v29, v30, v28
	v_dot4_i32_i8 v28, v32, v30, v52
	v_mul_lo_u32 v27, v22, v27
	v_mul_lo_u32 v28, v23, v28
	;; [unrolled: 1-line block ×3, first 2 shown]
	v_cvt_f32_i32_e32 v23, v27
	v_cvt_f32_i32_e32 v26, v28
	;; [unrolled: 1-line block ×3, first 2 shown]
	v_fmac_f32_e32 v12, v35, v23
	v_fmac_f32_e32 v11, v36, v26
	;; [unrolled: 1-line block ×3, first 2 shown]
	s_andn2_b64 exec, exec, s[12:13]
	s_cbranch_execnz .LBB245_2
; %bb.3:
	s_or_b64 exec, exec, s[12:13]
.LBB245_4:
	s_or_b64 exec, exec, s[10:11]
	v_cmp_eq_u32_e32 vcc, 0, v1
	v_cmp_ne_u32_e64 s[0:1], 0, v1
	s_and_saveexec_b64 s[10:11], s[0:1]
	s_cbranch_execz .LBB245_6
; %bb.5:
	v_lshl_or_b32 v1, v1, 10, v8
	v_add_u32_e32 v1, 0xfffffc00, v1
	ds_write2st64_b32 v1, v12, v11 offset1:1
	ds_write2st64_b32 v1, v10, v9 offset0:2 offset1:3
.LBB245_6:
	s_or_b64 exec, exec, s[10:11]
	s_waitcnt lgkmcnt(0)
	s_barrier
	s_and_saveexec_b64 s[0:1], vcc
	s_cbranch_execz .LBB245_11
; %bb.7:
	v_mbcnt_lo_u32_b32 v1, -1, 0
	v_mbcnt_hi_u32_b32 v6, -1, v1
	ds_read2st64_b32 v[4:5], v8 offset1:1
	v_and_b32_e32 v1, 64, v6
	v_add_u32_e32 v7, 64, v1
	v_xor_b32_e32 v1, 32, v6
	v_cmp_lt_i32_e32 vcc, v1, v7
	v_cndmask_b32_e32 v1, v6, v1, vcc
	v_lshlrev_b32_e32 v1, 2, v1
	s_waitcnt lgkmcnt(0)
	v_add_f32_e32 v12, v4, v12
	v_add_f32_e32 v5, v5, v11
	ds_bpermute_b32 v14, v1, v12
	ds_bpermute_b32 v11, v1, v5
	v_xor_b32_e32 v2, 16, v6
	v_cmp_lt_i32_e32 vcc, v2, v7
	v_cndmask_b32_e32 v2, v6, v2, vcc
	v_lshlrev_b32_e32 v2, 2, v2
	s_waitcnt lgkmcnt(1)
	v_add_f32_e32 v12, v12, v14
	s_waitcnt lgkmcnt(0)
	v_add_f32_e32 v5, v5, v11
	ds_bpermute_b32 v14, v2, v12
	ds_bpermute_b32 v11, v2, v5
	v_xor_b32_e32 v3, 8, v6
	v_cmp_lt_i32_e32 vcc, v3, v7
	v_cndmask_b32_e32 v3, v6, v3, vcc
	v_lshlrev_b32_e32 v3, 2, v3
	s_waitcnt lgkmcnt(1)
	v_add_f32_e32 v12, v12, v14
	s_waitcnt lgkmcnt(0)
	;; [unrolled: 10-line block ×3, first 2 shown]
	v_add_f32_e32 v11, v11, v15
	v_xor_b32_e32 v13, 2, v6
	ds_bpermute_b32 v14, v4, v12
	ds_bpermute_b32 v15, v4, v11
	v_cmp_lt_i32_e32 vcc, v13, v7
	v_cndmask_b32_e32 v13, v6, v13, vcc
	v_lshlrev_b32_e32 v5, 2, v13
	v_xor_b32_e32 v13, 1, v6
	v_cmp_lt_i32_e32 vcc, v13, v7
	v_cndmask_b32_e32 v6, v6, v13, vcc
	s_waitcnt lgkmcnt(1)
	v_add_f32_e32 v7, v12, v14
	s_waitcnt lgkmcnt(0)
	v_add_f32_e32 v13, v11, v15
	ds_bpermute_b32 v12, v5, v7
	ds_bpermute_b32 v14, v5, v13
	s_load_dwordx2 s[0:1], s[4:5], 0x38
	s_mul_i32 s4, s14, s7
	v_lshlrev_b32_e32 v11, 2, v6
	s_waitcnt lgkmcnt(0)
	v_add_f32_e32 v6, v7, v12
	v_add_f32_e32 v12, v13, v14
	s_mul_i32 s3, s18, s8
	s_add_i32 s4, s4, s6
	ds_bpermute_b32 v7, v11, v6
	ds_bpermute_b32 v13, v11, v12
	s_add_i32 s4, s4, s3
	s_mov_b32 s5, 0
	s_lshl_b64 s[4:5], s[4:5], 2
	s_add_u32 s4, s0, s4
	v_add_u32_e32 v14, s6, v0
	s_addc_u32 s5, s1, s5
	v_cmp_gt_u32_e32 vcc, 2, v0
	v_cmp_gt_u32_e64 s[0:1], s2, v14
	s_and_b64 s[0:1], vcc, s[0:1]
	s_waitcnt lgkmcnt(1)
	v_add_f32_e32 v6, v6, v7
	s_waitcnt lgkmcnt(0)
	v_add_f32_e32 v7, v12, v13
	s_and_saveexec_b64 s[6:7], s[0:1]
	s_cbranch_execz .LBB245_9
; %bb.8:
	v_cmp_eq_u32_e32 vcc, 1, v0
	v_cndmask_b32_e32 v12, v6, v7, vcc
	v_cmp_eq_u32_e32 vcc, 2, v0
	v_cndmask_b32_e32 v12, v12, v10, vcc
	;; [unrolled: 2-line block ×3, first 2 shown]
	global_store_dword v8, v12, s[4:5]
.LBB245_9:
	s_or_b64 exec, exec, s[6:7]
	ds_read2st64_b32 v[12:13], v8 offset0:2 offset1:3
	s_waitcnt lgkmcnt(0)
	v_add_f32_e32 v8, v12, v10
	v_add_f32_e32 v9, v13, v9
	ds_bpermute_b32 v10, v1, v8
	ds_bpermute_b32 v1, v1, v9
	s_waitcnt lgkmcnt(1)
	v_add_f32_e32 v8, v8, v10
	s_waitcnt lgkmcnt(0)
	v_add_f32_e32 v1, v9, v1
	ds_bpermute_b32 v9, v2, v8
	ds_bpermute_b32 v2, v2, v1
	s_waitcnt lgkmcnt(1)
	v_add_f32_e32 v8, v8, v9
	s_waitcnt lgkmcnt(0)
	;; [unrolled: 6-line block ×5, first 2 shown]
	v_add_f32_e32 v2, v3, v4
	ds_bpermute_b32 v3, v11, v1
	ds_bpermute_b32 v4, v11, v2
	s_and_b64 exec, exec, s[0:1]
	s_cbranch_execz .LBB245_11
; %bb.10:
	s_waitcnt lgkmcnt(1)
	v_add_f32_e32 v1, v1, v3
	v_add_u32_e32 v3, 2, v0
	v_cmp_eq_u32_e32 vcc, 1, v3
	s_waitcnt lgkmcnt(0)
	v_add_f32_e32 v2, v2, v4
	v_cndmask_b32_e32 v4, v6, v7, vcc
	v_cmp_eq_u32_e32 vcc, 2, v3
	v_cndmask_b32_e32 v1, v4, v1, vcc
	v_cmp_eq_u32_e32 vcc, 3, v3
	v_cndmask_b32_e32 v2, v1, v2, vcc
	v_add_u32_e32 v0, s2, v0
	v_mov_b32_e32 v1, 0
	v_lshlrev_b64 v[0:1], 2, v[0:1]
	v_mov_b32_e32 v3, s5
	v_add_co_u32_e32 v0, vcc, s4, v0
	v_addc_co_u32_e32 v1, vcc, v3, v1, vcc
	global_store_dword v[0:1], v2, off
.LBB245_11:
	s_endpgm
	.section	.rodata,"a",@progbits
	.p2align	6, 0x0
	.amdhsa_kernel _ZL13mul_mat_vec_qIL9ggml_type23ELi2ELb0ELb0EEvPKvS2_PKi31ggml_cuda_mm_fusion_args_devicePfj15HIP_vector_typeIjLj3EEjjjS8_jjjS8_jjjj
		.amdhsa_group_segment_fixed_size 1024
		.amdhsa_private_segment_fixed_size 0
		.amdhsa_kernarg_size 144
		.amdhsa_user_sgpr_count 6
		.amdhsa_user_sgpr_private_segment_buffer 1
		.amdhsa_user_sgpr_dispatch_ptr 0
		.amdhsa_user_sgpr_queue_ptr 0
		.amdhsa_user_sgpr_kernarg_segment_ptr 1
		.amdhsa_user_sgpr_dispatch_id 0
		.amdhsa_user_sgpr_flat_scratch_init 0
		.amdhsa_user_sgpr_private_segment_size 0
		.amdhsa_uses_dynamic_stack 0
		.amdhsa_system_sgpr_private_segment_wavefront_offset 0
		.amdhsa_system_sgpr_workgroup_id_x 1
		.amdhsa_system_sgpr_workgroup_id_y 1
		.amdhsa_system_sgpr_workgroup_id_z 1
		.amdhsa_system_sgpr_workgroup_info 0
		.amdhsa_system_vgpr_workitem_id 1
		.amdhsa_next_free_vgpr 54
		.amdhsa_next_free_sgpr 26
		.amdhsa_reserve_vcc 1
		.amdhsa_reserve_flat_scratch 0
		.amdhsa_float_round_mode_32 0
		.amdhsa_float_round_mode_16_64 0
		.amdhsa_float_denorm_mode_32 3
		.amdhsa_float_denorm_mode_16_64 3
		.amdhsa_dx10_clamp 1
		.amdhsa_ieee_mode 1
		.amdhsa_fp16_overflow 0
		.amdhsa_exception_fp_ieee_invalid_op 0
		.amdhsa_exception_fp_denorm_src 0
		.amdhsa_exception_fp_ieee_div_zero 0
		.amdhsa_exception_fp_ieee_overflow 0
		.amdhsa_exception_fp_ieee_underflow 0
		.amdhsa_exception_fp_ieee_inexact 0
		.amdhsa_exception_int_div_zero 0
	.end_amdhsa_kernel
	.section	.text._ZL13mul_mat_vec_qIL9ggml_type23ELi2ELb0ELb0EEvPKvS2_PKi31ggml_cuda_mm_fusion_args_devicePfj15HIP_vector_typeIjLj3EEjjjS8_jjjS8_jjjj,"axG",@progbits,_ZL13mul_mat_vec_qIL9ggml_type23ELi2ELb0ELb0EEvPKvS2_PKi31ggml_cuda_mm_fusion_args_devicePfj15HIP_vector_typeIjLj3EEjjjS8_jjjS8_jjjj,comdat
.Lfunc_end245:
	.size	_ZL13mul_mat_vec_qIL9ggml_type23ELi2ELb0ELb0EEvPKvS2_PKi31ggml_cuda_mm_fusion_args_devicePfj15HIP_vector_typeIjLj3EEjjjS8_jjjS8_jjjj, .Lfunc_end245-_ZL13mul_mat_vec_qIL9ggml_type23ELi2ELb0ELb0EEvPKvS2_PKi31ggml_cuda_mm_fusion_args_devicePfj15HIP_vector_typeIjLj3EEjjjS8_jjjS8_jjjj
                                        ; -- End function
	.set _ZL13mul_mat_vec_qIL9ggml_type23ELi2ELb0ELb0EEvPKvS2_PKi31ggml_cuda_mm_fusion_args_devicePfj15HIP_vector_typeIjLj3EEjjjS8_jjjS8_jjjj.num_vgpr, 54
	.set _ZL13mul_mat_vec_qIL9ggml_type23ELi2ELb0ELb0EEvPKvS2_PKi31ggml_cuda_mm_fusion_args_devicePfj15HIP_vector_typeIjLj3EEjjjS8_jjjS8_jjjj.num_agpr, 0
	.set _ZL13mul_mat_vec_qIL9ggml_type23ELi2ELb0ELb0EEvPKvS2_PKi31ggml_cuda_mm_fusion_args_devicePfj15HIP_vector_typeIjLj3EEjjjS8_jjjS8_jjjj.numbered_sgpr, 26
	.set _ZL13mul_mat_vec_qIL9ggml_type23ELi2ELb0ELb0EEvPKvS2_PKi31ggml_cuda_mm_fusion_args_devicePfj15HIP_vector_typeIjLj3EEjjjS8_jjjS8_jjjj.num_named_barrier, 0
	.set _ZL13mul_mat_vec_qIL9ggml_type23ELi2ELb0ELb0EEvPKvS2_PKi31ggml_cuda_mm_fusion_args_devicePfj15HIP_vector_typeIjLj3EEjjjS8_jjjS8_jjjj.private_seg_size, 0
	.set _ZL13mul_mat_vec_qIL9ggml_type23ELi2ELb0ELb0EEvPKvS2_PKi31ggml_cuda_mm_fusion_args_devicePfj15HIP_vector_typeIjLj3EEjjjS8_jjjS8_jjjj.uses_vcc, 1
	.set _ZL13mul_mat_vec_qIL9ggml_type23ELi2ELb0ELb0EEvPKvS2_PKi31ggml_cuda_mm_fusion_args_devicePfj15HIP_vector_typeIjLj3EEjjjS8_jjjS8_jjjj.uses_flat_scratch, 0
	.set _ZL13mul_mat_vec_qIL9ggml_type23ELi2ELb0ELb0EEvPKvS2_PKi31ggml_cuda_mm_fusion_args_devicePfj15HIP_vector_typeIjLj3EEjjjS8_jjjS8_jjjj.has_dyn_sized_stack, 0
	.set _ZL13mul_mat_vec_qIL9ggml_type23ELi2ELb0ELb0EEvPKvS2_PKi31ggml_cuda_mm_fusion_args_devicePfj15HIP_vector_typeIjLj3EEjjjS8_jjjS8_jjjj.has_recursion, 0
	.set _ZL13mul_mat_vec_qIL9ggml_type23ELi2ELb0ELb0EEvPKvS2_PKi31ggml_cuda_mm_fusion_args_devicePfj15HIP_vector_typeIjLj3EEjjjS8_jjjS8_jjjj.has_indirect_call, 0
	.section	.AMDGPU.csdata,"",@progbits
; Kernel info:
; codeLenInByte = 2716
; TotalNumSgprs: 30
; NumVgprs: 54
; ScratchSize: 0
; MemoryBound: 0
; FloatMode: 240
; IeeeMode: 1
; LDSByteSize: 1024 bytes/workgroup (compile time only)
; SGPRBlocks: 3
; VGPRBlocks: 13
; NumSGPRsForWavesPerEU: 30
; NumVGPRsForWavesPerEU: 54
; Occupancy: 4
; WaveLimiterHint : 0
; COMPUTE_PGM_RSRC2:SCRATCH_EN: 0
; COMPUTE_PGM_RSRC2:USER_SGPR: 6
; COMPUTE_PGM_RSRC2:TRAP_HANDLER: 0
; COMPUTE_PGM_RSRC2:TGID_X_EN: 1
; COMPUTE_PGM_RSRC2:TGID_Y_EN: 1
; COMPUTE_PGM_RSRC2:TGID_Z_EN: 1
; COMPUTE_PGM_RSRC2:TIDIG_COMP_CNT: 1
	.section	.text._ZL13mul_mat_vec_qIL9ggml_type23ELi3ELb0ELb0EEvPKvS2_PKi31ggml_cuda_mm_fusion_args_devicePfj15HIP_vector_typeIjLj3EEjjjS8_jjjS8_jjjj,"axG",@progbits,_ZL13mul_mat_vec_qIL9ggml_type23ELi3ELb0ELb0EEvPKvS2_PKi31ggml_cuda_mm_fusion_args_devicePfj15HIP_vector_typeIjLj3EEjjjS8_jjjS8_jjjj,comdat
	.globl	_ZL13mul_mat_vec_qIL9ggml_type23ELi3ELb0ELb0EEvPKvS2_PKi31ggml_cuda_mm_fusion_args_devicePfj15HIP_vector_typeIjLj3EEjjjS8_jjjS8_jjjj ; -- Begin function _ZL13mul_mat_vec_qIL9ggml_type23ELi3ELb0ELb0EEvPKvS2_PKi31ggml_cuda_mm_fusion_args_devicePfj15HIP_vector_typeIjLj3EEjjjS8_jjjS8_jjjj
	.p2align	8
	.type	_ZL13mul_mat_vec_qIL9ggml_type23ELi3ELb0ELb0EEvPKvS2_PKi31ggml_cuda_mm_fusion_args_devicePfj15HIP_vector_typeIjLj3EEjjjS8_jjjS8_jjjj,@function
_ZL13mul_mat_vec_qIL9ggml_type23ELi3ELb0ELb0EEvPKvS2_PKi31ggml_cuda_mm_fusion_args_devicePfj15HIP_vector_typeIjLj3EEjjjS8_jjjS8_jjjj: ; @_ZL13mul_mat_vec_qIL9ggml_type23ELi3ELb0ELb0EEvPKvS2_PKi31ggml_cuda_mm_fusion_args_devicePfj15HIP_vector_typeIjLj3EEjjjS8_jjjS8_jjjj
; %bb.0:
	s_load_dword s9, s[4:5], 0x40
	s_load_dwordx4 s[0:3], s[4:5], 0x50
	s_load_dword s25, s[4:5], 0x60
	s_load_dwordx4 s[12:15], s[4:5], 0x68
	s_load_dword s24, s[4:5], 0x78
	s_load_dwordx4 s[16:19], s[4:5], 0x80
	v_lshl_add_u32 v2, v1, 6, v0
	s_waitcnt lgkmcnt(0)
	s_lshr_b32 s9, s9, 8
	v_lshrrev_b32_e32 v15, 3, v2
	v_mov_b32_e32 v11, 0
	s_lshl_b32 s6, s6, 1
	v_cmp_gt_u32_e32 vcc, s9, v15
	v_lshlrev_b32_e32 v8, 2, v0
	v_mov_b32_e32 v12, v11
	v_mov_b32_e32 v13, v11
	;; [unrolled: 1-line block ×5, first 2 shown]
	s_and_saveexec_b64 s[10:11], vcc
	s_cbranch_execz .LBB246_4
; %bb.1:
	s_mul_hi_u32 s3, s3, s7
	s_add_i32 s3, s7, s3
	s_load_dwordx4 s[20:23], s[4:5], 0x0
	s_lshr_b32 s3, s3, s25
	s_mul_i32 s3, s3, s12
	s_mul_hi_u32 s12, s15, s8
	s_add_i32 s12, s8, s12
	s_lshr_b32 s12, s12, s24
	s_mul_i32 s19, s17, s8
	s_mul_i32 s15, s12, s16
	;; [unrolled: 1-line block ×3, first 2 shown]
	s_mul_hi_u32 s12, s19, 36
	s_waitcnt lgkmcnt(0)
	s_add_u32 s16, s22, s16
	s_addc_u32 s17, s23, s12
	s_mul_i32 s12, s13, s7
	s_mul_hi_u32 s13, s12, 36
	s_mul_i32 s12, s12, 36
	s_add_u32 s16, s16, s12
	s_addc_u32 s17, s17, s13
	v_and_b32_e32 v7, 7, v0
	v_mad_u64_u32 v[2:3], s[16:17], v7, 36, s[16:17]
	v_mov_b32_e32 v4, s12
	s_movk_i32 s17, 0x120
	v_mov_b32_e32 v5, s13
	v_mad_u64_u32 v[4:5], s[12:13], v15, s17, v[4:5]
	v_and_b32_e32 v6, 28, v8
	s_add_i32 s16, s6, 1
	v_mad_u64_u32 v[4:5], s[12:13], s19, 36, v[4:5]
	s_add_i32 s15, s15, s3
	v_mov_b32_e32 v9, 0
	v_mad_u64_u32 v[4:5], s[12:13], v7, 36, v[4:5]
	v_mov_b32_e32 v7, s23
	v_lshrrev_b32_e32 v18, 1, v6
	v_add_co_u32_e32 v4, vcc, s22, v4
	v_addc_co_u32_e32 v5, vcc, v7, v5, vcc
	s_mul_i32 s3, s6, s0
	s_mul_i32 s0, s0, s16
	v_lshlrev_b32_e32 v10, 3, v15
	v_add_co_u32_e32 v4, vcc, 16, v4
	v_lshlrev_b32_e32 v21, 2, v6
	v_mov_b32_e32 v6, s20
	v_bfe_u32 v16, v8, 3, 2
	v_and_b32_e32 v17, 4, v8
	s_add_i32 s3, s15, s3
	s_add_i32 s15, s15, s0
	v_add_u32_e32 v19, s1, v10
	v_lshl_add_u32 v20, s1, 1, v10
	v_addc_co_u32_e32 v5, vcc, 0, v5, vcc
	s_mov_b64 s[12:13], 0
	s_movk_i32 s16, 0x88
	s_mov_b32 s17, 0xf6eaddcf
	s_mov_b32 s19, 0x71594535
	v_mov_b32_e32 v22, 0xbfad9881
	v_mov_b32_e32 v23, 0x26190d01
	;; [unrolled: 1-line block ×8, first 2 shown]
.LBB246_2:                              ; =>This Inner Loop Header: Depth=1
	v_add_u32_e32 v33, s15, v15
	v_mad_i64_i32 v[46:47], s[0:1], v33, s16, v[6:7]
	v_add_u32_e32 v32, s3, v15
	v_mad_i64_i32 v[48:49], s[0:1], v32, s16, v[6:7]
	v_add_co_u32_e32 v50, vcc, v46, v21
	v_addc_co_u32_e32 v51, vcc, 0, v47, vcc
	v_add_co_u32_e32 v52, vcc, v48, v21
	v_mad_u64_u32 v[44:45], s[0:1], v19, 36, v[2:3]
	v_addc_co_u32_e32 v53, vcc, 0, v49, vcc
	v_add_co_u32_e32 v54, vcc, v48, v16
	v_addc_co_u32_e32 v55, vcc, 0, v49, vcc
	v_add_co_u32_e32 v56, vcc, v46, v16
	global_load_dwordx4 v[24:27], v[4:5], off offset:-16
	global_load_dwordx4 v[28:31], v[4:5], off
	global_load_dwordx4 v[32:35], v[44:45], off
	v_addc_co_u32_e32 v57, vcc, 0, v47, vcc
	global_load_dwordx4 v[36:39], v[52:53], off offset:8
	global_load_dwordx4 v[40:43], v[50:51], off offset:8
	global_load_ubyte v58, v[54:55], off offset:4
	global_load_dword v59, v[48:49], off
	global_load_ubyte v60, v[56:57], off offset:4
	v_add_u32_e32 v15, 16, v15
	v_add_u32_e32 v19, 0x80, v19
	s_waitcnt vmcnt(4)
	v_lshrrev_b32_e32 v49, 1, v36
	v_and_b32_e32 v48, 0x7070707, v36
	v_lshrrev_b32_e32 v51, 1, v37
	v_and_b32_e32 v49, 0x4040404, v49
	v_and_b32_e32 v50, 0x7070707, v37
	v_lshrrev_b32_e32 v53, 1, v38
	v_perm_b32 v62, s17, v22, v48
	v_perm_b32 v48, s19, v23, v48
	v_or_b32_e32 v49, 0x3020100, v49
	v_and_b32_e32 v51, 0x4040404, v51
	v_and_b32_e32 v52, 0x7070707, v38
	v_perm_b32 v48, v48, v62, v49
	v_perm_b32 v62, s17, v22, v50
	;; [unrolled: 1-line block ×3, first 2 shown]
	v_or_b32_e32 v51, 0x3020100, v51
	v_and_b32_e32 v53, 0x4040404, v53
	s_waitcnt vmcnt(3)
	v_and_b32_e32 v54, 0x7070707, v40
	v_lshrrev_b32_e32 v55, 1, v40
	v_perm_b32 v50, v50, v62, v51
	v_perm_b32 v51, s17, v22, v52
	;; [unrolled: 1-line block ×3, first 2 shown]
	v_or_b32_e32 v53, 0x3020100, v53
	v_lshrrev_b32_e32 v57, 1, v41
	v_perm_b32 v51, v52, v51, v53
	v_perm_b32 v52, s17, v22, v54
	;; [unrolled: 1-line block ×3, first 2 shown]
	v_and_b32_e32 v54, 0x4040404, v55
	v_and_b32_e32 v56, 0x7070707, v41
	v_lshrrev_b32_e32 v49, 1, v42
	v_or_b32_e32 v54, 0x3020100, v54
	v_and_b32_e32 v55, 0x4040404, v57
	v_and_b32_e32 v61, 0x7070707, v42
	v_perm_b32 v52, v53, v52, v54
	v_perm_b32 v53, s17, v22, v56
	;; [unrolled: 1-line block ×3, first 2 shown]
	v_or_b32_e32 v55, 0x3020100, v55
	v_and_b32_e32 v49, 0x4040404, v49
	v_ashrrev_i32_e32 v36, 4, v36
	v_perm_b32 v53, v54, v53, v55
	v_perm_b32 v54, s17, v22, v61
	v_perm_b32 v55, s19, v23, v61
	v_or_b32_e32 v49, 0x3020100, v49
	v_perm_b32 v49, v55, v54, v49
	v_and_b32_e32 v54, 0x7070707, v36
	v_lshrrev_b32_e32 v36, 1, v36
	v_and_b32_e32 v36, 0x4040404, v36
	v_ashrrev_i32_e32 v37, 4, v37
	v_perm_b32 v55, s17, v22, v54
	v_perm_b32 v54, s19, v23, v54
	v_or_b32_e32 v36, 0x3020100, v36
	v_perm_b32 v36, v54, v55, v36
	v_and_b32_e32 v54, 0x7070707, v37
	v_lshrrev_b32_e32 v37, 1, v37
	v_and_b32_e32 v37, 0x4040404, v37
	v_ashrrev_i32_e32 v40, 4, v40
	v_perm_b32 v55, s17, v22, v54
	v_perm_b32 v54, s19, v23, v54
	;; [unrolled: 8-line block ×3, first 2 shown]
	v_or_b32_e32 v40, 0x3020100, v40
	v_perm_b32 v40, v54, v55, v40
	v_and_b32_e32 v54, 0x7070707, v41
	v_lshrrev_b32_e32 v41, 1, v41
	v_and_b32_e32 v41, 0x4040404, v41
	v_perm_b32 v55, s17, v22, v54
	v_perm_b32 v54, s19, v23, v54
	v_or_b32_e32 v41, 0x3020100, v41
	v_perm_b32 v41, v54, v55, v41
	v_dot4_i32_i8 v54, v48, v25, 0
	v_dot4_i32_i8 v25, v52, v25, 0
	v_dot4_i32_i8 v54, v36, v29, v54
	v_dot4_i32_i8 v25, v40, v29, v25
	v_dot4_i32_i8 v29, v50, v26, v54
	v_dot4_i32_i8 v25, v53, v26, v25
	v_dot4_i32_i8 v26, v37, v30, v29
	v_dot4_i32_i8 v25, v41, v30, v25
	v_dot4_i32_i8 v29, v51, v27, v26
	v_dot4_i32_i8 v30, v49, v27, v25
	v_cvt_f32_f16_e32 v54, v24
	global_load_dwordx4 v[24:27], v[44:45], off offset:16
	v_dot4_i32_i8 v55, v48, v33, 0
	v_dot4_i32_i8 v33, v52, v33, 0
	v_cvt_f32_f16_e32 v57, v32
	global_load_dword v61, v[44:45], off offset:32
	global_load_dword v62, v[46:47], off
	s_waitcnt vmcnt(2)
	v_dot4_i32_i8 v55, v36, v25, v55
	v_dot4_i32_i8 v25, v40, v25, v33
	;; [unrolled: 1-line block ×7, first 2 shown]
	v_mad_u64_u32 v[25:26], s[0:1], v20, 36, v[2:3]
	v_dot4_i32_i8 v55, v51, v35, v33
	v_cmp_le_u32_e64 s[0:1], s9, v15
	global_load_dwordx4 v[32:35], v[25:26], off
	global_load_dword v63, v[25:26], off offset:32
	global_load_dwordx4 v[44:47], v[25:26], off offset:16
	v_add_u32_e32 v20, 0x80, v20
	s_or_b64 s[12:13], s[0:1], s[12:13]
	s_waitcnt vmcnt(2)
	v_dot4_i32_i8 v48, v48, v33, 0
	v_dot4_i32_i8 v26, v52, v33, 0
	global_load_dword v33, v[4:5], off offset:16
	s_waitcnt vmcnt(1)
	v_dot4_i32_i8 v25, v36, v45, v48
	v_dot4_i32_i8 v26, v40, v45, v26
	v_dot4_i32_i8 v25, v50, v34, v25
	v_dot4_i32_i8 v26, v53, v34, v26
	v_dot4_i32_i8 v25, v37, v46, v25
	v_dot4_i32_i8 v26, v41, v46, v26
	v_dot4_i32_i8 v25, v51, v35, v25
	v_dot4_i32_i8 v26, v49, v35, v26
	v_lshrrev_b32_e32 v35, 1, v39
	v_and_b32_e32 v34, 0x7070707, v39
	v_ashrrev_i32_e32 v37, 4, v39
	v_lshrrev_b32_e32 v39, 1, v43
	v_and_b32_e32 v35, 0x4040404, v35
	v_ashrrev_i32_e32 v36, 4, v38
	v_and_b32_e32 v38, 0x7070707, v43
	v_perm_b32 v50, s17, v22, v34
	v_perm_b32 v34, s19, v23, v34
	v_or_b32_e32 v35, 0x3020100, v35
	v_and_b32_e32 v39, 0x4040404, v39
	v_ashrrev_i32_e32 v40, 4, v42
	v_perm_b32 v34, v34, v50, v35
	v_perm_b32 v35, s17, v22, v38
	;; [unrolled: 1-line block ×3, first 2 shown]
	v_and_b32_e32 v50, 0x7070707, v36
	v_lshrrev_b32_e32 v36, 1, v36
	v_or_b32_e32 v39, 0x3020100, v39
	v_lshrrev_b32_sdwa v42, v18, v62 dst_sel:DWORD dst_unused:UNUSED_PAD src0_sel:DWORD src1_sel:WORD_1
	v_perm_b32 v35, v38, v35, v39
	v_lshrrev_b32_e32 v39, 1, v40
	v_and_b32_e32 v36, 0x4040404, v36
	v_ashrrev_i32_e32 v41, 4, v43
	v_lshlrev_b32_e32 v42, 4, v42
	v_bfe_u32 v48, v60, v17, 4
	v_and_b32_e32 v38, 0x7070707, v40
	v_perm_b32 v40, s17, v22, v50
	v_perm_b32 v50, s19, v23, v50
	v_or_b32_e32 v36, 0x3020100, v36
	v_and_b32_e32 v39, 0x4040404, v39
	v_cvt_f32_f16_e32 v32, v32
	v_cvt_f32_f16_e32 v43, v62
	v_perm_b32 v36, v50, v40, v36
	v_and_b32_e32 v40, 0x7070707, v37
	v_lshrrev_b32_e32 v37, 1, v37
	v_and_b32_e32 v50, 0x7070707, v41
	v_lshrrev_b32_e32 v41, 1, v41
	v_and_or_b32 v42, v42, 48, v48
	v_perm_b32 v48, s17, v22, v38
	v_perm_b32 v38, s19, v23, v38
	v_or_b32_e32 v39, 0x3020100, v39
	v_lshrrev_b32_sdwa v45, v18, v59 dst_sel:DWORD dst_unused:UNUSED_PAD src0_sel:DWORD src1_sel:WORD_1
	v_perm_b32 v38, v38, v48, v39
	v_and_b32_e32 v37, 0x4040404, v37
	v_and_b32_e32 v41, 0x4040404, v41
	v_bfe_u32 v46, v58, v17, 4
	v_lshlrev_b32_e32 v45, 4, v45
	v_perm_b32 v39, s17, v22, v40
	v_perm_b32 v40, s19, v23, v40
	;; [unrolled: 1-line block ×4, first 2 shown]
	v_or_b32_e32 v37, 0x3020100, v37
	v_or_b32_e32 v41, 0x3020100, v41
	v_dot4_i32_i8 v29, v36, v31, v29
	v_dot4_i32_i8 v30, v38, v31, v30
	;; [unrolled: 1-line block ×6, first 2 shown]
	v_and_or_b32 v45, v45, 48, v46
	v_perm_b32 v37, v40, v39, v37
	v_perm_b32 v41, v50, v48, v41
	v_dot4_i32_i8 v29, v34, v28, v29
	v_dot4_i32_i8 v28, v35, v28, v30
	v_dot4_i32_i8 v30, v34, v24, v31
	v_dot4_i32_i8 v24, v35, v24, v27
	v_dot4_i32_i8 v25, v34, v44, v25
	v_dot4_i32_i8 v26, v35, v44, v26
	v_subrev_u32_e32 v42, 32, v42
	v_mul_f32_e32 v46, v43, v54
	v_mul_f32_e32 v39, v43, v57
	;; [unrolled: 1-line block ×3, first 2 shown]
	v_subrev_u32_e32 v43, 32, v45
	s_waitcnt vmcnt(0)
	v_dot4_i32_i8 v27, v37, v33, v29
	v_dot4_i32_i8 v28, v41, v33, v28
	;; [unrolled: 1-line block ×6, first 2 shown]
	v_mul_lo_u32 v27, v43, v27
	v_mul_lo_u32 v28, v42, v28
	;; [unrolled: 1-line block ×6, first 2 shown]
	v_cvt_f32_f16_e32 v49, v59
	v_cvt_f32_i32_e32 v27, v27
	v_cvt_f32_i32_e32 v28, v28
	;; [unrolled: 1-line block ×6, first 2 shown]
	v_add_co_u32_e32 v4, vcc, 0x1200, v4
	v_mul_f32_e32 v45, v49, v54
	v_mul_f32_e32 v48, v49, v57
	;; [unrolled: 1-line block ×3, first 2 shown]
	v_addc_co_u32_e32 v5, vcc, 0, v5, vcc
	v_fmac_f32_e32 v14, v45, v27
	v_fmac_f32_e32 v13, v46, v28
	;; [unrolled: 1-line block ×6, first 2 shown]
	s_andn2_b64 exec, exec, s[12:13]
	s_cbranch_execnz .LBB246_2
; %bb.3:
	s_or_b64 exec, exec, s[12:13]
.LBB246_4:
	s_or_b64 exec, exec, s[10:11]
	v_cmp_eq_u32_e32 vcc, 0, v1
	v_cmp_ne_u32_e64 s[0:1], 0, v1
	s_and_saveexec_b64 s[10:11], s[0:1]
	s_cbranch_execz .LBB246_6
; %bb.5:
	v_mul_u32_u24_e32 v1, 0x600, v1
	v_lshl_or_b32 v1, v0, 2, v1
	v_add_u32_e32 v1, 0xfffffa00, v1
	ds_write2st64_b32 v1, v14, v13 offset1:1
	ds_write2st64_b32 v1, v12, v11 offset0:2 offset1:3
	ds_write2st64_b32 v1, v10, v9 offset0:4 offset1:5
.LBB246_6:
	s_or_b64 exec, exec, s[10:11]
	s_waitcnt lgkmcnt(0)
	s_barrier
	s_and_saveexec_b64 s[0:1], vcc
	s_cbranch_execz .LBB246_13
; %bb.7:
	v_mbcnt_lo_u32_b32 v1, -1, 0
	v_mbcnt_hi_u32_b32 v6, -1, v1
	ds_read2st64_b32 v[4:5], v8 offset1:1
	v_and_b32_e32 v1, 64, v6
	v_add_u32_e32 v7, 64, v1
	v_xor_b32_e32 v1, 32, v6
	v_cmp_lt_i32_e32 vcc, v1, v7
	v_cndmask_b32_e32 v1, v6, v1, vcc
	v_lshlrev_b32_e32 v1, 2, v1
	s_waitcnt lgkmcnt(0)
	v_add_f32_e32 v14, v4, v14
	v_add_f32_e32 v5, v5, v13
	ds_bpermute_b32 v16, v1, v14
	ds_bpermute_b32 v13, v1, v5
	v_xor_b32_e32 v2, 16, v6
	v_cmp_lt_i32_e32 vcc, v2, v7
	v_cndmask_b32_e32 v2, v6, v2, vcc
	v_lshlrev_b32_e32 v2, 2, v2
	s_waitcnt lgkmcnt(1)
	v_add_f32_e32 v14, v14, v16
	s_waitcnt lgkmcnt(0)
	v_add_f32_e32 v5, v5, v13
	ds_bpermute_b32 v16, v2, v14
	ds_bpermute_b32 v13, v2, v5
	v_xor_b32_e32 v3, 8, v6
	v_cmp_lt_i32_e32 vcc, v3, v7
	v_cndmask_b32_e32 v3, v6, v3, vcc
	v_lshlrev_b32_e32 v3, 2, v3
	s_waitcnt lgkmcnt(1)
	v_add_f32_e32 v14, v14, v16
	s_waitcnt lgkmcnt(0)
	;; [unrolled: 10-line block ×3, first 2 shown]
	v_add_f32_e32 v13, v13, v17
	v_xor_b32_e32 v15, 2, v6
	ds_bpermute_b32 v16, v4, v14
	ds_bpermute_b32 v17, v4, v13
	v_cmp_lt_i32_e32 vcc, v15, v7
	v_cndmask_b32_e32 v15, v6, v15, vcc
	v_lshlrev_b32_e32 v5, 2, v15
	v_xor_b32_e32 v15, 1, v6
	v_cmp_lt_i32_e32 vcc, v15, v7
	v_cndmask_b32_e32 v6, v6, v15, vcc
	s_waitcnt lgkmcnt(1)
	v_add_f32_e32 v7, v14, v16
	s_waitcnt lgkmcnt(0)
	v_add_f32_e32 v15, v13, v17
	ds_bpermute_b32 v14, v5, v7
	ds_bpermute_b32 v16, v5, v15
	s_load_dwordx2 s[0:1], s[4:5], 0x38
	s_mul_i32 s4, s14, s7
	v_lshlrev_b32_e32 v13, 2, v6
	s_waitcnt lgkmcnt(0)
	v_add_f32_e32 v6, v7, v14
	v_add_f32_e32 v14, v15, v16
	s_mul_i32 s3, s18, s8
	s_add_i32 s4, s4, s6
	ds_bpermute_b32 v7, v13, v6
	ds_bpermute_b32 v15, v13, v14
	s_add_i32 s4, s4, s3
	s_mov_b32 s5, 0
	s_lshl_b64 s[4:5], s[4:5], 2
	s_add_u32 s4, s0, s4
	v_add_u32_e32 v16, s6, v0
	s_addc_u32 s5, s1, s5
	v_cmp_gt_u32_e32 vcc, 2, v0
	v_cmp_gt_u32_e64 s[0:1], s2, v16
	s_and_b64 s[0:1], vcc, s[0:1]
	s_waitcnt lgkmcnt(1)
	v_add_f32_e32 v6, v6, v7
	s_waitcnt lgkmcnt(0)
	v_add_f32_e32 v7, v14, v15
	s_and_saveexec_b64 s[6:7], s[0:1]
	s_cbranch_execz .LBB246_9
; %bb.8:
	v_cmp_eq_u32_e32 vcc, 1, v0
	v_cndmask_b32_e32 v14, v6, v7, vcc
	v_cmp_eq_u32_e32 vcc, 2, v0
	v_cndmask_b32_e32 v14, v14, v12, vcc
	;; [unrolled: 2-line block ×5, first 2 shown]
	global_store_dword v8, v14, s[4:5]
.LBB246_9:
	s_or_b64 exec, exec, s[6:7]
	ds_read2st64_b32 v[14:15], v8 offset0:2 offset1:3
	s_waitcnt lgkmcnt(0)
	v_add_f32_e32 v12, v14, v12
	v_add_f32_e32 v11, v15, v11
	ds_bpermute_b32 v14, v1, v12
	ds_bpermute_b32 v15, v1, v11
	s_waitcnt lgkmcnt(1)
	v_add_f32_e32 v12, v12, v14
	s_waitcnt lgkmcnt(0)
	v_add_f32_e32 v11, v11, v15
	ds_bpermute_b32 v14, v2, v12
	ds_bpermute_b32 v15, v2, v11
	s_waitcnt lgkmcnt(1)
	v_add_f32_e32 v12, v12, v14
	s_waitcnt lgkmcnt(0)
	;; [unrolled: 6-line block ×6, first 2 shown]
	v_add_f32_e32 v11, v11, v15
	s_and_saveexec_b64 s[6:7], s[0:1]
	s_cbranch_execz .LBB246_11
; %bb.10:
	v_add_u32_e32 v14, 2, v0
	v_cmp_eq_u32_e32 vcc, 1, v14
	v_cndmask_b32_e32 v15, v6, v7, vcc
	v_cmp_eq_u32_e32 vcc, 2, v14
	v_cndmask_b32_e32 v15, v15, v12, vcc
	;; [unrolled: 2-line block ×5, first 2 shown]
	v_add_u32_e32 v14, s2, v0
	v_mov_b32_e32 v15, 0
	v_lshlrev_b64 v[14:15], 2, v[14:15]
	v_mov_b32_e32 v17, s5
	v_add_co_u32_e32 v14, vcc, s4, v14
	v_addc_co_u32_e32 v15, vcc, v17, v15, vcc
	global_store_dword v[14:15], v16, off
.LBB246_11:
	s_or_b64 exec, exec, s[6:7]
	ds_read2st64_b32 v[14:15], v8 offset0:4 offset1:5
	s_waitcnt lgkmcnt(0)
	v_add_f32_e32 v8, v14, v10
	v_add_f32_e32 v9, v15, v9
	ds_bpermute_b32 v10, v1, v8
	ds_bpermute_b32 v1, v1, v9
	s_waitcnt lgkmcnt(1)
	v_add_f32_e32 v8, v8, v10
	s_waitcnt lgkmcnt(0)
	v_add_f32_e32 v1, v9, v1
	ds_bpermute_b32 v9, v2, v8
	ds_bpermute_b32 v2, v2, v1
	s_waitcnt lgkmcnt(1)
	v_add_f32_e32 v8, v8, v9
	s_waitcnt lgkmcnt(0)
	;; [unrolled: 6-line block ×5, first 2 shown]
	v_add_f32_e32 v2, v3, v4
	ds_bpermute_b32 v3, v13, v1
	ds_bpermute_b32 v4, v13, v2
	s_and_b64 exec, exec, s[0:1]
	s_cbranch_execz .LBB246_13
; %bb.12:
	s_waitcnt lgkmcnt(1)
	v_add_f32_e32 v1, v1, v3
	v_add_u32_e32 v3, 4, v0
	v_cmp_eq_u32_e32 vcc, 1, v3
	s_waitcnt lgkmcnt(0)
	v_add_f32_e32 v2, v2, v4
	v_cndmask_b32_e32 v4, v6, v7, vcc
	v_cmp_eq_u32_e32 vcc, 2, v3
	v_cndmask_b32_e32 v4, v4, v12, vcc
	v_cmp_eq_u32_e32 vcc, 3, v3
	;; [unrolled: 2-line block ×4, first 2 shown]
	v_cndmask_b32_e32 v2, v1, v2, vcc
	v_lshl_or_b32 v0, s2, 1, v0
	v_mov_b32_e32 v1, 0
	v_lshlrev_b64 v[0:1], 2, v[0:1]
	v_mov_b32_e32 v3, s5
	v_add_co_u32_e32 v0, vcc, s4, v0
	v_addc_co_u32_e32 v1, vcc, v3, v1, vcc
	global_store_dword v[0:1], v2, off
.LBB246_13:
	s_endpgm
	.section	.rodata,"a",@progbits
	.p2align	6, 0x0
	.amdhsa_kernel _ZL13mul_mat_vec_qIL9ggml_type23ELi3ELb0ELb0EEvPKvS2_PKi31ggml_cuda_mm_fusion_args_devicePfj15HIP_vector_typeIjLj3EEjjjS8_jjjS8_jjjj
		.amdhsa_group_segment_fixed_size 1536
		.amdhsa_private_segment_fixed_size 0
		.amdhsa_kernarg_size 144
		.amdhsa_user_sgpr_count 6
		.amdhsa_user_sgpr_private_segment_buffer 1
		.amdhsa_user_sgpr_dispatch_ptr 0
		.amdhsa_user_sgpr_queue_ptr 0
		.amdhsa_user_sgpr_kernarg_segment_ptr 1
		.amdhsa_user_sgpr_dispatch_id 0
		.amdhsa_user_sgpr_flat_scratch_init 0
		.amdhsa_user_sgpr_private_segment_size 0
		.amdhsa_uses_dynamic_stack 0
		.amdhsa_system_sgpr_private_segment_wavefront_offset 0
		.amdhsa_system_sgpr_workgroup_id_x 1
		.amdhsa_system_sgpr_workgroup_id_y 1
		.amdhsa_system_sgpr_workgroup_id_z 1
		.amdhsa_system_sgpr_workgroup_info 0
		.amdhsa_system_vgpr_workitem_id 1
		.amdhsa_next_free_vgpr 64
		.amdhsa_next_free_sgpr 26
		.amdhsa_reserve_vcc 1
		.amdhsa_reserve_flat_scratch 0
		.amdhsa_float_round_mode_32 0
		.amdhsa_float_round_mode_16_64 0
		.amdhsa_float_denorm_mode_32 3
		.amdhsa_float_denorm_mode_16_64 3
		.amdhsa_dx10_clamp 1
		.amdhsa_ieee_mode 1
		.amdhsa_fp16_overflow 0
		.amdhsa_exception_fp_ieee_invalid_op 0
		.amdhsa_exception_fp_denorm_src 0
		.amdhsa_exception_fp_ieee_div_zero 0
		.amdhsa_exception_fp_ieee_overflow 0
		.amdhsa_exception_fp_ieee_underflow 0
		.amdhsa_exception_fp_ieee_inexact 0
		.amdhsa_exception_int_div_zero 0
	.end_amdhsa_kernel
	.section	.text._ZL13mul_mat_vec_qIL9ggml_type23ELi3ELb0ELb0EEvPKvS2_PKi31ggml_cuda_mm_fusion_args_devicePfj15HIP_vector_typeIjLj3EEjjjS8_jjjS8_jjjj,"axG",@progbits,_ZL13mul_mat_vec_qIL9ggml_type23ELi3ELb0ELb0EEvPKvS2_PKi31ggml_cuda_mm_fusion_args_devicePfj15HIP_vector_typeIjLj3EEjjjS8_jjjS8_jjjj,comdat
.Lfunc_end246:
	.size	_ZL13mul_mat_vec_qIL9ggml_type23ELi3ELb0ELb0EEvPKvS2_PKi31ggml_cuda_mm_fusion_args_devicePfj15HIP_vector_typeIjLj3EEjjjS8_jjjS8_jjjj, .Lfunc_end246-_ZL13mul_mat_vec_qIL9ggml_type23ELi3ELb0ELb0EEvPKvS2_PKi31ggml_cuda_mm_fusion_args_devicePfj15HIP_vector_typeIjLj3EEjjjS8_jjjS8_jjjj
                                        ; -- End function
	.set _ZL13mul_mat_vec_qIL9ggml_type23ELi3ELb0ELb0EEvPKvS2_PKi31ggml_cuda_mm_fusion_args_devicePfj15HIP_vector_typeIjLj3EEjjjS8_jjjS8_jjjj.num_vgpr, 64
	.set _ZL13mul_mat_vec_qIL9ggml_type23ELi3ELb0ELb0EEvPKvS2_PKi31ggml_cuda_mm_fusion_args_devicePfj15HIP_vector_typeIjLj3EEjjjS8_jjjS8_jjjj.num_agpr, 0
	.set _ZL13mul_mat_vec_qIL9ggml_type23ELi3ELb0ELb0EEvPKvS2_PKi31ggml_cuda_mm_fusion_args_devicePfj15HIP_vector_typeIjLj3EEjjjS8_jjjS8_jjjj.numbered_sgpr, 26
	.set _ZL13mul_mat_vec_qIL9ggml_type23ELi3ELb0ELb0EEvPKvS2_PKi31ggml_cuda_mm_fusion_args_devicePfj15HIP_vector_typeIjLj3EEjjjS8_jjjS8_jjjj.num_named_barrier, 0
	.set _ZL13mul_mat_vec_qIL9ggml_type23ELi3ELb0ELb0EEvPKvS2_PKi31ggml_cuda_mm_fusion_args_devicePfj15HIP_vector_typeIjLj3EEjjjS8_jjjS8_jjjj.private_seg_size, 0
	.set _ZL13mul_mat_vec_qIL9ggml_type23ELi3ELb0ELb0EEvPKvS2_PKi31ggml_cuda_mm_fusion_args_devicePfj15HIP_vector_typeIjLj3EEjjjS8_jjjS8_jjjj.uses_vcc, 1
	.set _ZL13mul_mat_vec_qIL9ggml_type23ELi3ELb0ELb0EEvPKvS2_PKi31ggml_cuda_mm_fusion_args_devicePfj15HIP_vector_typeIjLj3EEjjjS8_jjjS8_jjjj.uses_flat_scratch, 0
	.set _ZL13mul_mat_vec_qIL9ggml_type23ELi3ELb0ELb0EEvPKvS2_PKi31ggml_cuda_mm_fusion_args_devicePfj15HIP_vector_typeIjLj3EEjjjS8_jjjS8_jjjj.has_dyn_sized_stack, 0
	.set _ZL13mul_mat_vec_qIL9ggml_type23ELi3ELb0ELb0EEvPKvS2_PKi31ggml_cuda_mm_fusion_args_devicePfj15HIP_vector_typeIjLj3EEjjjS8_jjjS8_jjjj.has_recursion, 0
	.set _ZL13mul_mat_vec_qIL9ggml_type23ELi3ELb0ELb0EEvPKvS2_PKi31ggml_cuda_mm_fusion_args_devicePfj15HIP_vector_typeIjLj3EEjjjS8_jjjS8_jjjj.has_indirect_call, 0
	.section	.AMDGPU.csdata,"",@progbits
; Kernel info:
; codeLenInByte = 3276
; TotalNumSgprs: 30
; NumVgprs: 64
; ScratchSize: 0
; MemoryBound: 0
; FloatMode: 240
; IeeeMode: 1
; LDSByteSize: 1536 bytes/workgroup (compile time only)
; SGPRBlocks: 3
; VGPRBlocks: 15
; NumSGPRsForWavesPerEU: 30
; NumVGPRsForWavesPerEU: 64
; Occupancy: 4
; WaveLimiterHint : 0
; COMPUTE_PGM_RSRC2:SCRATCH_EN: 0
; COMPUTE_PGM_RSRC2:USER_SGPR: 6
; COMPUTE_PGM_RSRC2:TRAP_HANDLER: 0
; COMPUTE_PGM_RSRC2:TGID_X_EN: 1
; COMPUTE_PGM_RSRC2:TGID_Y_EN: 1
; COMPUTE_PGM_RSRC2:TGID_Z_EN: 1
; COMPUTE_PGM_RSRC2:TIDIG_COMP_CNT: 1
	.section	.text._ZL13mul_mat_vec_qIL9ggml_type23ELi4ELb0ELb0EEvPKvS2_PKi31ggml_cuda_mm_fusion_args_devicePfj15HIP_vector_typeIjLj3EEjjjS8_jjjS8_jjjj,"axG",@progbits,_ZL13mul_mat_vec_qIL9ggml_type23ELi4ELb0ELb0EEvPKvS2_PKi31ggml_cuda_mm_fusion_args_devicePfj15HIP_vector_typeIjLj3EEjjjS8_jjjS8_jjjj,comdat
	.globl	_ZL13mul_mat_vec_qIL9ggml_type23ELi4ELb0ELb0EEvPKvS2_PKi31ggml_cuda_mm_fusion_args_devicePfj15HIP_vector_typeIjLj3EEjjjS8_jjjS8_jjjj ; -- Begin function _ZL13mul_mat_vec_qIL9ggml_type23ELi4ELb0ELb0EEvPKvS2_PKi31ggml_cuda_mm_fusion_args_devicePfj15HIP_vector_typeIjLj3EEjjjS8_jjjS8_jjjj
	.p2align	8
	.type	_ZL13mul_mat_vec_qIL9ggml_type23ELi4ELb0ELb0EEvPKvS2_PKi31ggml_cuda_mm_fusion_args_devicePfj15HIP_vector_typeIjLj3EEjjjS8_jjjS8_jjjj,@function
_ZL13mul_mat_vec_qIL9ggml_type23ELi4ELb0ELb0EEvPKvS2_PKi31ggml_cuda_mm_fusion_args_devicePfj15HIP_vector_typeIjLj3EEjjjS8_jjjS8_jjjj: ; @_ZL13mul_mat_vec_qIL9ggml_type23ELi4ELb0ELb0EEvPKvS2_PKi31ggml_cuda_mm_fusion_args_devicePfj15HIP_vector_typeIjLj3EEjjjS8_jjjS8_jjjj
; %bb.0:
	s_load_dword s9, s[4:5], 0x40
	s_load_dwordx4 s[0:3], s[4:5], 0x50
	s_load_dword s25, s[4:5], 0x60
	s_load_dwordx4 s[12:15], s[4:5], 0x68
	s_load_dword s24, s[4:5], 0x78
	s_load_dwordx4 s[16:19], s[4:5], 0x80
	v_lshl_add_u32 v2, v1, 6, v0
	s_waitcnt lgkmcnt(0)
	s_lshr_b32 s9, s9, 8
	v_lshrrev_b32_e32 v18, 3, v2
	v_mov_b32_e32 v12, 0
	s_lshl_b32 s6, s6, 1
	v_cmp_gt_u32_e32 vcc, s9, v18
	v_lshlrev_b32_e32 v9, 2, v0
	v_mov_b32_e32 v13, v12
	v_mov_b32_e32 v14, v12
	;; [unrolled: 1-line block ×7, first 2 shown]
	s_and_saveexec_b64 s[10:11], vcc
	s_cbranch_execz .LBB247_4
; %bb.1:
	s_mul_hi_u32 s3, s3, s7
	s_add_i32 s3, s7, s3
	s_load_dwordx4 s[20:23], s[4:5], 0x0
	s_lshr_b32 s3, s3, s25
	s_mul_i32 s3, s3, s12
	s_mul_hi_u32 s12, s15, s8
	s_add_i32 s12, s8, s12
	s_lshr_b32 s12, s12, s24
	s_mul_i32 s19, s17, s8
	s_mul_i32 s15, s12, s16
	;; [unrolled: 1-line block ×3, first 2 shown]
	s_mul_hi_u32 s12, s19, 36
	s_waitcnt lgkmcnt(0)
	s_add_u32 s24, s22, s16
	s_addc_u32 s25, s23, s12
	s_mul_i32 s12, s13, s7
	s_mul_i32 s16, s12, 36
	s_mul_hi_u32 s17, s12, 36
	s_add_u32 s12, s24, s16
	s_addc_u32 s13, s25, s17
	v_and_b32_e32 v12, 7, v0
	v_mad_u64_u32 v[2:3], s[12:13], v12, 36, s[12:13]
	s_add_i32 s12, s6, 1
	s_add_i32 s15, s15, s3
	s_mul_i32 s3, s6, s0
	s_mul_i32 s0, s0, s12
	v_mov_b32_e32 v4, s16
	s_add_i32 s12, s15, s0
	s_movk_i32 s0, 0x120
	v_mov_b32_e32 v5, s17
	v_mad_u64_u32 v[4:5], s[16:17], v18, s0, v[4:5]
	v_lshlrev_b32_e32 v6, 3, v18
	v_add_u32_e32 v22, s1, v6
	v_mad_u64_u32 v[7:8], s[16:17], s19, 36, v[4:5]
	v_lshl_add_u32 v23, s1, 1, v6
	v_and_b32_e32 v11, 28, v9
	v_mad_u64_u32 v[4:5], s[16:17], s1, 3, v[6:7]
	v_mad_u64_u32 v[7:8], s[16:17], v12, 36, v[7:8]
	v_mov_b32_e32 v5, s23
	v_mov_b32_e32 v10, 0
	v_add_co_u32_e32 v6, vcc, s22, v7
	v_addc_co_u32_e32 v7, vcc, v5, v8, vcc
	v_add_co_u32_e32 v5, vcc, 16, v6
	v_addc_co_u32_e32 v6, vcc, 0, v7, vcc
	v_mov_b32_e32 v7, s20
	v_bfe_u32 v19, v9, 3, 2
	v_and_b32_e32 v20, 4, v9
	v_lshrrev_b32_e32 v21, 1, v11
	s_add_i32 s3, s15, s3
	s_mov_b64 s[0:1], 0
	s_movk_i32 s13, 0x88
	v_lshlrev_b32_e32 v24, 2, v11
	s_mov_b32 s15, 0xf6eaddcf
	s_mov_b32 s16, 0x71594535
	v_mov_b32_e32 v8, s21
	v_mov_b32_e32 v25, 0xbfad9881
	;; [unrolled: 1-line block ×10, first 2 shown]
.LBB247_2:                              ; =>This Inner Loop Header: Depth=1
	v_add_u32_e32 v27, s3, v18
	v_mad_i64_i32 v[35:36], s[20:21], v27, s13, v[7:8]
	global_load_dword v56, v[5:6], off offset:16
	global_load_dwordx4 v[48:51], v[5:6], off
	global_load_dwordx4 v[40:43], v[5:6], off offset:-16
	v_add_co_u32_e32 v27, vcc, v35, v24
	v_addc_co_u32_e32 v28, vcc, 0, v36, vcc
	global_load_dwordx4 v[30:33], v[27:28], off offset:8
	s_waitcnt vmcnt(1)
	v_cvt_f32_f16_e32 v47, v40
	s_waitcnt vmcnt(0)
	v_ashrrev_i32_e32 v28, 4, v30
	v_and_b32_e32 v27, 0x7070707, v30
	v_lshrrev_b32_e32 v30, 1, v30
	v_and_b32_e32 v34, 0x7070707, v28
	v_and_b32_e32 v30, 0x4040404, v30
	v_lshrrev_b32_e32 v28, 1, v28
	v_perm_b32 v29, s15, v25, v27
	v_perm_b32 v27, s16, v26, v27
	v_or_b32_e32 v30, 0x3020100, v30
	v_and_b32_e32 v28, 0x4040404, v28
	v_perm_b32 v37, s15, v25, v34
	v_perm_b32 v34, s16, v26, v34
	;; [unrolled: 1-line block ×3, first 2 shown]
	v_or_b32_e32 v28, 0x3020100, v28
	v_perm_b32 v28, v34, v37, v28
	v_dot4_i32_i8 v29, v27, v41, 0
	v_dot4_i32_i8 v34, v28, v49, v29
	v_ashrrev_i32_e32 v30, 4, v31
	v_and_b32_e32 v29, 0x7070707, v31
	v_lshrrev_b32_e32 v31, 1, v31
	v_and_b32_e32 v38, 0x7070707, v30
	v_and_b32_e32 v31, 0x4040404, v31
	v_lshrrev_b32_e32 v30, 1, v30
	v_perm_b32 v37, s15, v25, v29
	v_perm_b32 v29, s16, v26, v29
	v_or_b32_e32 v31, 0x3020100, v31
	v_and_b32_e32 v30, 0x4040404, v30
	v_perm_b32 v39, s15, v25, v38
	v_perm_b32 v38, s16, v26, v38
	;; [unrolled: 1-line block ×3, first 2 shown]
	v_or_b32_e32 v30, 0x3020100, v30
	v_perm_b32 v30, v38, v39, v30
	v_dot4_i32_i8 v31, v29, v42, v34
	v_dot4_i32_i8 v34, v30, v50, v31
	v_ashrrev_i32_e32 v37, 4, v32
	v_and_b32_e32 v31, 0x7070707, v32
	v_lshrrev_b32_e32 v32, 1, v32
	v_and_b32_e32 v32, 0x4040404, v32
	v_perm_b32 v38, s15, v25, v31
	v_perm_b32 v31, s16, v26, v31
	v_or_b32_e32 v32, 0x3020100, v32
	v_perm_b32 v31, v31, v38, v32
	v_lshrrev_b32_e32 v32, 1, v37
	v_and_b32_e32 v39, 0x7070707, v37
	v_and_b32_e32 v32, 0x4040404, v32
	v_perm_b32 v40, s15, v25, v39
	v_perm_b32 v39, s16, v26, v39
	v_or_b32_e32 v32, 0x3020100, v32
	v_perm_b32 v32, v39, v40, v32
	v_dot4_i32_i8 v34, v31, v43, v34
	v_dot4_i32_i8 v37, v32, v51, v34
	v_ashrrev_i32_e32 v34, 4, v33
	v_and_b32_e32 v38, 0x7070707, v33
	v_lshrrev_b32_e32 v33, 1, v33
	v_and_b32_e32 v40, 0x7070707, v34
	v_and_b32_e32 v33, 0x4040404, v33
	v_lshrrev_b32_e32 v34, 1, v34
	v_perm_b32 v39, s15, v25, v38
	v_perm_b32 v38, s16, v26, v38
	v_or_b32_e32 v33, 0x3020100, v33
	v_and_b32_e32 v34, 0x4040404, v34
	v_perm_b32 v44, s15, v25, v40
	v_perm_b32 v40, s16, v26, v40
	;; [unrolled: 1-line block ×3, first 2 shown]
	v_or_b32_e32 v34, 0x3020100, v34
	v_perm_b32 v34, v40, v44, v34
	v_dot4_i32_i8 v37, v33, v48, v37
	v_dot4_i32_i8 v39, v34, v56, v37
	v_add_co_u32_e32 v37, vcc, v35, v19
	v_addc_co_u32_e32 v38, vcc, 0, v36, vcc
	global_load_ubyte v37, v[37:38], off offset:4
	s_nop 0
	global_load_dword v36, v[35:36], off
	s_waitcnt vmcnt(1)
	v_bfe_u32 v37, v37, v20, 4
	s_waitcnt vmcnt(0)
	v_lshrrev_b32_sdwa v35, v21, v36 dst_sel:DWORD dst_unused:UNUSED_PAD src0_sel:DWORD src1_sel:WORD_1
	v_lshlrev_b32_e32 v35, 4, v35
	v_and_or_b32 v35, v35, 48, v37
	v_subrev_u32_e32 v35, 32, v35
	v_mul_lo_u32 v37, v35, v39
	v_cvt_f32_f16_e32 v36, v36
	v_cvt_f32_i32_e32 v37, v37
	v_mul_f32_e32 v38, v36, v47
	v_fmac_f32_e32 v17, v38, v37
	v_add_u32_e32 v37, s12, v18
	v_mad_i64_i32 v[45:46], s[20:21], v37, s13, v[7:8]
	v_add_u32_e32 v18, 16, v18
	v_add_co_u32_e32 v37, vcc, v45, v24
	v_addc_co_u32_e32 v38, vcc, 0, v46, vcc
	global_load_dwordx4 v[52:55], v[37:38], off offset:8
	s_waitcnt vmcnt(0)
	v_ashrrev_i32_e32 v38, 4, v52
	v_and_b32_e32 v37, 0x7070707, v52
	v_lshrrev_b32_e32 v52, 1, v52
	v_and_b32_e32 v40, 0x7070707, v38
	v_and_b32_e32 v52, 0x4040404, v52
	v_lshrrev_b32_e32 v38, 1, v38
	v_perm_b32 v39, s15, v25, v37
	v_perm_b32 v37, s16, v26, v37
	v_or_b32_e32 v52, 0x3020100, v52
	v_and_b32_e32 v38, 0x4040404, v38
	v_perm_b32 v44, s15, v25, v40
	v_perm_b32 v40, s16, v26, v40
	;; [unrolled: 1-line block ×3, first 2 shown]
	v_or_b32_e32 v38, 0x3020100, v38
	v_perm_b32 v38, v40, v44, v38
	v_dot4_i32_i8 v39, v37, v41, 0
	v_dot4_i32_i8 v41, v38, v49, v39
	v_ashrrev_i32_e32 v40, 4, v53
	v_and_b32_e32 v39, 0x7070707, v53
	v_lshrrev_b32_e32 v53, 1, v53
	v_and_b32_e32 v49, 0x7070707, v40
	v_and_b32_e32 v53, 0x4040404, v53
	v_lshrrev_b32_e32 v40, 1, v40
	v_perm_b32 v44, s15, v25, v39
	v_perm_b32 v39, s16, v26, v39
	v_or_b32_e32 v53, 0x3020100, v53
	v_and_b32_e32 v40, 0x4040404, v40
	v_perm_b32 v52, s15, v25, v49
	v_perm_b32 v49, s16, v26, v49
	;; [unrolled: 1-line block ×3, first 2 shown]
	v_or_b32_e32 v40, 0x3020100, v40
	v_perm_b32 v40, v49, v52, v40
	v_dot4_i32_i8 v41, v39, v42, v41
	v_ashrrev_i32_e32 v42, 4, v54
	v_lshrrev_b32_e32 v53, 1, v54
	v_dot4_i32_i8 v44, v40, v50, v41
	v_and_b32_e32 v41, 0x7070707, v54
	v_and_b32_e32 v50, 0x7070707, v42
	v_and_b32_e32 v53, 0x4040404, v53
	v_lshrrev_b32_e32 v42, 1, v42
	v_perm_b32 v49, s15, v25, v41
	v_perm_b32 v41, s16, v26, v41
	v_or_b32_e32 v53, 0x3020100, v53
	v_and_b32_e32 v42, 0x4040404, v42
	v_perm_b32 v52, s15, v25, v50
	v_perm_b32 v50, s16, v26, v50
	;; [unrolled: 1-line block ×3, first 2 shown]
	v_or_b32_e32 v42, 0x3020100, v42
	v_perm_b32 v42, v50, v52, v42
	v_dot4_i32_i8 v43, v41, v43, v44
	v_ashrrev_i32_e32 v44, 4, v55
	v_lshrrev_b32_e32 v53, 1, v55
	v_dot4_i32_i8 v49, v42, v51, v43
	v_and_b32_e32 v43, 0x7070707, v55
	v_and_b32_e32 v51, 0x7070707, v44
	;; [unrolled: 1-line block ×3, first 2 shown]
	v_lshrrev_b32_e32 v44, 1, v44
	v_perm_b32 v50, s15, v25, v43
	v_perm_b32 v43, s16, v26, v43
	v_or_b32_e32 v53, 0x3020100, v53
	v_and_b32_e32 v44, 0x4040404, v44
	v_perm_b32 v52, s15, v25, v51
	v_perm_b32 v51, s16, v26, v51
	;; [unrolled: 1-line block ×3, first 2 shown]
	v_or_b32_e32 v44, 0x3020100, v44
	v_perm_b32 v44, v51, v52, v44
	v_dot4_i32_i8 v48, v43, v48, v49
	v_dot4_i32_i8 v50, v44, v56, v48
	v_add_co_u32_e32 v48, vcc, v45, v19
	v_addc_co_u32_e32 v49, vcc, 0, v46, vcc
	global_load_ubyte v48, v[48:49], off offset:4
	v_mad_u64_u32 v[55:56], s[20:21], v22, 36, v[2:3]
	global_load_dword v45, v[45:46], off
	v_add_co_u32_e32 v5, vcc, 0x1200, v5
	v_addc_co_u32_e32 v6, vcc, 0, v6, vcc
	v_cmp_le_u32_e32 vcc, s9, v18
	v_add_u32_e32 v22, 0x80, v22
	s_or_b64 s[0:1], vcc, s[0:1]
	s_waitcnt vmcnt(1)
	v_bfe_u32 v48, v48, v20, 4
	s_waitcnt vmcnt(0)
	v_lshrrev_b32_sdwa v46, v21, v45 dst_sel:DWORD dst_unused:UNUSED_PAD src0_sel:DWORD src1_sel:WORD_1
	v_lshlrev_b32_e32 v46, 4, v46
	v_and_or_b32 v46, v46, 48, v48
	v_subrev_u32_e32 v46, 32, v46
	v_mul_lo_u32 v48, v46, v50
	v_cvt_f32_f16_e32 v45, v45
	v_cvt_f32_i32_e32 v48, v48
	v_mul_f32_e32 v47, v45, v47
	v_fmac_f32_e32 v16, v47, v48
	global_load_dword v57, v[55:56], off offset:32
	global_load_dwordx4 v[47:50], v[55:56], off offset:16
	global_load_dwordx4 v[51:54], v[55:56], off
	s_waitcnt vmcnt(0)
	v_dot4_i32_i8 v55, v27, v52, 0
	v_dot4_i32_i8 v55, v28, v48, v55
	;; [unrolled: 1-line block ×12, first 2 shown]
	v_mul_lo_u32 v55, v35, v55
	v_dot4_i32_i8 v48, v41, v54, v48
	v_dot4_i32_i8 v48, v42, v50, v48
	;; [unrolled: 1-line block ×3, first 2 shown]
	v_cvt_f32_f16_e32 v51, v51
	v_dot4_i32_i8 v47, v44, v57, v47
	v_cvt_f32_i32_e32 v55, v55
	v_mul_lo_u32 v47, v46, v47
	v_mul_f32_e32 v56, v36, v51
	v_mul_f32_e32 v48, v45, v51
	v_fmac_f32_e32 v15, v56, v55
	v_cvt_f32_i32_e32 v47, v47
	v_mad_u64_u32 v[55:56], s[20:21], v23, 36, v[2:3]
	v_add_u32_e32 v23, 0x80, v23
	v_fmac_f32_e32 v14, v48, v47
	global_load_dword v57, v[55:56], off offset:32
	global_load_dwordx4 v[47:50], v[55:56], off offset:16
	global_load_dwordx4 v[51:54], v[55:56], off
	s_waitcnt vmcnt(0)
	v_dot4_i32_i8 v55, v27, v52, 0
	v_dot4_i32_i8 v55, v28, v48, v55
	;; [unrolled: 1-line block ×12, first 2 shown]
	v_mul_lo_u32 v55, v35, v55
	v_dot4_i32_i8 v48, v41, v54, v48
	v_dot4_i32_i8 v48, v42, v50, v48
	;; [unrolled: 1-line block ×3, first 2 shown]
	v_cvt_f32_f16_e32 v51, v51
	v_dot4_i32_i8 v47, v44, v57, v47
	v_cvt_f32_i32_e32 v55, v55
	v_mul_lo_u32 v47, v46, v47
	v_mul_f32_e32 v56, v36, v51
	v_mul_f32_e32 v48, v45, v51
	v_fmac_f32_e32 v13, v56, v55
	v_cvt_f32_i32_e32 v47, v47
	v_mad_u64_u32 v[55:56], s[20:21], v4, 36, v[2:3]
	v_add_u32_e32 v4, 0x80, v4
	v_fmac_f32_e32 v12, v48, v47
	global_load_dword v57, v[55:56], off offset:32
	global_load_dwordx4 v[47:50], v[55:56], off offset:16
	global_load_dwordx4 v[51:54], v[55:56], off
	s_waitcnt vmcnt(0)
	v_dot4_i32_i8 v27, v27, v52, 0
	v_dot4_i32_i8 v27, v28, v48, v27
	;; [unrolled: 1-line block ×8, first 2 shown]
	v_mul_lo_u32 v27, v35, v27
	v_cvt_f32_f16_e32 v51, v51
	v_cvt_f32_i32_e32 v27, v27
	v_mul_f32_e32 v28, v36, v51
	v_fmac_f32_e32 v11, v28, v27
	v_dot4_i32_i8 v27, v37, v52, 0
	v_dot4_i32_i8 v27, v38, v48, v27
	;; [unrolled: 1-line block ×8, first 2 shown]
	v_mul_lo_u32 v27, v46, v27
	v_mul_f32_e32 v28, v45, v51
	v_cvt_f32_i32_e32 v27, v27
	v_fmac_f32_e32 v10, v28, v27
	s_andn2_b64 exec, exec, s[0:1]
	s_cbranch_execnz .LBB247_2
; %bb.3:
	s_or_b64 exec, exec, s[0:1]
.LBB247_4:
	s_or_b64 exec, exec, s[10:11]
	v_cmp_eq_u32_e32 vcc, 0, v1
	v_cmp_ne_u32_e64 s[0:1], 0, v1
	s_and_saveexec_b64 s[10:11], s[0:1]
	s_cbranch_execz .LBB247_6
; %bb.5:
	v_lshl_or_b32 v1, v1, 11, v9
	v_add_u32_e32 v1, 0xfffff800, v1
	ds_write2st64_b32 v1, v17, v16 offset1:1
	ds_write2st64_b32 v1, v15, v14 offset0:2 offset1:3
	ds_write2st64_b32 v1, v13, v12 offset0:4 offset1:5
	;; [unrolled: 1-line block ×3, first 2 shown]
.LBB247_6:
	s_or_b64 exec, exec, s[10:11]
	s_waitcnt lgkmcnt(0)
	s_barrier
	s_and_saveexec_b64 s[0:1], vcc
	s_cbranch_execz .LBB247_15
; %bb.7:
	v_mbcnt_lo_u32_b32 v1, -1, 0
	v_mbcnt_hi_u32_b32 v6, -1, v1
	ds_read2st64_b32 v[4:5], v9 offset1:1
	v_and_b32_e32 v1, 64, v6
	v_add_u32_e32 v7, 64, v1
	v_xor_b32_e32 v1, 32, v6
	v_cmp_lt_i32_e32 vcc, v1, v7
	v_cndmask_b32_e32 v1, v6, v1, vcc
	v_lshlrev_b32_e32 v1, 2, v1
	s_waitcnt lgkmcnt(0)
	v_add_f32_e32 v17, v4, v17
	v_add_f32_e32 v5, v5, v16
	ds_bpermute_b32 v18, v1, v17
	ds_bpermute_b32 v16, v1, v5
	v_xor_b32_e32 v2, 16, v6
	v_cmp_lt_i32_e32 vcc, v2, v7
	v_cndmask_b32_e32 v2, v6, v2, vcc
	v_lshlrev_b32_e32 v2, 2, v2
	s_waitcnt lgkmcnt(1)
	v_add_f32_e32 v17, v17, v18
	s_waitcnt lgkmcnt(0)
	v_add_f32_e32 v5, v5, v16
	ds_bpermute_b32 v18, v2, v17
	ds_bpermute_b32 v16, v2, v5
	v_xor_b32_e32 v3, 8, v6
	v_cmp_lt_i32_e32 vcc, v3, v7
	v_cndmask_b32_e32 v3, v6, v3, vcc
	v_lshlrev_b32_e32 v3, 2, v3
	s_waitcnt lgkmcnt(1)
	v_add_f32_e32 v17, v17, v18
	s_waitcnt lgkmcnt(0)
	;; [unrolled: 10-line block ×3, first 2 shown]
	v_add_f32_e32 v16, v16, v19
	ds_bpermute_b32 v18, v4, v17
	ds_bpermute_b32 v19, v4, v16
	v_xor_b32_e32 v8, 2, v6
	v_cmp_lt_i32_e32 vcc, v8, v7
	v_cndmask_b32_e32 v8, v6, v8, vcc
	v_lshlrev_b32_e32 v5, 2, v8
	v_xor_b32_e32 v8, 1, v6
	v_cmp_lt_i32_e32 vcc, v8, v7
	s_waitcnt lgkmcnt(1)
	v_add_f32_e32 v7, v17, v18
	s_waitcnt lgkmcnt(0)
	v_add_f32_e32 v16, v16, v19
	ds_bpermute_b32 v17, v5, v7
	ds_bpermute_b32 v18, v5, v16
	s_load_dwordx2 s[0:1], s[4:5], 0x38
	v_cndmask_b32_e32 v6, v6, v8, vcc
	s_mul_i32 s4, s14, s7
	v_lshlrev_b32_e32 v8, 2, v6
	s_waitcnt lgkmcnt(0)
	v_add_f32_e32 v6, v7, v17
	v_add_f32_e32 v16, v16, v18
	s_mul_i32 s3, s18, s8
	s_add_i32 s4, s4, s6
	ds_bpermute_b32 v7, v8, v6
	ds_bpermute_b32 v17, v8, v16
	s_add_i32 s4, s4, s3
	s_mov_b32 s5, 0
	s_lshl_b64 s[4:5], s[4:5], 2
	s_add_u32 s4, s0, s4
	v_add_u32_e32 v18, s6, v0
	s_addc_u32 s5, s1, s5
	v_cmp_gt_u32_e32 vcc, 2, v0
	v_cmp_gt_u32_e64 s[0:1], s2, v18
	s_and_b64 s[0:1], vcc, s[0:1]
	s_waitcnt lgkmcnt(1)
	v_add_f32_e32 v6, v6, v7
	s_waitcnt lgkmcnt(0)
	v_add_f32_e32 v7, v16, v17
	s_and_saveexec_b64 s[6:7], s[0:1]
	s_cbranch_execz .LBB247_9
; %bb.8:
	v_cmp_eq_u32_e32 vcc, 1, v0
	v_cndmask_b32_e32 v16, v6, v7, vcc
	v_cmp_eq_u32_e32 vcc, 2, v0
	v_cndmask_b32_e32 v16, v16, v15, vcc
	;; [unrolled: 2-line block ×7, first 2 shown]
	global_store_dword v9, v16, s[4:5]
.LBB247_9:
	s_or_b64 exec, exec, s[6:7]
	ds_read2st64_b32 v[16:17], v9 offset0:2 offset1:3
	s_waitcnt lgkmcnt(0)
	v_add_f32_e32 v15, v16, v15
	v_add_f32_e32 v14, v17, v14
	ds_bpermute_b32 v16, v1, v15
	ds_bpermute_b32 v17, v1, v14
	s_waitcnt lgkmcnt(1)
	v_add_f32_e32 v15, v15, v16
	s_waitcnt lgkmcnt(0)
	v_add_f32_e32 v14, v14, v17
	ds_bpermute_b32 v16, v2, v15
	ds_bpermute_b32 v17, v2, v14
	s_waitcnt lgkmcnt(1)
	v_add_f32_e32 v15, v15, v16
	s_waitcnt lgkmcnt(0)
	;; [unrolled: 6-line block ×6, first 2 shown]
	v_add_f32_e32 v14, v14, v17
	s_and_saveexec_b64 s[6:7], s[0:1]
	s_cbranch_execz .LBB247_11
; %bb.10:
	v_add_u32_e32 v16, 2, v0
	v_cmp_eq_u32_e32 vcc, 1, v16
	v_cndmask_b32_e32 v17, v6, v7, vcc
	v_cmp_eq_u32_e32 vcc, 2, v16
	v_cndmask_b32_e32 v17, v17, v15, vcc
	;; [unrolled: 2-line block ×7, first 2 shown]
	v_add_u32_e32 v16, s2, v0
	v_mov_b32_e32 v17, 0
	v_lshlrev_b64 v[16:17], 2, v[16:17]
	v_mov_b32_e32 v19, s5
	v_add_co_u32_e32 v16, vcc, s4, v16
	v_addc_co_u32_e32 v17, vcc, v19, v17, vcc
	global_store_dword v[16:17], v18, off
.LBB247_11:
	s_or_b64 exec, exec, s[6:7]
	ds_read2st64_b32 v[16:17], v9 offset0:4 offset1:5
	s_waitcnt lgkmcnt(0)
	v_add_f32_e32 v13, v16, v13
	v_add_f32_e32 v12, v17, v12
	ds_bpermute_b32 v16, v1, v13
	ds_bpermute_b32 v17, v1, v12
	s_waitcnt lgkmcnt(1)
	v_add_f32_e32 v13, v13, v16
	s_waitcnt lgkmcnt(0)
	v_add_f32_e32 v12, v12, v17
	ds_bpermute_b32 v16, v2, v13
	ds_bpermute_b32 v17, v2, v12
	s_waitcnt lgkmcnt(1)
	v_add_f32_e32 v13, v13, v16
	s_waitcnt lgkmcnt(0)
	;; [unrolled: 6-line block ×6, first 2 shown]
	v_add_f32_e32 v12, v12, v17
	s_and_saveexec_b64 s[6:7], s[0:1]
	s_cbranch_execz .LBB247_13
; %bb.12:
	v_add_u32_e32 v16, 4, v0
	v_cmp_eq_u32_e32 vcc, 1, v16
	v_cndmask_b32_e32 v17, v6, v7, vcc
	v_cmp_eq_u32_e32 vcc, 2, v16
	v_cndmask_b32_e32 v17, v17, v15, vcc
	;; [unrolled: 2-line block ×7, first 2 shown]
	v_lshl_or_b32 v16, s2, 1, v0
	v_mov_b32_e32 v17, 0
	v_lshlrev_b64 v[16:17], 2, v[16:17]
	v_mov_b32_e32 v19, s5
	v_add_co_u32_e32 v16, vcc, s4, v16
	v_addc_co_u32_e32 v17, vcc, v19, v17, vcc
	global_store_dword v[16:17], v18, off
.LBB247_13:
	s_or_b64 exec, exec, s[6:7]
	ds_read2st64_b32 v[16:17], v9 offset0:6 offset1:7
	s_waitcnt lgkmcnt(0)
	v_add_f32_e32 v9, v16, v11
	v_add_f32_e32 v10, v17, v10
	ds_bpermute_b32 v11, v1, v9
	ds_bpermute_b32 v1, v1, v10
	s_waitcnt lgkmcnt(1)
	v_add_f32_e32 v9, v9, v11
	s_waitcnt lgkmcnt(0)
	v_add_f32_e32 v1, v10, v1
	ds_bpermute_b32 v10, v2, v9
	ds_bpermute_b32 v2, v2, v1
	s_waitcnt lgkmcnt(1)
	v_add_f32_e32 v9, v9, v10
	s_waitcnt lgkmcnt(0)
	v_add_f32_e32 v1, v1, v2
	ds_bpermute_b32 v2, v3, v9
	ds_bpermute_b32 v3, v3, v1
	s_waitcnt lgkmcnt(1)
	v_add_f32_e32 v2, v9, v2
	s_waitcnt lgkmcnt(0)
	v_add_f32_e32 v1, v1, v3
	ds_bpermute_b32 v3, v4, v2
	ds_bpermute_b32 v4, v4, v1
	s_waitcnt lgkmcnt(1)
	v_add_f32_e32 v2, v2, v3
	s_waitcnt lgkmcnt(0)
	v_add_f32_e32 v3, v1, v4
	ds_bpermute_b32 v1, v5, v2
	ds_bpermute_b32 v4, v5, v3
	s_waitcnt lgkmcnt(1)
	v_add_f32_e32 v1, v2, v1
	s_waitcnt lgkmcnt(0)
	v_add_f32_e32 v2, v3, v4
	ds_bpermute_b32 v3, v8, v1
	ds_bpermute_b32 v4, v8, v2
	s_and_b64 exec, exec, s[0:1]
	s_cbranch_execz .LBB247_15
; %bb.14:
	s_waitcnt lgkmcnt(1)
	v_add_f32_e32 v1, v1, v3
	v_add_u32_e32 v3, 6, v0
	v_cmp_eq_u32_e32 vcc, 1, v3
	s_waitcnt lgkmcnt(0)
	v_add_f32_e32 v2, v2, v4
	v_cndmask_b32_e32 v4, v6, v7, vcc
	v_cmp_eq_u32_e32 vcc, 2, v3
	v_cndmask_b32_e32 v4, v4, v15, vcc
	v_cmp_eq_u32_e32 vcc, 3, v3
	;; [unrolled: 2-line block ×5, first 2 shown]
	v_cndmask_b32_e32 v4, v4, v1, vcc
	v_mad_u64_u32 v[0:1], s[0:1], s2, 3, v[0:1]
	v_mov_b32_e32 v1, 0
	v_cmp_eq_u32_e32 vcc, 7, v3
	v_lshlrev_b64 v[0:1], 2, v[0:1]
	v_cndmask_b32_e32 v2, v4, v2, vcc
	v_mov_b32_e32 v3, s5
	v_add_co_u32_e32 v0, vcc, s4, v0
	v_addc_co_u32_e32 v1, vcc, v3, v1, vcc
	global_store_dword v[0:1], v2, off
.LBB247_15:
	s_endpgm
	.section	.rodata,"a",@progbits
	.p2align	6, 0x0
	.amdhsa_kernel _ZL13mul_mat_vec_qIL9ggml_type23ELi4ELb0ELb0EEvPKvS2_PKi31ggml_cuda_mm_fusion_args_devicePfj15HIP_vector_typeIjLj3EEjjjS8_jjjS8_jjjj
		.amdhsa_group_segment_fixed_size 2048
		.amdhsa_private_segment_fixed_size 0
		.amdhsa_kernarg_size 144
		.amdhsa_user_sgpr_count 6
		.amdhsa_user_sgpr_private_segment_buffer 1
		.amdhsa_user_sgpr_dispatch_ptr 0
		.amdhsa_user_sgpr_queue_ptr 0
		.amdhsa_user_sgpr_kernarg_segment_ptr 1
		.amdhsa_user_sgpr_dispatch_id 0
		.amdhsa_user_sgpr_flat_scratch_init 0
		.amdhsa_user_sgpr_private_segment_size 0
		.amdhsa_uses_dynamic_stack 0
		.amdhsa_system_sgpr_private_segment_wavefront_offset 0
		.amdhsa_system_sgpr_workgroup_id_x 1
		.amdhsa_system_sgpr_workgroup_id_y 1
		.amdhsa_system_sgpr_workgroup_id_z 1
		.amdhsa_system_sgpr_workgroup_info 0
		.amdhsa_system_vgpr_workitem_id 1
		.amdhsa_next_free_vgpr 58
		.amdhsa_next_free_sgpr 61
		.amdhsa_reserve_vcc 1
		.amdhsa_reserve_flat_scratch 0
		.amdhsa_float_round_mode_32 0
		.amdhsa_float_round_mode_16_64 0
		.amdhsa_float_denorm_mode_32 3
		.amdhsa_float_denorm_mode_16_64 3
		.amdhsa_dx10_clamp 1
		.amdhsa_ieee_mode 1
		.amdhsa_fp16_overflow 0
		.amdhsa_exception_fp_ieee_invalid_op 0
		.amdhsa_exception_fp_denorm_src 0
		.amdhsa_exception_fp_ieee_div_zero 0
		.amdhsa_exception_fp_ieee_overflow 0
		.amdhsa_exception_fp_ieee_underflow 0
		.amdhsa_exception_fp_ieee_inexact 0
		.amdhsa_exception_int_div_zero 0
	.end_amdhsa_kernel
	.section	.text._ZL13mul_mat_vec_qIL9ggml_type23ELi4ELb0ELb0EEvPKvS2_PKi31ggml_cuda_mm_fusion_args_devicePfj15HIP_vector_typeIjLj3EEjjjS8_jjjS8_jjjj,"axG",@progbits,_ZL13mul_mat_vec_qIL9ggml_type23ELi4ELb0ELb0EEvPKvS2_PKi31ggml_cuda_mm_fusion_args_devicePfj15HIP_vector_typeIjLj3EEjjjS8_jjjS8_jjjj,comdat
.Lfunc_end247:
	.size	_ZL13mul_mat_vec_qIL9ggml_type23ELi4ELb0ELb0EEvPKvS2_PKi31ggml_cuda_mm_fusion_args_devicePfj15HIP_vector_typeIjLj3EEjjjS8_jjjS8_jjjj, .Lfunc_end247-_ZL13mul_mat_vec_qIL9ggml_type23ELi4ELb0ELb0EEvPKvS2_PKi31ggml_cuda_mm_fusion_args_devicePfj15HIP_vector_typeIjLj3EEjjjS8_jjjS8_jjjj
                                        ; -- End function
	.set _ZL13mul_mat_vec_qIL9ggml_type23ELi4ELb0ELb0EEvPKvS2_PKi31ggml_cuda_mm_fusion_args_devicePfj15HIP_vector_typeIjLj3EEjjjS8_jjjS8_jjjj.num_vgpr, 58
	.set _ZL13mul_mat_vec_qIL9ggml_type23ELi4ELb0ELb0EEvPKvS2_PKi31ggml_cuda_mm_fusion_args_devicePfj15HIP_vector_typeIjLj3EEjjjS8_jjjS8_jjjj.num_agpr, 0
	.set _ZL13mul_mat_vec_qIL9ggml_type23ELi4ELb0ELb0EEvPKvS2_PKi31ggml_cuda_mm_fusion_args_devicePfj15HIP_vector_typeIjLj3EEjjjS8_jjjS8_jjjj.numbered_sgpr, 26
	.set _ZL13mul_mat_vec_qIL9ggml_type23ELi4ELb0ELb0EEvPKvS2_PKi31ggml_cuda_mm_fusion_args_devicePfj15HIP_vector_typeIjLj3EEjjjS8_jjjS8_jjjj.num_named_barrier, 0
	.set _ZL13mul_mat_vec_qIL9ggml_type23ELi4ELb0ELb0EEvPKvS2_PKi31ggml_cuda_mm_fusion_args_devicePfj15HIP_vector_typeIjLj3EEjjjS8_jjjS8_jjjj.private_seg_size, 0
	.set _ZL13mul_mat_vec_qIL9ggml_type23ELi4ELb0ELb0EEvPKvS2_PKi31ggml_cuda_mm_fusion_args_devicePfj15HIP_vector_typeIjLj3EEjjjS8_jjjS8_jjjj.uses_vcc, 1
	.set _ZL13mul_mat_vec_qIL9ggml_type23ELi4ELb0ELb0EEvPKvS2_PKi31ggml_cuda_mm_fusion_args_devicePfj15HIP_vector_typeIjLj3EEjjjS8_jjjS8_jjjj.uses_flat_scratch, 0
	.set _ZL13mul_mat_vec_qIL9ggml_type23ELi4ELb0ELb0EEvPKvS2_PKi31ggml_cuda_mm_fusion_args_devicePfj15HIP_vector_typeIjLj3EEjjjS8_jjjS8_jjjj.has_dyn_sized_stack, 0
	.set _ZL13mul_mat_vec_qIL9ggml_type23ELi4ELb0ELb0EEvPKvS2_PKi31ggml_cuda_mm_fusion_args_devicePfj15HIP_vector_typeIjLj3EEjjjS8_jjjS8_jjjj.has_recursion, 0
	.set _ZL13mul_mat_vec_qIL9ggml_type23ELi4ELb0ELb0EEvPKvS2_PKi31ggml_cuda_mm_fusion_args_devicePfj15HIP_vector_typeIjLj3EEjjjS8_jjjS8_jjjj.has_indirect_call, 0
	.section	.AMDGPU.csdata,"",@progbits
; Kernel info:
; codeLenInByte = 3900
; TotalNumSgprs: 30
; NumVgprs: 58
; ScratchSize: 0
; MemoryBound: 0
; FloatMode: 240
; IeeeMode: 1
; LDSByteSize: 2048 bytes/workgroup (compile time only)
; SGPRBlocks: 8
; VGPRBlocks: 14
; NumSGPRsForWavesPerEU: 65
; NumVGPRsForWavesPerEU: 58
; Occupancy: 4
; WaveLimiterHint : 0
; COMPUTE_PGM_RSRC2:SCRATCH_EN: 0
; COMPUTE_PGM_RSRC2:USER_SGPR: 6
; COMPUTE_PGM_RSRC2:TRAP_HANDLER: 0
; COMPUTE_PGM_RSRC2:TGID_X_EN: 1
; COMPUTE_PGM_RSRC2:TGID_Y_EN: 1
; COMPUTE_PGM_RSRC2:TGID_Z_EN: 1
; COMPUTE_PGM_RSRC2:TIDIG_COMP_CNT: 1
	.section	.text._ZL13mul_mat_vec_qIL9ggml_type23ELi5ELb0ELb0EEvPKvS2_PKi31ggml_cuda_mm_fusion_args_devicePfj15HIP_vector_typeIjLj3EEjjjS8_jjjS8_jjjj,"axG",@progbits,_ZL13mul_mat_vec_qIL9ggml_type23ELi5ELb0ELb0EEvPKvS2_PKi31ggml_cuda_mm_fusion_args_devicePfj15HIP_vector_typeIjLj3EEjjjS8_jjjS8_jjjj,comdat
	.globl	_ZL13mul_mat_vec_qIL9ggml_type23ELi5ELb0ELb0EEvPKvS2_PKi31ggml_cuda_mm_fusion_args_devicePfj15HIP_vector_typeIjLj3EEjjjS8_jjjS8_jjjj ; -- Begin function _ZL13mul_mat_vec_qIL9ggml_type23ELi5ELb0ELb0EEvPKvS2_PKi31ggml_cuda_mm_fusion_args_devicePfj15HIP_vector_typeIjLj3EEjjjS8_jjjS8_jjjj
	.p2align	8
	.type	_ZL13mul_mat_vec_qIL9ggml_type23ELi5ELb0ELb0EEvPKvS2_PKi31ggml_cuda_mm_fusion_args_devicePfj15HIP_vector_typeIjLj3EEjjjS8_jjjS8_jjjj,@function
_ZL13mul_mat_vec_qIL9ggml_type23ELi5ELb0ELb0EEvPKvS2_PKi31ggml_cuda_mm_fusion_args_devicePfj15HIP_vector_typeIjLj3EEjjjS8_jjjS8_jjjj: ; @_ZL13mul_mat_vec_qIL9ggml_type23ELi5ELb0ELb0EEvPKvS2_PKi31ggml_cuda_mm_fusion_args_devicePfj15HIP_vector_typeIjLj3EEjjjS8_jjjS8_jjjj
; %bb.0:
	s_load_dword s9, s[4:5], 0x40
	s_load_dwordx4 s[0:3], s[4:5], 0x50
	s_load_dword s25, s[4:5], 0x60
	s_load_dwordx4 s[12:15], s[4:5], 0x68
	;; [unrolled: 2-line block ×3, first 2 shown]
	v_lshl_or_b32 v2, v1, 6, v0
	s_waitcnt lgkmcnt(0)
	s_lshr_b32 s9, s9, 8
	v_lshrrev_b32_e32 v18, 3, v2
	v_mov_b32_e32 v8, 0
	s_lshl_b32 s6, s6, 1
	v_cmp_gt_u32_e32 vcc, s9, v18
	v_mov_b32_e32 v9, v8
	v_mov_b32_e32 v10, v8
	;; [unrolled: 1-line block ×9, first 2 shown]
	s_and_saveexec_b64 s[10:11], vcc
	s_cbranch_execz .LBB248_4
; %bb.1:
	s_mul_hi_u32 s3, s3, s7
	s_add_i32 s3, s7, s3
	s_load_dwordx4 s[20:23], s[4:5], 0x0
	s_lshr_b32 s3, s3, s25
	s_mul_i32 s3, s3, s12
	s_mul_hi_u32 s12, s15, s8
	s_add_i32 s12, s8, s12
	s_lshr_b32 s12, s12, s24
	s_mul_i32 s19, s17, s8
	s_mul_i32 s15, s12, s16
	;; [unrolled: 1-line block ×3, first 2 shown]
	s_mul_hi_u32 s12, s19, 36
	s_waitcnt lgkmcnt(0)
	s_add_u32 s16, s22, s16
	s_addc_u32 s17, s23, s12
	s_mul_i32 s12, s13, s7
	s_mul_hi_u32 s13, s12, 36
	s_mul_i32 s12, s12, 36
	s_add_u32 s16, s16, s12
	s_addc_u32 s17, s17, s13
	v_and_b32_e32 v7, 7, v0
	v_lshlrev_b32_e32 v4, 2, v0
	v_mad_u64_u32 v[2:3], s[16:17], v7, 36, s[16:17]
	v_and_b32_e32 v6, 28, v4
	v_bfe_u32 v19, v4, 3, 2
	v_and_b32_e32 v20, 4, v4
	s_add_i32 s16, s6, 1
	v_mov_b32_e32 v4, s12
	s_add_i32 s15, s15, s3
	s_mul_i32 s3, s6, s0
	s_mul_i32 s0, s0, s16
	s_movk_i32 s16, 0x120
	v_mov_b32_e32 v5, s13
	v_mad_u64_u32 v[4:5], s[12:13], v18, s16, v[4:5]
	v_mov_b32_e32 v8, 0
	v_lshrrev_b32_e32 v21, 1, v6
	v_mad_u64_u32 v[4:5], s[12:13], s19, 36, v[4:5]
	v_lshlrev_b32_e32 v23, 2, v6
	s_add_i32 s3, s15, s3
	v_mad_u64_u32 v[4:5], s[12:13], v7, 36, v[4:5]
	v_mov_b32_e32 v7, s23
	s_add_i32 s0, s15, s0
	v_add_co_u32_e32 v4, vcc, s22, v4
	v_addc_co_u32_e32 v5, vcc, v7, v5, vcc
	v_add_co_u32_e32 v4, vcc, 16, v4
	v_mov_b32_e32 v6, s20
	v_lshlrev_b32_e32 v22, 3, v18
	s_lshl_b32 s15, s1, 2
	s_mul_i32 s16, s1, 3
	s_lshl_b32 s17, s1, 1
	v_addc_co_u32_e32 v5, vcc, 0, v5, vcc
	s_mov_b64 s[12:13], 0
	s_movk_i32 s19, 0x88
	s_mov_b32 s22, 0xf6eaddcf
	s_mov_b32 s23, 0x71594535
	v_mov_b32_e32 v24, 0xbfad9881
	v_mov_b32_e32 v25, 0x26190d01
	;; [unrolled: 1-line block ×12, first 2 shown]
.LBB248_2:                              ; =>This Inner Loop Header: Depth=1
	v_add_u32_e32 v26, s3, v18
	v_mad_i64_i32 v[34:35], s[20:21], v26, s19, v[6:7]
	global_load_dword v45, v[4:5], off offset:16
	global_load_dwordx4 v[40:43], v[4:5], off
	global_load_dwordx4 v[46:49], v[4:5], off offset:-16
	v_add_co_u32_e32 v26, vcc, v34, v23
	v_addc_co_u32_e32 v27, vcc, 0, v35, vcc
	global_load_dwordx4 v[29:32], v[26:27], off offset:8
	s_waitcnt vmcnt(1)
	v_cvt_f32_f16_e32 v46, v46
	s_waitcnt vmcnt(0)
	v_ashrrev_i32_e32 v27, 4, v29
	v_and_b32_e32 v26, 0x7070707, v29
	v_lshrrev_b32_e32 v29, 1, v29
	v_and_b32_e32 v33, 0x7070707, v27
	v_and_b32_e32 v29, 0x4040404, v29
	v_lshrrev_b32_e32 v27, 1, v27
	v_perm_b32 v28, s22, v24, v26
	v_perm_b32 v26, s23, v25, v26
	v_or_b32_e32 v29, 0x3020100, v29
	v_and_b32_e32 v27, 0x4040404, v27
	v_perm_b32 v36, s22, v24, v33
	v_perm_b32 v33, s23, v25, v33
	;; [unrolled: 1-line block ×3, first 2 shown]
	v_or_b32_e32 v27, 0x3020100, v27
	v_perm_b32 v27, v33, v36, v27
	v_dot4_i32_i8 v28, v26, v47, 0
	v_dot4_i32_i8 v33, v27, v41, v28
	v_ashrrev_i32_e32 v29, 4, v30
	v_and_b32_e32 v28, 0x7070707, v30
	v_lshrrev_b32_e32 v30, 1, v30
	v_and_b32_e32 v37, 0x7070707, v29
	v_and_b32_e32 v30, 0x4040404, v30
	v_lshrrev_b32_e32 v29, 1, v29
	v_perm_b32 v36, s22, v24, v28
	v_perm_b32 v28, s23, v25, v28
	v_or_b32_e32 v30, 0x3020100, v30
	v_and_b32_e32 v29, 0x4040404, v29
	v_perm_b32 v38, s22, v24, v37
	v_perm_b32 v37, s23, v25, v37
	;; [unrolled: 1-line block ×3, first 2 shown]
	v_or_b32_e32 v29, 0x3020100, v29
	v_perm_b32 v29, v37, v38, v29
	v_dot4_i32_i8 v30, v28, v48, v33
	v_dot4_i32_i8 v33, v29, v42, v30
	v_ashrrev_i32_e32 v36, 4, v31
	v_and_b32_e32 v30, 0x7070707, v31
	v_lshrrev_b32_e32 v31, 1, v31
	v_and_b32_e32 v31, 0x4040404, v31
	v_perm_b32 v37, s22, v24, v30
	v_perm_b32 v30, s23, v25, v30
	v_or_b32_e32 v31, 0x3020100, v31
	v_perm_b32 v30, v30, v37, v31
	v_lshrrev_b32_e32 v31, 1, v36
	v_and_b32_e32 v38, 0x7070707, v36
	v_and_b32_e32 v31, 0x4040404, v31
	v_perm_b32 v39, s22, v24, v38
	v_perm_b32 v38, s23, v25, v38
	v_or_b32_e32 v31, 0x3020100, v31
	v_perm_b32 v31, v38, v39, v31
	v_dot4_i32_i8 v33, v30, v49, v33
	v_dot4_i32_i8 v36, v31, v43, v33
	v_ashrrev_i32_e32 v33, 4, v32
	v_and_b32_e32 v37, 0x7070707, v32
	v_lshrrev_b32_e32 v32, 1, v32
	v_and_b32_e32 v39, 0x7070707, v33
	v_and_b32_e32 v32, 0x4040404, v32
	v_lshrrev_b32_e32 v33, 1, v33
	v_perm_b32 v38, s22, v24, v37
	v_perm_b32 v37, s23, v25, v37
	v_or_b32_e32 v32, 0x3020100, v32
	v_and_b32_e32 v33, 0x4040404, v33
	v_perm_b32 v44, s22, v24, v39
	v_perm_b32 v39, s23, v25, v39
	v_perm_b32 v32, v37, v38, v32
	v_or_b32_e32 v33, 0x3020100, v33
	v_perm_b32 v33, v39, v44, v33
	v_dot4_i32_i8 v36, v32, v40, v36
	v_dot4_i32_i8 v38, v33, v45, v36
	v_add_co_u32_e32 v36, vcc, v34, v19
	v_addc_co_u32_e32 v37, vcc, 0, v35, vcc
	global_load_ubyte v36, v[36:37], off offset:4
	s_nop 0
	global_load_dword v35, v[34:35], off
	s_waitcnt vmcnt(1)
	v_bfe_u32 v36, v36, v20, 4
	s_waitcnt vmcnt(0)
	v_lshrrev_b32_sdwa v34, v21, v35 dst_sel:DWORD dst_unused:UNUSED_PAD src0_sel:DWORD src1_sel:WORD_1
	v_lshlrev_b32_e32 v34, 4, v34
	v_and_or_b32 v34, v34, 48, v36
	v_subrev_u32_e32 v34, 32, v34
	v_mul_lo_u32 v36, v34, v38
	v_cvt_f32_f16_e32 v35, v35
	v_cvt_f32_i32_e32 v36, v36
	v_mul_f32_e32 v37, v35, v46
	v_fmac_f32_e32 v17, v37, v36
	v_add_u32_e32 v36, s0, v18
	v_mad_i64_i32 v[54:55], s[20:21], v36, s19, v[6:7]
	v_add_u32_e32 v18, 8, v18
	v_add_co_u32_e32 v36, vcc, v54, v23
	v_addc_co_u32_e32 v37, vcc, 0, v55, vcc
	global_load_dwordx4 v[50:53], v[36:37], off offset:8
	s_waitcnt vmcnt(0)
	v_ashrrev_i32_e32 v37, 4, v50
	v_and_b32_e32 v36, 0x7070707, v50
	v_lshrrev_b32_e32 v50, 1, v50
	v_and_b32_e32 v39, 0x7070707, v37
	v_and_b32_e32 v50, 0x4040404, v50
	v_lshrrev_b32_e32 v37, 1, v37
	v_perm_b32 v38, s22, v24, v36
	v_perm_b32 v36, s23, v25, v36
	v_or_b32_e32 v50, 0x3020100, v50
	v_and_b32_e32 v37, 0x4040404, v37
	v_perm_b32 v44, s22, v24, v39
	v_perm_b32 v39, s23, v25, v39
	;; [unrolled: 1-line block ×3, first 2 shown]
	v_or_b32_e32 v37, 0x3020100, v37
	v_perm_b32 v37, v39, v44, v37
	v_dot4_i32_i8 v38, v36, v47, 0
	v_dot4_i32_i8 v41, v37, v41, v38
	v_ashrrev_i32_e32 v39, 4, v51
	v_and_b32_e32 v38, 0x7070707, v51
	v_lshrrev_b32_e32 v51, 1, v51
	v_and_b32_e32 v47, 0x7070707, v39
	v_and_b32_e32 v51, 0x4040404, v51
	v_lshrrev_b32_e32 v39, 1, v39
	v_perm_b32 v44, s22, v24, v38
	v_perm_b32 v38, s23, v25, v38
	v_or_b32_e32 v51, 0x3020100, v51
	v_and_b32_e32 v39, 0x4040404, v39
	v_perm_b32 v50, s22, v24, v47
	v_perm_b32 v47, s23, v25, v47
	;; [unrolled: 1-line block ×3, first 2 shown]
	v_or_b32_e32 v39, 0x3020100, v39
	v_perm_b32 v39, v47, v50, v39
	v_dot4_i32_i8 v41, v38, v48, v41
	v_dot4_i32_i8 v44, v39, v42, v41
	v_ashrrev_i32_e32 v42, 4, v52
	v_lshrrev_b32_e32 v51, 1, v52
	v_and_b32_e32 v41, 0x7070707, v52
	v_and_b32_e32 v48, 0x7070707, v42
	;; [unrolled: 1-line block ×3, first 2 shown]
	v_lshrrev_b32_e32 v42, 1, v42
	v_perm_b32 v47, s22, v24, v41
	v_perm_b32 v41, s23, v25, v41
	v_or_b32_e32 v51, 0x3020100, v51
	v_and_b32_e32 v42, 0x4040404, v42
	v_perm_b32 v50, s22, v24, v48
	v_perm_b32 v48, s23, v25, v48
	;; [unrolled: 1-line block ×3, first 2 shown]
	v_or_b32_e32 v42, 0x3020100, v42
	v_perm_b32 v42, v48, v50, v42
	v_dot4_i32_i8 v44, v41, v49, v44
	v_lshrrev_b32_e32 v51, 1, v53
	v_dot4_i32_i8 v47, v42, v43, v44
	v_ashrrev_i32_e32 v44, 4, v53
	v_and_b32_e32 v43, 0x7070707, v53
	v_and_b32_e32 v51, 0x4040404, v51
	v_perm_b32 v48, s22, v24, v43
	v_and_b32_e32 v49, 0x7070707, v44
	v_perm_b32 v43, s23, v25, v43
	v_or_b32_e32 v51, 0x3020100, v51
	v_lshrrev_b32_e32 v44, 1, v44
	v_perm_b32 v43, v43, v48, v51
	v_and_b32_e32 v44, 0x4040404, v44
	v_perm_b32 v50, s22, v24, v49
	v_perm_b32 v49, s23, v25, v49
	v_or_b32_e32 v44, 0x3020100, v44
	v_dot4_i32_i8 v40, v43, v40, v47
	v_add_co_u32_e32 v47, vcc, v54, v19
	v_perm_b32 v44, v49, v50, v44
	v_addc_co_u32_e32 v48, vcc, 0, v55, vcc
	v_dot4_i32_i8 v40, v44, v45, v40
	global_load_ubyte v45, v[47:48], off offset:4
	v_add_co_u32_e32 v4, vcc, 0x900, v4
	global_load_dword v47, v[54:55], off
	v_addc_co_u32_e32 v5, vcc, 0, v5, vcc
	v_cmp_le_u32_e32 vcc, s9, v18
	s_or_b64 s[12:13], vcc, s[12:13]
	s_waitcnt vmcnt(1)
	v_bfe_u32 v45, v45, v20, 4
	s_waitcnt vmcnt(0)
	v_lshrrev_b32_sdwa v48, v21, v47 dst_sel:DWORD dst_unused:UNUSED_PAD src0_sel:DWORD src1_sel:WORD_1
	v_lshlrev_b32_e32 v48, 4, v48
	v_and_or_b32 v45, v48, 48, v45
	v_subrev_u32_e32 v45, 32, v45
	v_mul_lo_u32 v48, v45, v40
	v_cvt_f32_f16_e32 v40, v47
	v_cvt_f32_i32_e32 v47, v48
	v_mul_f32_e32 v46, v40, v46
	v_fmac_f32_e32 v16, v46, v47
	v_add_u32_e32 v46, s1, v22
	v_mad_u64_u32 v[54:55], s[20:21], v46, 36, v[2:3]
	global_load_dword v56, v[54:55], off offset:32
	global_load_dwordx4 v[46:49], v[54:55], off offset:16
	global_load_dwordx4 v[50:53], v[54:55], off
	s_waitcnt vmcnt(0)
	v_dot4_i32_i8 v54, v26, v51, 0
	v_dot4_i32_i8 v51, v36, v51, 0
	v_dot4_i32_i8 v54, v27, v47, v54
	v_dot4_i32_i8 v47, v37, v47, v51
	v_dot4_i32_i8 v54, v28, v52, v54
	v_dot4_i32_i8 v47, v38, v52, v47
	v_dot4_i32_i8 v54, v29, v48, v54
	v_dot4_i32_i8 v47, v39, v48, v47
	v_dot4_i32_i8 v54, v30, v53, v54
	v_dot4_i32_i8 v47, v41, v53, v47
	v_dot4_i32_i8 v54, v31, v49, v54
	v_dot4_i32_i8 v47, v42, v49, v47
	v_dot4_i32_i8 v54, v32, v46, v54
	v_dot4_i32_i8 v46, v43, v46, v47
	v_dot4_i32_i8 v46, v44, v56, v46
	v_dot4_i32_i8 v54, v33, v56, v54
	v_mul_lo_u32 v46, v45, v46
	v_mul_lo_u32 v54, v34, v54
	v_cvt_f32_f16_e32 v50, v50
	v_cvt_f32_i32_e32 v46, v46
	v_cvt_f32_i32_e32 v54, v54
	v_mul_f32_e32 v47, v40, v50
	v_mul_f32_e32 v55, v35, v50
	v_fmac_f32_e32 v14, v47, v46
	v_add_u32_e32 v46, s17, v22
	v_fmac_f32_e32 v15, v55, v54
	v_mad_u64_u32 v[54:55], s[20:21], v46, 36, v[2:3]
	global_load_dword v56, v[54:55], off offset:32
	global_load_dwordx4 v[46:49], v[54:55], off offset:16
	global_load_dwordx4 v[50:53], v[54:55], off
	s_waitcnt vmcnt(0)
	v_dot4_i32_i8 v54, v26, v51, 0
	v_dot4_i32_i8 v51, v36, v51, 0
	v_dot4_i32_i8 v54, v27, v47, v54
	v_dot4_i32_i8 v47, v37, v47, v51
	v_dot4_i32_i8 v54, v28, v52, v54
	v_dot4_i32_i8 v47, v38, v52, v47
	v_dot4_i32_i8 v54, v29, v48, v54
	v_dot4_i32_i8 v47, v39, v48, v47
	v_dot4_i32_i8 v54, v30, v53, v54
	v_dot4_i32_i8 v47, v41, v53, v47
	v_dot4_i32_i8 v54, v31, v49, v54
	v_dot4_i32_i8 v47, v42, v49, v47
	v_dot4_i32_i8 v54, v32, v46, v54
	v_dot4_i32_i8 v46, v43, v46, v47
	v_dot4_i32_i8 v46, v44, v56, v46
	v_dot4_i32_i8 v54, v33, v56, v54
	v_mul_lo_u32 v46, v45, v46
	v_mul_lo_u32 v54, v34, v54
	v_cvt_f32_f16_e32 v50, v50
	v_cvt_f32_i32_e32 v46, v46
	v_cvt_f32_i32_e32 v54, v54
	v_mul_f32_e32 v47, v40, v50
	v_mul_f32_e32 v55, v35, v50
	v_fmac_f32_e32 v12, v47, v46
	v_add_u32_e32 v46, s16, v22
	v_fmac_f32_e32 v13, v55, v54
	;; [unrolled: 31-line block ×3, first 2 shown]
	v_mad_u64_u32 v[54:55], s[20:21], v46, 36, v[2:3]
	global_load_dword v56, v[54:55], off offset:32
	global_load_dwordx4 v[46:49], v[54:55], off offset:16
	global_load_dwordx4 v[50:53], v[54:55], off
	v_add_u32_e32 v22, 64, v22
	s_waitcnt vmcnt(0)
	v_dot4_i32_i8 v26, v26, v51, 0
	v_dot4_i32_i8 v26, v27, v47, v26
	;; [unrolled: 1-line block ×8, first 2 shown]
	v_mul_lo_u32 v26, v34, v26
	v_cvt_f32_f16_e32 v50, v50
	v_cvt_f32_i32_e32 v26, v26
	v_mul_f32_e32 v27, v35, v50
	v_fmac_f32_e32 v9, v27, v26
	v_dot4_i32_i8 v26, v36, v51, 0
	v_dot4_i32_i8 v26, v37, v47, v26
	;; [unrolled: 1-line block ×8, first 2 shown]
	v_mul_lo_u32 v26, v45, v26
	v_mul_f32_e32 v27, v40, v50
	v_cvt_f32_i32_e32 v26, v26
	v_fmac_f32_e32 v8, v27, v26
	s_andn2_b64 exec, exec, s[12:13]
	s_cbranch_execnz .LBB248_2
; %bb.3:
	s_or_b64 exec, exec, s[12:13]
.LBB248_4:
	s_or_b64 exec, exec, s[10:11]
	s_mov_b32 s1, 0
	v_cmp_eq_u32_e32 vcc, 0, v1
	; wave barrier
	s_and_saveexec_b64 s[10:11], vcc
	s_cbranch_execz .LBB248_15
; %bb.5:
	v_mbcnt_lo_u32_b32 v1, -1, 0
	v_mbcnt_hi_u32_b32 v6, -1, v1
	v_and_b32_e32 v1, 64, v6
	v_add_u32_e32 v7, 64, v1
	v_xor_b32_e32 v1, 32, v6
	v_cmp_lt_i32_e32 vcc, v1, v7
	v_cndmask_b32_e32 v1, v6, v1, vcc
	v_lshlrev_b32_e32 v1, 2, v1
	ds_bpermute_b32 v5, v1, v17
	ds_bpermute_b32 v18, v1, v16
	v_xor_b32_e32 v2, 16, v6
	v_cmp_lt_i32_e32 vcc, v2, v7
	v_cndmask_b32_e32 v2, v6, v2, vcc
	v_lshlrev_b32_e32 v2, 2, v2
	s_waitcnt lgkmcnt(1)
	v_add_f32_e32 v5, v17, v5
	s_waitcnt lgkmcnt(0)
	v_add_f32_e32 v16, v16, v18
	ds_bpermute_b32 v17, v2, v5
	ds_bpermute_b32 v18, v2, v16
	v_xor_b32_e32 v3, 8, v6
	v_cmp_lt_i32_e32 vcc, v3, v7
	v_cndmask_b32_e32 v3, v6, v3, vcc
	v_lshlrev_b32_e32 v3, 2, v3
	s_waitcnt lgkmcnt(1)
	v_add_f32_e32 v17, v5, v17
	s_waitcnt lgkmcnt(0)
	v_add_f32_e32 v16, v16, v18
	;; [unrolled: 10-line block ×3, first 2 shown]
	ds_bpermute_b32 v20, v4, v17
	ds_bpermute_b32 v18, v4, v16
	v_xor_b32_e32 v19, 2, v6
	v_cmp_lt_i32_e32 vcc, v19, v7
	v_cndmask_b32_e32 v19, v6, v19, vcc
	v_lshlrev_b32_e32 v5, 2, v19
	v_xor_b32_e32 v19, 1, v6
	v_cmp_lt_i32_e32 vcc, v19, v7
	s_waitcnt lgkmcnt(1)
	v_add_f32_e32 v7, v17, v20
	s_waitcnt lgkmcnt(0)
	v_add_f32_e32 v18, v16, v18
	v_cndmask_b32_e32 v6, v6, v19, vcc
	ds_bpermute_b32 v17, v5, v7
	ds_bpermute_b32 v19, v5, v18
	s_load_dwordx2 s[4:5], s[4:5], 0x38
	s_mul_i32 s3, s14, s7
	v_lshlrev_b32_e32 v16, 2, v6
	s_waitcnt lgkmcnt(0)
	v_add_f32_e32 v6, v7, v17
	v_add_f32_e32 v17, v18, v19
	s_mul_i32 s0, s18, s8
	s_add_i32 s3, s3, s6
	ds_bpermute_b32 v7, v16, v6
	ds_bpermute_b32 v18, v16, v17
	s_add_i32 s0, s3, s0
	s_lshl_b64 s[0:1], s[0:1], 2
	s_add_u32 s4, s4, s0
	v_add_u32_e32 v19, s6, v0
	s_addc_u32 s5, s5, s1
	v_cmp_gt_u32_e32 vcc, 2, v0
	v_cmp_gt_u32_e64 s[0:1], s2, v19
	s_and_b64 s[0:1], vcc, s[0:1]
	s_waitcnt lgkmcnt(1)
	v_add_f32_e32 v6, v6, v7
	s_waitcnt lgkmcnt(0)
	v_add_f32_e32 v7, v17, v18
	s_and_saveexec_b64 s[6:7], s[0:1]
	s_cbranch_execz .LBB248_7
; %bb.6:
	v_cmp_eq_u32_e32 vcc, 1, v0
	v_cndmask_b32_e32 v17, v6, v7, vcc
	v_cmp_eq_u32_e32 vcc, 2, v0
	v_cndmask_b32_e32 v17, v17, v15, vcc
	;; [unrolled: 2-line block ×9, first 2 shown]
	v_lshlrev_b32_e32 v18, 2, v0
	global_store_dword v18, v17, s[4:5]
.LBB248_7:
	s_or_b64 exec, exec, s[6:7]
	ds_bpermute_b32 v17, v1, v15
	ds_bpermute_b32 v18, v1, v14
	s_waitcnt lgkmcnt(1)
	v_add_f32_e32 v15, v15, v17
	s_waitcnt lgkmcnt(0)
	v_add_f32_e32 v14, v14, v18
	ds_bpermute_b32 v17, v2, v15
	ds_bpermute_b32 v18, v2, v14
	s_waitcnt lgkmcnt(1)
	v_add_f32_e32 v15, v15, v17
	s_waitcnt lgkmcnt(0)
	v_add_f32_e32 v14, v14, v18
	;; [unrolled: 6-line block ×6, first 2 shown]
	s_and_saveexec_b64 s[6:7], s[0:1]
	s_cbranch_execz .LBB248_9
; %bb.8:
	v_add_u32_e32 v17, 2, v0
	v_cmp_eq_u32_e32 vcc, 1, v17
	v_cndmask_b32_e32 v18, v6, v7, vcc
	v_cmp_eq_u32_e32 vcc, 2, v17
	v_cndmask_b32_e32 v18, v18, v15, vcc
	;; [unrolled: 2-line block ×9, first 2 shown]
	v_add_u32_e32 v17, s2, v0
	v_mov_b32_e32 v18, 0
	v_lshlrev_b64 v[17:18], 2, v[17:18]
	v_mov_b32_e32 v20, s5
	v_add_co_u32_e32 v17, vcc, s4, v17
	v_addc_co_u32_e32 v18, vcc, v20, v18, vcc
	global_store_dword v[17:18], v19, off
.LBB248_9:
	s_or_b64 exec, exec, s[6:7]
	ds_bpermute_b32 v17, v1, v13
	ds_bpermute_b32 v18, v1, v12
	s_waitcnt lgkmcnt(1)
	v_add_f32_e32 v13, v13, v17
	s_waitcnt lgkmcnt(0)
	v_add_f32_e32 v12, v12, v18
	ds_bpermute_b32 v17, v2, v13
	ds_bpermute_b32 v18, v2, v12
	s_waitcnt lgkmcnt(1)
	v_add_f32_e32 v13, v13, v17
	s_waitcnt lgkmcnt(0)
	v_add_f32_e32 v12, v12, v18
	;; [unrolled: 6-line block ×6, first 2 shown]
	s_and_saveexec_b64 s[6:7], s[0:1]
	s_cbranch_execz .LBB248_11
; %bb.10:
	v_add_u32_e32 v17, 4, v0
	v_cmp_eq_u32_e32 vcc, 1, v17
	v_cndmask_b32_e32 v18, v6, v7, vcc
	v_cmp_eq_u32_e32 vcc, 2, v17
	v_cndmask_b32_e32 v18, v18, v15, vcc
	;; [unrolled: 2-line block ×9, first 2 shown]
	v_lshl_or_b32 v17, s2, 1, v0
	v_mov_b32_e32 v18, 0
	v_lshlrev_b64 v[17:18], 2, v[17:18]
	v_mov_b32_e32 v20, s5
	v_add_co_u32_e32 v17, vcc, s4, v17
	v_addc_co_u32_e32 v18, vcc, v20, v18, vcc
	global_store_dword v[17:18], v19, off
.LBB248_11:
	s_or_b64 exec, exec, s[6:7]
	ds_bpermute_b32 v17, v1, v11
	ds_bpermute_b32 v18, v1, v10
	s_waitcnt lgkmcnt(1)
	v_add_f32_e32 v11, v11, v17
	s_waitcnt lgkmcnt(0)
	v_add_f32_e32 v10, v10, v18
	ds_bpermute_b32 v17, v2, v11
	ds_bpermute_b32 v18, v2, v10
	s_waitcnt lgkmcnt(1)
	v_add_f32_e32 v11, v11, v17
	s_waitcnt lgkmcnt(0)
	v_add_f32_e32 v10, v10, v18
	;; [unrolled: 6-line block ×6, first 2 shown]
	s_and_saveexec_b64 s[6:7], s[0:1]
	s_cbranch_execz .LBB248_13
; %bb.12:
	v_add_u32_e32 v19, 6, v0
	v_cmp_eq_u32_e32 vcc, 1, v19
	v_cndmask_b32_e32 v17, v6, v7, vcc
	v_cmp_eq_u32_e32 vcc, 2, v19
	v_cndmask_b32_e32 v17, v17, v15, vcc
	;; [unrolled: 2-line block ×8, first 2 shown]
	v_mad_u64_u32 v[17:18], s[8:9], s2, 3, v[0:1]
	v_mov_b32_e32 v18, 0
	v_cmp_eq_u32_e32 vcc, 9, v19
	v_lshlrev_b64 v[17:18], 2, v[17:18]
	v_cndmask_b32_e32 v19, v20, v8, vcc
	v_mov_b32_e32 v20, s5
	v_add_co_u32_e32 v17, vcc, s4, v17
	v_addc_co_u32_e32 v18, vcc, v20, v18, vcc
	global_store_dword v[17:18], v19, off
.LBB248_13:
	s_or_b64 exec, exec, s[6:7]
	ds_bpermute_b32 v17, v1, v9
	ds_bpermute_b32 v1, v1, v8
	s_waitcnt lgkmcnt(1)
	v_add_f32_e32 v9, v9, v17
	s_waitcnt lgkmcnt(0)
	v_add_f32_e32 v1, v8, v1
	ds_bpermute_b32 v8, v2, v9
	ds_bpermute_b32 v2, v2, v1
	s_waitcnt lgkmcnt(1)
	v_add_f32_e32 v8, v9, v8
	s_waitcnt lgkmcnt(0)
	v_add_f32_e32 v1, v1, v2
	;; [unrolled: 6-line block ×5, first 2 shown]
	ds_bpermute_b32 v3, v16, v1
	ds_bpermute_b32 v4, v16, v2
	s_and_b64 exec, exec, s[0:1]
	s_cbranch_execz .LBB248_15
; %bb.14:
	s_waitcnt lgkmcnt(1)
	v_add_f32_e32 v1, v1, v3
	v_add_u32_e32 v3, 8, v0
	v_cmp_eq_u32_e32 vcc, 1, v3
	s_waitcnt lgkmcnt(0)
	v_add_f32_e32 v2, v2, v4
	v_cndmask_b32_e32 v4, v6, v7, vcc
	v_cmp_eq_u32_e32 vcc, 2, v3
	v_cndmask_b32_e32 v4, v4, v15, vcc
	v_cmp_eq_u32_e32 vcc, 3, v3
	;; [unrolled: 2-line block ×8, first 2 shown]
	v_cndmask_b32_e32 v2, v1, v2, vcc
	v_lshl_or_b32 v0, s2, 2, v0
	v_mov_b32_e32 v1, 0
	v_lshlrev_b64 v[0:1], 2, v[0:1]
	v_mov_b32_e32 v3, s5
	v_add_co_u32_e32 v0, vcc, s4, v0
	v_addc_co_u32_e32 v1, vcc, v3, v1, vcc
	global_store_dword v[0:1], v2, off
.LBB248_15:
	s_endpgm
	.section	.rodata,"a",@progbits
	.p2align	6, 0x0
	.amdhsa_kernel _ZL13mul_mat_vec_qIL9ggml_type23ELi5ELb0ELb0EEvPKvS2_PKi31ggml_cuda_mm_fusion_args_devicePfj15HIP_vector_typeIjLj3EEjjjS8_jjjS8_jjjj
		.amdhsa_group_segment_fixed_size 0
		.amdhsa_private_segment_fixed_size 0
		.amdhsa_kernarg_size 144
		.amdhsa_user_sgpr_count 6
		.amdhsa_user_sgpr_private_segment_buffer 1
		.amdhsa_user_sgpr_dispatch_ptr 0
		.amdhsa_user_sgpr_queue_ptr 0
		.amdhsa_user_sgpr_kernarg_segment_ptr 1
		.amdhsa_user_sgpr_dispatch_id 0
		.amdhsa_user_sgpr_flat_scratch_init 0
		.amdhsa_user_sgpr_private_segment_size 0
		.amdhsa_uses_dynamic_stack 0
		.amdhsa_system_sgpr_private_segment_wavefront_offset 0
		.amdhsa_system_sgpr_workgroup_id_x 1
		.amdhsa_system_sgpr_workgroup_id_y 1
		.amdhsa_system_sgpr_workgroup_id_z 1
		.amdhsa_system_sgpr_workgroup_info 0
		.amdhsa_system_vgpr_workitem_id 1
		.amdhsa_next_free_vgpr 57
		.amdhsa_next_free_sgpr 26
		.amdhsa_reserve_vcc 1
		.amdhsa_reserve_flat_scratch 0
		.amdhsa_float_round_mode_32 0
		.amdhsa_float_round_mode_16_64 0
		.amdhsa_float_denorm_mode_32 3
		.amdhsa_float_denorm_mode_16_64 3
		.amdhsa_dx10_clamp 1
		.amdhsa_ieee_mode 1
		.amdhsa_fp16_overflow 0
		.amdhsa_exception_fp_ieee_invalid_op 0
		.amdhsa_exception_fp_denorm_src 0
		.amdhsa_exception_fp_ieee_div_zero 0
		.amdhsa_exception_fp_ieee_overflow 0
		.amdhsa_exception_fp_ieee_underflow 0
		.amdhsa_exception_fp_ieee_inexact 0
		.amdhsa_exception_int_div_zero 0
	.end_amdhsa_kernel
	.section	.text._ZL13mul_mat_vec_qIL9ggml_type23ELi5ELb0ELb0EEvPKvS2_PKi31ggml_cuda_mm_fusion_args_devicePfj15HIP_vector_typeIjLj3EEjjjS8_jjjS8_jjjj,"axG",@progbits,_ZL13mul_mat_vec_qIL9ggml_type23ELi5ELb0ELb0EEvPKvS2_PKi31ggml_cuda_mm_fusion_args_devicePfj15HIP_vector_typeIjLj3EEjjjS8_jjjS8_jjjj,comdat
.Lfunc_end248:
	.size	_ZL13mul_mat_vec_qIL9ggml_type23ELi5ELb0ELb0EEvPKvS2_PKi31ggml_cuda_mm_fusion_args_devicePfj15HIP_vector_typeIjLj3EEjjjS8_jjjS8_jjjj, .Lfunc_end248-_ZL13mul_mat_vec_qIL9ggml_type23ELi5ELb0ELb0EEvPKvS2_PKi31ggml_cuda_mm_fusion_args_devicePfj15HIP_vector_typeIjLj3EEjjjS8_jjjS8_jjjj
                                        ; -- End function
	.set _ZL13mul_mat_vec_qIL9ggml_type23ELi5ELb0ELb0EEvPKvS2_PKi31ggml_cuda_mm_fusion_args_devicePfj15HIP_vector_typeIjLj3EEjjjS8_jjjS8_jjjj.num_vgpr, 57
	.set _ZL13mul_mat_vec_qIL9ggml_type23ELi5ELb0ELb0EEvPKvS2_PKi31ggml_cuda_mm_fusion_args_devicePfj15HIP_vector_typeIjLj3EEjjjS8_jjjS8_jjjj.num_agpr, 0
	.set _ZL13mul_mat_vec_qIL9ggml_type23ELi5ELb0ELb0EEvPKvS2_PKi31ggml_cuda_mm_fusion_args_devicePfj15HIP_vector_typeIjLj3EEjjjS8_jjjS8_jjjj.numbered_sgpr, 26
	.set _ZL13mul_mat_vec_qIL9ggml_type23ELi5ELb0ELb0EEvPKvS2_PKi31ggml_cuda_mm_fusion_args_devicePfj15HIP_vector_typeIjLj3EEjjjS8_jjjS8_jjjj.num_named_barrier, 0
	.set _ZL13mul_mat_vec_qIL9ggml_type23ELi5ELb0ELb0EEvPKvS2_PKi31ggml_cuda_mm_fusion_args_devicePfj15HIP_vector_typeIjLj3EEjjjS8_jjjS8_jjjj.private_seg_size, 0
	.set _ZL13mul_mat_vec_qIL9ggml_type23ELi5ELb0ELb0EEvPKvS2_PKi31ggml_cuda_mm_fusion_args_devicePfj15HIP_vector_typeIjLj3EEjjjS8_jjjS8_jjjj.uses_vcc, 1
	.set _ZL13mul_mat_vec_qIL9ggml_type23ELi5ELb0ELb0EEvPKvS2_PKi31ggml_cuda_mm_fusion_args_devicePfj15HIP_vector_typeIjLj3EEjjjS8_jjjS8_jjjj.uses_flat_scratch, 0
	.set _ZL13mul_mat_vec_qIL9ggml_type23ELi5ELb0ELb0EEvPKvS2_PKi31ggml_cuda_mm_fusion_args_devicePfj15HIP_vector_typeIjLj3EEjjjS8_jjjS8_jjjj.has_dyn_sized_stack, 0
	.set _ZL13mul_mat_vec_qIL9ggml_type23ELi5ELb0ELb0EEvPKvS2_PKi31ggml_cuda_mm_fusion_args_devicePfj15HIP_vector_typeIjLj3EEjjjS8_jjjS8_jjjj.has_recursion, 0
	.set _ZL13mul_mat_vec_qIL9ggml_type23ELi5ELb0ELb0EEvPKvS2_PKi31ggml_cuda_mm_fusion_args_devicePfj15HIP_vector_typeIjLj3EEjjjS8_jjjS8_jjjj.has_indirect_call, 0
	.section	.AMDGPU.csdata,"",@progbits
; Kernel info:
; codeLenInByte = 4344
; TotalNumSgprs: 30
; NumVgprs: 57
; ScratchSize: 0
; MemoryBound: 0
; FloatMode: 240
; IeeeMode: 1
; LDSByteSize: 0 bytes/workgroup (compile time only)
; SGPRBlocks: 3
; VGPRBlocks: 14
; NumSGPRsForWavesPerEU: 30
; NumVGPRsForWavesPerEU: 57
; Occupancy: 4
; WaveLimiterHint : 0
; COMPUTE_PGM_RSRC2:SCRATCH_EN: 0
; COMPUTE_PGM_RSRC2:USER_SGPR: 6
; COMPUTE_PGM_RSRC2:TRAP_HANDLER: 0
; COMPUTE_PGM_RSRC2:TGID_X_EN: 1
; COMPUTE_PGM_RSRC2:TGID_Y_EN: 1
; COMPUTE_PGM_RSRC2:TGID_Z_EN: 1
; COMPUTE_PGM_RSRC2:TIDIG_COMP_CNT: 1
	.section	.text._ZL13mul_mat_vec_qIL9ggml_type23ELi6ELb0ELb0EEvPKvS2_PKi31ggml_cuda_mm_fusion_args_devicePfj15HIP_vector_typeIjLj3EEjjjS8_jjjS8_jjjj,"axG",@progbits,_ZL13mul_mat_vec_qIL9ggml_type23ELi6ELb0ELb0EEvPKvS2_PKi31ggml_cuda_mm_fusion_args_devicePfj15HIP_vector_typeIjLj3EEjjjS8_jjjS8_jjjj,comdat
	.globl	_ZL13mul_mat_vec_qIL9ggml_type23ELi6ELb0ELb0EEvPKvS2_PKi31ggml_cuda_mm_fusion_args_devicePfj15HIP_vector_typeIjLj3EEjjjS8_jjjS8_jjjj ; -- Begin function _ZL13mul_mat_vec_qIL9ggml_type23ELi6ELb0ELb0EEvPKvS2_PKi31ggml_cuda_mm_fusion_args_devicePfj15HIP_vector_typeIjLj3EEjjjS8_jjjS8_jjjj
	.p2align	8
	.type	_ZL13mul_mat_vec_qIL9ggml_type23ELi6ELb0ELb0EEvPKvS2_PKi31ggml_cuda_mm_fusion_args_devicePfj15HIP_vector_typeIjLj3EEjjjS8_jjjS8_jjjj,@function
_ZL13mul_mat_vec_qIL9ggml_type23ELi6ELb0ELb0EEvPKvS2_PKi31ggml_cuda_mm_fusion_args_devicePfj15HIP_vector_typeIjLj3EEjjjS8_jjjS8_jjjj: ; @_ZL13mul_mat_vec_qIL9ggml_type23ELi6ELb0ELb0EEvPKvS2_PKi31ggml_cuda_mm_fusion_args_devicePfj15HIP_vector_typeIjLj3EEjjjS8_jjjS8_jjjj
; %bb.0:
	s_load_dword s9, s[4:5], 0x40
	s_load_dwordx4 s[0:3], s[4:5], 0x50
	s_load_dword s25, s[4:5], 0x60
	s_load_dwordx4 s[12:15], s[4:5], 0x68
	;; [unrolled: 2-line block ×3, first 2 shown]
	v_lshl_or_b32 v2, v1, 6, v0
	s_waitcnt lgkmcnt(0)
	s_lshr_b32 s9, s9, 8
	v_lshrrev_b32_e32 v20, 3, v2
	v_mov_b32_e32 v8, 0
	s_lshl_b32 s6, s6, 1
	v_cmp_gt_u32_e32 vcc, s9, v20
	v_mov_b32_e32 v9, v8
	v_mov_b32_e32 v10, v8
	;; [unrolled: 1-line block ×11, first 2 shown]
	s_and_saveexec_b64 s[10:11], vcc
	s_cbranch_execz .LBB249_4
; %bb.1:
	s_mul_hi_u32 s3, s3, s7
	s_add_i32 s3, s7, s3
	s_load_dwordx4 s[20:23], s[4:5], 0x0
	s_lshr_b32 s3, s3, s25
	s_mul_i32 s3, s3, s12
	s_mul_hi_u32 s12, s15, s8
	s_add_i32 s12, s8, s12
	s_lshr_b32 s12, s12, s24
	s_mul_i32 s19, s17, s8
	s_mul_i32 s15, s12, s16
	;; [unrolled: 1-line block ×3, first 2 shown]
	s_mul_hi_u32 s12, s19, 36
	s_waitcnt lgkmcnt(0)
	s_add_u32 s16, s22, s16
	s_addc_u32 s17, s23, s12
	s_mul_i32 s12, s13, s7
	s_mul_hi_u32 s13, s12, 36
	s_mul_i32 s12, s12, 36
	s_add_u32 s16, s16, s12
	s_addc_u32 s17, s17, s13
	v_and_b32_e32 v7, 7, v0
	v_mad_u64_u32 v[2:3], s[16:17], v7, 36, s[16:17]
	v_lshlrev_b32_e32 v4, 2, v0
	s_add_i32 s16, s6, 1
	v_and_b32_e32 v6, 28, v4
	s_add_i32 s15, s15, s3
	v_bfe_u32 v21, v4, 3, 2
	v_and_b32_e32 v22, 4, v4
	s_mul_i32 s3, s6, s0
	s_mul_i32 s0, s0, s16
	v_mov_b32_e32 v4, s12
	s_add_i32 s3, s15, s3
	s_add_i32 s0, s15, s0
	s_movk_i32 s15, 0x120
	v_mov_b32_e32 v5, s13
	v_mad_u64_u32 v[4:5], s[12:13], v20, s15, v[4:5]
	v_mov_b32_e32 v8, 0
	v_lshrrev_b32_e32 v23, 1, v6
	v_mad_u64_u32 v[4:5], s[12:13], s19, 36, v[4:5]
	v_lshlrev_b32_e32 v25, 2, v6
	v_lshlrev_b32_e32 v24, 3, v20
	v_mad_u64_u32 v[4:5], s[12:13], v7, 36, v[4:5]
	v_mov_b32_e32 v7, s23
	s_mul_i32 s15, s1, 5
	v_add_co_u32_e32 v4, vcc, s22, v4
	v_addc_co_u32_e32 v5, vcc, v7, v5, vcc
	v_add_co_u32_e32 v4, vcc, 16, v4
	v_mov_b32_e32 v6, s20
	s_lshl_b32 s16, s1, 2
	s_mul_i32 s17, s1, 3
	s_lshl_b32 s19, s1, 1
	v_addc_co_u32_e32 v5, vcc, 0, v5, vcc
	s_mov_b64 s[12:13], 0
	s_movk_i32 s22, 0x88
	s_mov_b32 s23, 0xf6eaddcf
	s_mov_b32 s24, 0x71594535
	v_mov_b32_e32 v26, 0xbfad9881
	v_mov_b32_e32 v27, 0x26190d01
	;; [unrolled: 1-line block ×14, first 2 shown]
.LBB249_2:                              ; =>This Inner Loop Header: Depth=1
	v_add_u32_e32 v28, s3, v20
	v_mad_i64_i32 v[36:37], s[20:21], v28, s22, v[6:7]
	global_load_dword v47, v[4:5], off offset:16
	global_load_dwordx4 v[49:52], v[4:5], off
	global_load_dwordx4 v[42:45], v[4:5], off offset:-16
	v_add_co_u32_e32 v28, vcc, v36, v25
	v_addc_co_u32_e32 v29, vcc, 0, v37, vcc
	global_load_dwordx4 v[31:34], v[28:29], off offset:8
	s_waitcnt vmcnt(1)
	v_cvt_f32_f16_e32 v48, v42
	s_waitcnt vmcnt(0)
	v_ashrrev_i32_e32 v29, 4, v31
	v_and_b32_e32 v28, 0x7070707, v31
	v_lshrrev_b32_e32 v31, 1, v31
	v_and_b32_e32 v35, 0x7070707, v29
	v_and_b32_e32 v31, 0x4040404, v31
	v_lshrrev_b32_e32 v29, 1, v29
	v_perm_b32 v30, s23, v26, v28
	v_perm_b32 v28, s24, v27, v28
	v_or_b32_e32 v31, 0x3020100, v31
	v_and_b32_e32 v29, 0x4040404, v29
	v_perm_b32 v38, s23, v26, v35
	v_perm_b32 v35, s24, v27, v35
	;; [unrolled: 1-line block ×3, first 2 shown]
	v_or_b32_e32 v29, 0x3020100, v29
	v_perm_b32 v29, v35, v38, v29
	v_dot4_i32_i8 v30, v28, v43, 0
	v_dot4_i32_i8 v35, v29, v50, v30
	v_ashrrev_i32_e32 v31, 4, v32
	v_and_b32_e32 v30, 0x7070707, v32
	v_lshrrev_b32_e32 v32, 1, v32
	v_and_b32_e32 v39, 0x7070707, v31
	v_and_b32_e32 v32, 0x4040404, v32
	v_lshrrev_b32_e32 v31, 1, v31
	v_perm_b32 v38, s23, v26, v30
	v_perm_b32 v30, s24, v27, v30
	v_or_b32_e32 v32, 0x3020100, v32
	v_and_b32_e32 v31, 0x4040404, v31
	v_perm_b32 v40, s23, v26, v39
	v_perm_b32 v39, s24, v27, v39
	;; [unrolled: 1-line block ×3, first 2 shown]
	v_or_b32_e32 v31, 0x3020100, v31
	v_perm_b32 v31, v39, v40, v31
	v_dot4_i32_i8 v32, v30, v44, v35
	v_dot4_i32_i8 v35, v31, v51, v32
	v_ashrrev_i32_e32 v38, 4, v33
	v_and_b32_e32 v32, 0x7070707, v33
	v_lshrrev_b32_e32 v33, 1, v33
	v_and_b32_e32 v33, 0x4040404, v33
	v_perm_b32 v39, s23, v26, v32
	v_perm_b32 v32, s24, v27, v32
	v_or_b32_e32 v33, 0x3020100, v33
	v_perm_b32 v32, v32, v39, v33
	v_lshrrev_b32_e32 v33, 1, v38
	v_and_b32_e32 v40, 0x7070707, v38
	v_and_b32_e32 v33, 0x4040404, v33
	v_perm_b32 v41, s23, v26, v40
	v_perm_b32 v40, s24, v27, v40
	v_or_b32_e32 v33, 0x3020100, v33
	v_perm_b32 v33, v40, v41, v33
	v_dot4_i32_i8 v35, v32, v45, v35
	v_dot4_i32_i8 v38, v33, v52, v35
	v_ashrrev_i32_e32 v35, 4, v34
	v_and_b32_e32 v39, 0x7070707, v34
	v_lshrrev_b32_e32 v34, 1, v34
	v_and_b32_e32 v41, 0x7070707, v35
	v_and_b32_e32 v34, 0x4040404, v34
	v_lshrrev_b32_e32 v35, 1, v35
	v_perm_b32 v40, s23, v26, v39
	v_perm_b32 v39, s24, v27, v39
	v_or_b32_e32 v34, 0x3020100, v34
	v_and_b32_e32 v35, 0x4040404, v35
	v_perm_b32 v42, s23, v26, v41
	v_perm_b32 v41, s24, v27, v41
	;; [unrolled: 1-line block ×3, first 2 shown]
	v_or_b32_e32 v35, 0x3020100, v35
	v_perm_b32 v35, v41, v42, v35
	v_dot4_i32_i8 v38, v34, v49, v38
	v_dot4_i32_i8 v40, v35, v47, v38
	v_add_co_u32_e32 v38, vcc, v36, v21
	v_addc_co_u32_e32 v39, vcc, 0, v37, vcc
	global_load_ubyte v38, v[38:39], off offset:4
	s_nop 0
	global_load_dword v37, v[36:37], off
	s_waitcnt vmcnt(1)
	v_bfe_u32 v38, v38, v22, 4
	s_waitcnt vmcnt(0)
	v_lshrrev_b32_sdwa v36, v23, v37 dst_sel:DWORD dst_unused:UNUSED_PAD src0_sel:DWORD src1_sel:WORD_1
	v_lshlrev_b32_e32 v36, 4, v36
	v_and_or_b32 v36, v36, 48, v38
	v_subrev_u32_e32 v36, 32, v36
	v_mul_lo_u32 v38, v36, v40
	v_cvt_f32_f16_e32 v37, v37
	v_cvt_f32_i32_e32 v38, v38
	v_mul_f32_e32 v39, v37, v48
	v_fmac_f32_e32 v19, v39, v38
	v_add_u32_e32 v38, s0, v20
	v_mad_i64_i32 v[57:58], s[20:21], v38, s22, v[6:7]
	v_add_u32_e32 v20, 8, v20
	v_add_co_u32_e32 v38, vcc, v57, v25
	v_addc_co_u32_e32 v39, vcc, 0, v58, vcc
	global_load_dwordx4 v[53:56], v[38:39], off offset:8
	s_waitcnt vmcnt(0)
	v_ashrrev_i32_e32 v38, 4, v53
	v_and_b32_e32 v41, 0x7070707, v38
	v_lshrrev_b32_e32 v46, 1, v53
	v_lshrrev_b32_e32 v38, 1, v38
	v_and_b32_e32 v39, 0x7070707, v53
	v_and_b32_e32 v46, 0x4040404, v46
	;; [unrolled: 1-line block ×3, first 2 shown]
	v_perm_b32 v40, s23, v26, v39
	v_perm_b32 v42, s23, v26, v41
	v_perm_b32 v39, s24, v27, v39
	v_perm_b32 v41, s24, v27, v41
	v_or_b32_e32 v46, 0x3020100, v46
	v_or_b32_e32 v38, 0x3020100, v38
	v_lshrrev_b32_e32 v53, 1, v54
	v_perm_b32 v39, v39, v40, v46
	v_perm_b32 v40, v41, v42, v38
	v_ashrrev_i32_e32 v42, 4, v54
	v_and_b32_e32 v41, 0x7070707, v54
	v_and_b32_e32 v53, 0x4040404, v53
	v_dot4_i32_i8 v38, v39, v43, 0
	v_perm_b32 v43, s23, v26, v41
	v_and_b32_e32 v46, 0x7070707, v42
	v_perm_b32 v41, s24, v27, v41
	v_or_b32_e32 v53, 0x3020100, v53
	v_lshrrev_b32_e32 v42, 1, v42
	v_dot4_i32_i8 v38, v40, v50, v38
	v_perm_b32 v41, v41, v43, v53
	v_and_b32_e32 v42, 0x4040404, v42
	v_lshrrev_b32_e32 v53, 1, v55
	v_perm_b32 v50, s23, v26, v46
	v_perm_b32 v46, s24, v27, v46
	v_or_b32_e32 v42, 0x3020100, v42
	v_dot4_i32_i8 v38, v41, v44, v38
	v_ashrrev_i32_e32 v44, 4, v55
	v_and_b32_e32 v43, 0x7070707, v55
	v_and_b32_e32 v53, 0x4040404, v53
	v_perm_b32 v42, v46, v50, v42
	v_perm_b32 v46, s23, v26, v43
	v_and_b32_e32 v50, 0x7070707, v44
	v_perm_b32 v43, s24, v27, v43
	v_or_b32_e32 v53, 0x3020100, v53
	v_lshrrev_b32_e32 v44, 1, v44
	v_dot4_i32_i8 v38, v42, v51, v38
	v_perm_b32 v43, v43, v46, v53
	v_and_b32_e32 v44, 0x4040404, v44
	v_lshrrev_b32_e32 v53, 1, v56
	v_perm_b32 v51, s23, v26, v50
	v_perm_b32 v50, s24, v27, v50
	v_or_b32_e32 v44, 0x3020100, v44
	v_dot4_i32_i8 v38, v43, v45, v38
	v_ashrrev_i32_e32 v46, 4, v56
	v_and_b32_e32 v45, 0x7070707, v56
	v_and_b32_e32 v53, 0x4040404, v53
	v_perm_b32 v44, v50, v51, v44
	v_perm_b32 v50, s23, v26, v45
	v_and_b32_e32 v51, 0x7070707, v46
	v_perm_b32 v45, s24, v27, v45
	v_or_b32_e32 v53, 0x3020100, v53
	v_lshrrev_b32_e32 v46, 1, v46
	v_dot4_i32_i8 v38, v44, v52, v38
	v_perm_b32 v45, v45, v50, v53
	v_and_b32_e32 v46, 0x4040404, v46
	v_perm_b32 v52, s23, v26, v51
	v_perm_b32 v51, s24, v27, v51
	v_or_b32_e32 v46, 0x3020100, v46
	v_dot4_i32_i8 v38, v45, v49, v38
	v_add_co_u32_e32 v49, vcc, v57, v21
	v_perm_b32 v46, v51, v52, v46
	v_addc_co_u32_e32 v50, vcc, 0, v58, vcc
	v_dot4_i32_i8 v38, v46, v47, v38
	global_load_ubyte v47, v[49:50], off offset:4
	v_add_co_u32_e32 v4, vcc, 0x900, v4
	global_load_dword v49, v[57:58], off
	v_addc_co_u32_e32 v5, vcc, 0, v5, vcc
	v_cmp_le_u32_e32 vcc, s9, v20
	s_or_b64 s[12:13], vcc, s[12:13]
	s_waitcnt vmcnt(1)
	v_bfe_u32 v47, v47, v22, 4
	s_waitcnt vmcnt(0)
	v_lshrrev_b32_sdwa v50, v23, v49 dst_sel:DWORD dst_unused:UNUSED_PAD src0_sel:DWORD src1_sel:WORD_1
	v_lshlrev_b32_e32 v50, 4, v50
	v_and_or_b32 v47, v50, 48, v47
	v_subrev_u32_e32 v47, 32, v47
	v_mul_lo_u32 v50, v47, v38
	v_cvt_f32_f16_e32 v38, v49
	v_cvt_f32_i32_e32 v49, v50
	v_mul_f32_e32 v48, v38, v48
	v_fmac_f32_e32 v18, v48, v49
	v_add_u32_e32 v48, s1, v24
	v_mad_u64_u32 v[56:57], s[20:21], v48, 36, v[2:3]
	global_load_dword v58, v[56:57], off offset:32
	global_load_dwordx4 v[48:51], v[56:57], off offset:16
	global_load_dwordx4 v[52:55], v[56:57], off
	s_waitcnt vmcnt(0)
	v_dot4_i32_i8 v56, v28, v53, 0
	v_dot4_i32_i8 v53, v39, v53, 0
	v_dot4_i32_i8 v56, v29, v49, v56
	v_dot4_i32_i8 v49, v40, v49, v53
	v_dot4_i32_i8 v56, v30, v54, v56
	v_dot4_i32_i8 v49, v41, v54, v49
	v_dot4_i32_i8 v56, v31, v50, v56
	v_dot4_i32_i8 v49, v42, v50, v49
	v_dot4_i32_i8 v56, v32, v55, v56
	v_dot4_i32_i8 v49, v43, v55, v49
	v_dot4_i32_i8 v56, v33, v51, v56
	v_dot4_i32_i8 v49, v44, v51, v49
	v_dot4_i32_i8 v56, v34, v48, v56
	v_dot4_i32_i8 v48, v45, v48, v49
	v_dot4_i32_i8 v48, v46, v58, v48
	v_dot4_i32_i8 v56, v35, v58, v56
	v_mul_lo_u32 v48, v47, v48
	v_mul_lo_u32 v56, v36, v56
	v_cvt_f32_f16_e32 v52, v52
	v_cvt_f32_i32_e32 v48, v48
	v_cvt_f32_i32_e32 v56, v56
	v_mul_f32_e32 v49, v38, v52
	v_mul_f32_e32 v57, v37, v52
	v_fmac_f32_e32 v16, v49, v48
	v_add_u32_e32 v48, s19, v24
	v_fmac_f32_e32 v17, v57, v56
	v_mad_u64_u32 v[56:57], s[20:21], v48, 36, v[2:3]
	global_load_dword v58, v[56:57], off offset:32
	global_load_dwordx4 v[48:51], v[56:57], off offset:16
	global_load_dwordx4 v[52:55], v[56:57], off
	s_waitcnt vmcnt(0)
	v_dot4_i32_i8 v56, v28, v53, 0
	v_dot4_i32_i8 v53, v39, v53, 0
	v_dot4_i32_i8 v56, v29, v49, v56
	v_dot4_i32_i8 v49, v40, v49, v53
	v_dot4_i32_i8 v56, v30, v54, v56
	v_dot4_i32_i8 v49, v41, v54, v49
	v_dot4_i32_i8 v56, v31, v50, v56
	v_dot4_i32_i8 v49, v42, v50, v49
	v_dot4_i32_i8 v56, v32, v55, v56
	v_dot4_i32_i8 v49, v43, v55, v49
	v_dot4_i32_i8 v56, v33, v51, v56
	v_dot4_i32_i8 v49, v44, v51, v49
	v_dot4_i32_i8 v56, v34, v48, v56
	v_dot4_i32_i8 v48, v45, v48, v49
	v_dot4_i32_i8 v48, v46, v58, v48
	v_dot4_i32_i8 v56, v35, v58, v56
	v_mul_lo_u32 v48, v47, v48
	v_mul_lo_u32 v56, v36, v56
	v_cvt_f32_f16_e32 v52, v52
	v_cvt_f32_i32_e32 v48, v48
	v_cvt_f32_i32_e32 v56, v56
	v_mul_f32_e32 v49, v38, v52
	v_mul_f32_e32 v57, v37, v52
	v_fmac_f32_e32 v14, v49, v48
	v_add_u32_e32 v48, s17, v24
	v_fmac_f32_e32 v15, v57, v56
	v_mad_u64_u32 v[56:57], s[20:21], v48, 36, v[2:3]
	global_load_dword v58, v[56:57], off offset:32
	global_load_dwordx4 v[48:51], v[56:57], off offset:16
	global_load_dwordx4 v[52:55], v[56:57], off
	s_waitcnt vmcnt(0)
	v_dot4_i32_i8 v56, v28, v53, 0
	v_dot4_i32_i8 v53, v39, v53, 0
	v_dot4_i32_i8 v56, v29, v49, v56
	v_dot4_i32_i8 v49, v40, v49, v53
	v_dot4_i32_i8 v56, v30, v54, v56
	v_dot4_i32_i8 v49, v41, v54, v49
	v_dot4_i32_i8 v56, v31, v50, v56
	v_dot4_i32_i8 v49, v42, v50, v49
	v_dot4_i32_i8 v56, v32, v55, v56
	v_dot4_i32_i8 v49, v43, v55, v49
	v_dot4_i32_i8 v56, v33, v51, v56
	v_dot4_i32_i8 v49, v44, v51, v49
	v_dot4_i32_i8 v56, v34, v48, v56
	v_dot4_i32_i8 v48, v45, v48, v49
	v_dot4_i32_i8 v48, v46, v58, v48
	v_dot4_i32_i8 v56, v35, v58, v56
	v_mul_lo_u32 v48, v47, v48
	v_mul_lo_u32 v56, v36, v56
	v_cvt_f32_f16_e32 v52, v52
	v_cvt_f32_i32_e32 v48, v48
	v_cvt_f32_i32_e32 v56, v56
	v_mul_f32_e32 v49, v38, v52
	v_mul_f32_e32 v57, v37, v52
	v_fmac_f32_e32 v12, v49, v48
	v_add_u32_e32 v48, s16, v24
	v_fmac_f32_e32 v13, v57, v56
	v_mad_u64_u32 v[56:57], s[20:21], v48, 36, v[2:3]
	global_load_dword v58, v[56:57], off offset:32
	global_load_dwordx4 v[48:51], v[56:57], off offset:16
	global_load_dwordx4 v[52:55], v[56:57], off
	s_waitcnt vmcnt(0)
	v_dot4_i32_i8 v56, v28, v53, 0
	v_dot4_i32_i8 v53, v39, v53, 0
	v_dot4_i32_i8 v56, v29, v49, v56
	v_dot4_i32_i8 v49, v40, v49, v53
	v_dot4_i32_i8 v56, v30, v54, v56
	v_dot4_i32_i8 v49, v41, v54, v49
	v_dot4_i32_i8 v56, v31, v50, v56
	v_dot4_i32_i8 v49, v42, v50, v49
	v_dot4_i32_i8 v56, v32, v55, v56
	v_dot4_i32_i8 v49, v43, v55, v49
	v_dot4_i32_i8 v56, v33, v51, v56
	v_dot4_i32_i8 v49, v44, v51, v49
	v_dot4_i32_i8 v56, v34, v48, v56
	v_dot4_i32_i8 v48, v45, v48, v49
	v_dot4_i32_i8 v48, v46, v58, v48
	v_dot4_i32_i8 v56, v35, v58, v56
	v_mul_lo_u32 v48, v47, v48
	v_mul_lo_u32 v56, v36, v56
	v_cvt_f32_f16_e32 v52, v52
	v_cvt_f32_i32_e32 v48, v48
	v_cvt_f32_i32_e32 v56, v56
	v_mul_f32_e32 v49, v38, v52
	v_mul_f32_e32 v57, v37, v52
	v_fmac_f32_e32 v10, v49, v48
	v_add_u32_e32 v48, s15, v24
	v_fmac_f32_e32 v11, v57, v56
	v_mad_u64_u32 v[56:57], s[20:21], v48, 36, v[2:3]
	global_load_dword v58, v[56:57], off offset:32
	global_load_dwordx4 v[48:51], v[56:57], off offset:16
	global_load_dwordx4 v[52:55], v[56:57], off
	v_add_u32_e32 v24, 64, v24
	s_waitcnt vmcnt(0)
	v_dot4_i32_i8 v28, v28, v53, 0
	v_dot4_i32_i8 v28, v29, v49, v28
	;; [unrolled: 1-line block ×8, first 2 shown]
	v_mul_lo_u32 v28, v36, v28
	v_cvt_f32_f16_e32 v52, v52
	v_cvt_f32_i32_e32 v28, v28
	v_mul_f32_e32 v29, v37, v52
	v_fmac_f32_e32 v9, v29, v28
	v_dot4_i32_i8 v28, v39, v53, 0
	v_dot4_i32_i8 v28, v40, v49, v28
	;; [unrolled: 1-line block ×8, first 2 shown]
	v_mul_lo_u32 v28, v47, v28
	v_mul_f32_e32 v29, v38, v52
	v_cvt_f32_i32_e32 v28, v28
	v_fmac_f32_e32 v8, v29, v28
	s_andn2_b64 exec, exec, s[12:13]
	s_cbranch_execnz .LBB249_2
; %bb.3:
	s_or_b64 exec, exec, s[12:13]
.LBB249_4:
	s_or_b64 exec, exec, s[10:11]
	s_mov_b32 s1, 0
	v_cmp_eq_u32_e32 vcc, 0, v1
	; wave barrier
	s_and_saveexec_b64 s[10:11], vcc
	s_cbranch_execz .LBB249_17
; %bb.5:
	v_mbcnt_lo_u32_b32 v1, -1, 0
	v_mbcnt_hi_u32_b32 v6, -1, v1
	v_and_b32_e32 v1, 64, v6
	v_add_u32_e32 v7, 64, v1
	v_xor_b32_e32 v1, 32, v6
	v_cmp_lt_i32_e32 vcc, v1, v7
	v_cndmask_b32_e32 v1, v6, v1, vcc
	v_lshlrev_b32_e32 v1, 2, v1
	ds_bpermute_b32 v5, v1, v19
	ds_bpermute_b32 v20, v1, v18
	v_xor_b32_e32 v2, 16, v6
	v_cmp_lt_i32_e32 vcc, v2, v7
	v_cndmask_b32_e32 v2, v6, v2, vcc
	v_lshlrev_b32_e32 v2, 2, v2
	s_waitcnt lgkmcnt(1)
	v_add_f32_e32 v5, v19, v5
	s_waitcnt lgkmcnt(0)
	v_add_f32_e32 v18, v18, v20
	ds_bpermute_b32 v19, v2, v5
	ds_bpermute_b32 v20, v2, v18
	v_xor_b32_e32 v3, 8, v6
	v_cmp_lt_i32_e32 vcc, v3, v7
	v_cndmask_b32_e32 v3, v6, v3, vcc
	v_lshlrev_b32_e32 v3, 2, v3
	s_waitcnt lgkmcnt(1)
	v_add_f32_e32 v19, v5, v19
	s_waitcnt lgkmcnt(0)
	v_add_f32_e32 v18, v18, v20
	;; [unrolled: 10-line block ×3, first 2 shown]
	ds_bpermute_b32 v22, v4, v19
	ds_bpermute_b32 v20, v4, v18
	v_xor_b32_e32 v21, 2, v6
	v_cmp_lt_i32_e32 vcc, v21, v7
	v_cndmask_b32_e32 v21, v6, v21, vcc
	v_lshlrev_b32_e32 v5, 2, v21
	v_xor_b32_e32 v21, 1, v6
	v_cmp_lt_i32_e32 vcc, v21, v7
	s_waitcnt lgkmcnt(1)
	v_add_f32_e32 v7, v19, v22
	s_waitcnt lgkmcnt(0)
	v_add_f32_e32 v20, v18, v20
	v_cndmask_b32_e32 v6, v6, v21, vcc
	ds_bpermute_b32 v19, v5, v7
	ds_bpermute_b32 v21, v5, v20
	s_load_dwordx2 s[4:5], s[4:5], 0x38
	s_mul_i32 s3, s14, s7
	v_lshlrev_b32_e32 v18, 2, v6
	s_waitcnt lgkmcnt(0)
	v_add_f32_e32 v6, v7, v19
	v_add_f32_e32 v19, v20, v21
	s_mul_i32 s0, s18, s8
	s_add_i32 s3, s3, s6
	ds_bpermute_b32 v7, v18, v6
	ds_bpermute_b32 v20, v18, v19
	s_add_i32 s0, s3, s0
	s_lshl_b64 s[0:1], s[0:1], 2
	s_add_u32 s4, s4, s0
	v_add_u32_e32 v21, s6, v0
	s_addc_u32 s5, s5, s1
	v_cmp_gt_u32_e32 vcc, 2, v0
	v_cmp_gt_u32_e64 s[0:1], s2, v21
	s_and_b64 s[0:1], vcc, s[0:1]
	s_waitcnt lgkmcnt(1)
	v_add_f32_e32 v6, v6, v7
	s_waitcnt lgkmcnt(0)
	v_add_f32_e32 v7, v19, v20
	s_and_saveexec_b64 s[6:7], s[0:1]
	s_cbranch_execz .LBB249_7
; %bb.6:
	v_cmp_eq_u32_e32 vcc, 1, v0
	v_cndmask_b32_e32 v19, v6, v7, vcc
	v_cmp_eq_u32_e32 vcc, 2, v0
	v_cndmask_b32_e32 v19, v19, v17, vcc
	;; [unrolled: 2-line block ×11, first 2 shown]
	v_lshlrev_b32_e32 v20, 2, v0
	global_store_dword v20, v19, s[4:5]
.LBB249_7:
	s_or_b64 exec, exec, s[6:7]
	ds_bpermute_b32 v19, v1, v17
	ds_bpermute_b32 v20, v1, v16
	s_waitcnt lgkmcnt(1)
	v_add_f32_e32 v17, v17, v19
	s_waitcnt lgkmcnt(0)
	v_add_f32_e32 v16, v16, v20
	ds_bpermute_b32 v19, v2, v17
	ds_bpermute_b32 v20, v2, v16
	s_waitcnt lgkmcnt(1)
	v_add_f32_e32 v17, v17, v19
	s_waitcnt lgkmcnt(0)
	v_add_f32_e32 v16, v16, v20
	;; [unrolled: 6-line block ×6, first 2 shown]
	s_and_saveexec_b64 s[6:7], s[0:1]
	s_cbranch_execz .LBB249_9
; %bb.8:
	v_add_u32_e32 v19, 2, v0
	v_cmp_eq_u32_e32 vcc, 1, v19
	v_cndmask_b32_e32 v20, v6, v7, vcc
	v_cmp_eq_u32_e32 vcc, 2, v19
	v_cndmask_b32_e32 v20, v20, v17, vcc
	;; [unrolled: 2-line block ×11, first 2 shown]
	v_add_u32_e32 v19, s2, v0
	v_mov_b32_e32 v20, 0
	v_lshlrev_b64 v[19:20], 2, v[19:20]
	v_mov_b32_e32 v22, s5
	v_add_co_u32_e32 v19, vcc, s4, v19
	v_addc_co_u32_e32 v20, vcc, v22, v20, vcc
	global_store_dword v[19:20], v21, off
.LBB249_9:
	s_or_b64 exec, exec, s[6:7]
	ds_bpermute_b32 v19, v1, v15
	ds_bpermute_b32 v20, v1, v14
	s_waitcnt lgkmcnt(1)
	v_add_f32_e32 v15, v15, v19
	s_waitcnt lgkmcnt(0)
	v_add_f32_e32 v14, v14, v20
	ds_bpermute_b32 v19, v2, v15
	ds_bpermute_b32 v20, v2, v14
	s_waitcnt lgkmcnt(1)
	v_add_f32_e32 v15, v15, v19
	s_waitcnt lgkmcnt(0)
	v_add_f32_e32 v14, v14, v20
	;; [unrolled: 6-line block ×6, first 2 shown]
	s_and_saveexec_b64 s[6:7], s[0:1]
	s_cbranch_execz .LBB249_11
; %bb.10:
	v_add_u32_e32 v19, 4, v0
	v_cmp_eq_u32_e32 vcc, 1, v19
	v_cndmask_b32_e32 v20, v6, v7, vcc
	v_cmp_eq_u32_e32 vcc, 2, v19
	v_cndmask_b32_e32 v20, v20, v17, vcc
	;; [unrolled: 2-line block ×11, first 2 shown]
	v_lshl_or_b32 v19, s2, 1, v0
	v_mov_b32_e32 v20, 0
	v_lshlrev_b64 v[19:20], 2, v[19:20]
	v_mov_b32_e32 v22, s5
	v_add_co_u32_e32 v19, vcc, s4, v19
	v_addc_co_u32_e32 v20, vcc, v22, v20, vcc
	global_store_dword v[19:20], v21, off
.LBB249_11:
	s_or_b64 exec, exec, s[6:7]
	ds_bpermute_b32 v19, v1, v13
	ds_bpermute_b32 v20, v1, v12
	s_waitcnt lgkmcnt(1)
	v_add_f32_e32 v13, v13, v19
	s_waitcnt lgkmcnt(0)
	v_add_f32_e32 v12, v12, v20
	ds_bpermute_b32 v19, v2, v13
	ds_bpermute_b32 v20, v2, v12
	s_waitcnt lgkmcnt(1)
	v_add_f32_e32 v13, v13, v19
	s_waitcnt lgkmcnt(0)
	v_add_f32_e32 v12, v12, v20
	;; [unrolled: 6-line block ×6, first 2 shown]
	s_and_saveexec_b64 s[6:7], s[0:1]
	s_cbranch_execz .LBB249_13
; %bb.12:
	v_add_u32_e32 v21, 6, v0
	v_cmp_eq_u32_e32 vcc, 1, v21
	v_cndmask_b32_e32 v19, v6, v7, vcc
	v_cmp_eq_u32_e32 vcc, 2, v21
	v_cndmask_b32_e32 v19, v19, v17, vcc
	;; [unrolled: 2-line block ×10, first 2 shown]
	v_mad_u64_u32 v[19:20], s[8:9], s2, 3, v[0:1]
	v_mov_b32_e32 v20, 0
	v_cmp_eq_u32_e32 vcc, 11, v21
	v_lshlrev_b64 v[19:20], 2, v[19:20]
	v_cndmask_b32_e32 v21, v22, v8, vcc
	v_mov_b32_e32 v22, s5
	v_add_co_u32_e32 v19, vcc, s4, v19
	v_addc_co_u32_e32 v20, vcc, v22, v20, vcc
	global_store_dword v[19:20], v21, off
.LBB249_13:
	s_or_b64 exec, exec, s[6:7]
	ds_bpermute_b32 v19, v1, v11
	ds_bpermute_b32 v20, v1, v10
	s_waitcnt lgkmcnt(1)
	v_add_f32_e32 v11, v11, v19
	s_waitcnt lgkmcnt(0)
	v_add_f32_e32 v10, v10, v20
	ds_bpermute_b32 v19, v2, v11
	ds_bpermute_b32 v20, v2, v10
	s_waitcnt lgkmcnt(1)
	v_add_f32_e32 v11, v11, v19
	s_waitcnt lgkmcnt(0)
	v_add_f32_e32 v10, v10, v20
	;; [unrolled: 6-line block ×6, first 2 shown]
	s_and_saveexec_b64 s[6:7], s[0:1]
	s_cbranch_execz .LBB249_15
; %bb.14:
	v_add_u32_e32 v19, 8, v0
	v_cmp_eq_u32_e32 vcc, 1, v19
	v_cndmask_b32_e32 v20, v6, v7, vcc
	v_cmp_eq_u32_e32 vcc, 2, v19
	v_cndmask_b32_e32 v20, v20, v17, vcc
	v_cmp_eq_u32_e32 vcc, 3, v19
	v_cndmask_b32_e32 v20, v20, v16, vcc
	v_cmp_eq_u32_e32 vcc, 4, v19
	v_cndmask_b32_e32 v20, v20, v15, vcc
	v_cmp_eq_u32_e32 vcc, 5, v19
	v_cndmask_b32_e32 v20, v20, v14, vcc
	v_cmp_eq_u32_e32 vcc, 6, v19
	v_cndmask_b32_e32 v20, v20, v13, vcc
	v_cmp_eq_u32_e32 vcc, 7, v19
	v_cndmask_b32_e32 v20, v20, v12, vcc
	v_cmp_eq_u32_e32 vcc, 8, v19
	v_cndmask_b32_e32 v20, v20, v11, vcc
	v_cmp_eq_u32_e32 vcc, 9, v19
	v_cndmask_b32_e32 v20, v20, v10, vcc
	v_cmp_eq_u32_e32 vcc, 10, v19
	v_cndmask_b32_e32 v20, v20, v9, vcc
	v_cmp_eq_u32_e32 vcc, 11, v19
	v_cndmask_b32_e32 v21, v20, v8, vcc
	v_lshl_or_b32 v19, s2, 2, v0
	v_mov_b32_e32 v20, 0
	v_lshlrev_b64 v[19:20], 2, v[19:20]
	v_mov_b32_e32 v22, s5
	v_add_co_u32_e32 v19, vcc, s4, v19
	v_addc_co_u32_e32 v20, vcc, v22, v20, vcc
	global_store_dword v[19:20], v21, off
.LBB249_15:
	s_or_b64 exec, exec, s[6:7]
	ds_bpermute_b32 v19, v1, v9
	ds_bpermute_b32 v1, v1, v8
	s_waitcnt lgkmcnt(1)
	v_add_f32_e32 v9, v9, v19
	s_waitcnt lgkmcnt(0)
	v_add_f32_e32 v1, v8, v1
	ds_bpermute_b32 v8, v2, v9
	ds_bpermute_b32 v2, v2, v1
	s_waitcnt lgkmcnt(1)
	v_add_f32_e32 v8, v9, v8
	s_waitcnt lgkmcnt(0)
	v_add_f32_e32 v1, v1, v2
	;; [unrolled: 6-line block ×5, first 2 shown]
	ds_bpermute_b32 v3, v18, v1
	ds_bpermute_b32 v4, v18, v2
	s_and_b64 exec, exec, s[0:1]
	s_cbranch_execz .LBB249_17
; %bb.16:
	s_waitcnt lgkmcnt(1)
	v_add_f32_e32 v1, v1, v3
	v_add_u32_e32 v3, 10, v0
	v_cmp_eq_u32_e32 vcc, 1, v3
	s_waitcnt lgkmcnt(0)
	v_add_f32_e32 v2, v2, v4
	v_cndmask_b32_e32 v4, v6, v7, vcc
	v_cmp_eq_u32_e32 vcc, 2, v3
	v_cndmask_b32_e32 v4, v4, v17, vcc
	v_cmp_eq_u32_e32 vcc, 3, v3
	;; [unrolled: 2-line block ×9, first 2 shown]
	v_cndmask_b32_e32 v4, v4, v1, vcc
	v_mad_u64_u32 v[0:1], s[0:1], s2, 5, v[0:1]
	v_mov_b32_e32 v1, 0
	v_cmp_eq_u32_e32 vcc, 11, v3
	v_lshlrev_b64 v[0:1], 2, v[0:1]
	v_cndmask_b32_e32 v2, v4, v2, vcc
	v_mov_b32_e32 v3, s5
	v_add_co_u32_e32 v0, vcc, s4, v0
	v_addc_co_u32_e32 v1, vcc, v3, v1, vcc
	global_store_dword v[0:1], v2, off
.LBB249_17:
	s_endpgm
	.section	.rodata,"a",@progbits
	.p2align	6, 0x0
	.amdhsa_kernel _ZL13mul_mat_vec_qIL9ggml_type23ELi6ELb0ELb0EEvPKvS2_PKi31ggml_cuda_mm_fusion_args_devicePfj15HIP_vector_typeIjLj3EEjjjS8_jjjS8_jjjj
		.amdhsa_group_segment_fixed_size 0
		.amdhsa_private_segment_fixed_size 0
		.amdhsa_kernarg_size 144
		.amdhsa_user_sgpr_count 6
		.amdhsa_user_sgpr_private_segment_buffer 1
		.amdhsa_user_sgpr_dispatch_ptr 0
		.amdhsa_user_sgpr_queue_ptr 0
		.amdhsa_user_sgpr_kernarg_segment_ptr 1
		.amdhsa_user_sgpr_dispatch_id 0
		.amdhsa_user_sgpr_flat_scratch_init 0
		.amdhsa_user_sgpr_private_segment_size 0
		.amdhsa_uses_dynamic_stack 0
		.amdhsa_system_sgpr_private_segment_wavefront_offset 0
		.amdhsa_system_sgpr_workgroup_id_x 1
		.amdhsa_system_sgpr_workgroup_id_y 1
		.amdhsa_system_sgpr_workgroup_id_z 1
		.amdhsa_system_sgpr_workgroup_info 0
		.amdhsa_system_vgpr_workitem_id 1
		.amdhsa_next_free_vgpr 59
		.amdhsa_next_free_sgpr 26
		.amdhsa_reserve_vcc 1
		.amdhsa_reserve_flat_scratch 0
		.amdhsa_float_round_mode_32 0
		.amdhsa_float_round_mode_16_64 0
		.amdhsa_float_denorm_mode_32 3
		.amdhsa_float_denorm_mode_16_64 3
		.amdhsa_dx10_clamp 1
		.amdhsa_ieee_mode 1
		.amdhsa_fp16_overflow 0
		.amdhsa_exception_fp_ieee_invalid_op 0
		.amdhsa_exception_fp_denorm_src 0
		.amdhsa_exception_fp_ieee_div_zero 0
		.amdhsa_exception_fp_ieee_overflow 0
		.amdhsa_exception_fp_ieee_underflow 0
		.amdhsa_exception_fp_ieee_inexact 0
		.amdhsa_exception_int_div_zero 0
	.end_amdhsa_kernel
	.section	.text._ZL13mul_mat_vec_qIL9ggml_type23ELi6ELb0ELb0EEvPKvS2_PKi31ggml_cuda_mm_fusion_args_devicePfj15HIP_vector_typeIjLj3EEjjjS8_jjjS8_jjjj,"axG",@progbits,_ZL13mul_mat_vec_qIL9ggml_type23ELi6ELb0ELb0EEvPKvS2_PKi31ggml_cuda_mm_fusion_args_devicePfj15HIP_vector_typeIjLj3EEjjjS8_jjjS8_jjjj,comdat
.Lfunc_end249:
	.size	_ZL13mul_mat_vec_qIL9ggml_type23ELi6ELb0ELb0EEvPKvS2_PKi31ggml_cuda_mm_fusion_args_devicePfj15HIP_vector_typeIjLj3EEjjjS8_jjjS8_jjjj, .Lfunc_end249-_ZL13mul_mat_vec_qIL9ggml_type23ELi6ELb0ELb0EEvPKvS2_PKi31ggml_cuda_mm_fusion_args_devicePfj15HIP_vector_typeIjLj3EEjjjS8_jjjS8_jjjj
                                        ; -- End function
	.set _ZL13mul_mat_vec_qIL9ggml_type23ELi6ELb0ELb0EEvPKvS2_PKi31ggml_cuda_mm_fusion_args_devicePfj15HIP_vector_typeIjLj3EEjjjS8_jjjS8_jjjj.num_vgpr, 59
	.set _ZL13mul_mat_vec_qIL9ggml_type23ELi6ELb0ELb0EEvPKvS2_PKi31ggml_cuda_mm_fusion_args_devicePfj15HIP_vector_typeIjLj3EEjjjS8_jjjS8_jjjj.num_agpr, 0
	.set _ZL13mul_mat_vec_qIL9ggml_type23ELi6ELb0ELb0EEvPKvS2_PKi31ggml_cuda_mm_fusion_args_devicePfj15HIP_vector_typeIjLj3EEjjjS8_jjjS8_jjjj.numbered_sgpr, 26
	.set _ZL13mul_mat_vec_qIL9ggml_type23ELi6ELb0ELb0EEvPKvS2_PKi31ggml_cuda_mm_fusion_args_devicePfj15HIP_vector_typeIjLj3EEjjjS8_jjjS8_jjjj.num_named_barrier, 0
	.set _ZL13mul_mat_vec_qIL9ggml_type23ELi6ELb0ELb0EEvPKvS2_PKi31ggml_cuda_mm_fusion_args_devicePfj15HIP_vector_typeIjLj3EEjjjS8_jjjS8_jjjj.private_seg_size, 0
	.set _ZL13mul_mat_vec_qIL9ggml_type23ELi6ELb0ELb0EEvPKvS2_PKi31ggml_cuda_mm_fusion_args_devicePfj15HIP_vector_typeIjLj3EEjjjS8_jjjS8_jjjj.uses_vcc, 1
	.set _ZL13mul_mat_vec_qIL9ggml_type23ELi6ELb0ELb0EEvPKvS2_PKi31ggml_cuda_mm_fusion_args_devicePfj15HIP_vector_typeIjLj3EEjjjS8_jjjS8_jjjj.uses_flat_scratch, 0
	.set _ZL13mul_mat_vec_qIL9ggml_type23ELi6ELb0ELb0EEvPKvS2_PKi31ggml_cuda_mm_fusion_args_devicePfj15HIP_vector_typeIjLj3EEjjjS8_jjjS8_jjjj.has_dyn_sized_stack, 0
	.set _ZL13mul_mat_vec_qIL9ggml_type23ELi6ELb0ELb0EEvPKvS2_PKi31ggml_cuda_mm_fusion_args_devicePfj15HIP_vector_typeIjLj3EEjjjS8_jjjS8_jjjj.has_recursion, 0
	.set _ZL13mul_mat_vec_qIL9ggml_type23ELi6ELb0ELb0EEvPKvS2_PKi31ggml_cuda_mm_fusion_args_devicePfj15HIP_vector_typeIjLj3EEjjjS8_jjjS8_jjjj.has_indirect_call, 0
	.section	.AMDGPU.csdata,"",@progbits
; Kernel info:
; codeLenInByte = 4992
; TotalNumSgprs: 30
; NumVgprs: 59
; ScratchSize: 0
; MemoryBound: 0
; FloatMode: 240
; IeeeMode: 1
; LDSByteSize: 0 bytes/workgroup (compile time only)
; SGPRBlocks: 3
; VGPRBlocks: 14
; NumSGPRsForWavesPerEU: 30
; NumVGPRsForWavesPerEU: 59
; Occupancy: 4
; WaveLimiterHint : 0
; COMPUTE_PGM_RSRC2:SCRATCH_EN: 0
; COMPUTE_PGM_RSRC2:USER_SGPR: 6
; COMPUTE_PGM_RSRC2:TRAP_HANDLER: 0
; COMPUTE_PGM_RSRC2:TGID_X_EN: 1
; COMPUTE_PGM_RSRC2:TGID_Y_EN: 1
; COMPUTE_PGM_RSRC2:TGID_Z_EN: 1
; COMPUTE_PGM_RSRC2:TIDIG_COMP_CNT: 1
	.section	.text._ZL13mul_mat_vec_qIL9ggml_type23ELi7ELb0ELb0EEvPKvS2_PKi31ggml_cuda_mm_fusion_args_devicePfj15HIP_vector_typeIjLj3EEjjjS8_jjjS8_jjjj,"axG",@progbits,_ZL13mul_mat_vec_qIL9ggml_type23ELi7ELb0ELb0EEvPKvS2_PKi31ggml_cuda_mm_fusion_args_devicePfj15HIP_vector_typeIjLj3EEjjjS8_jjjS8_jjjj,comdat
	.globl	_ZL13mul_mat_vec_qIL9ggml_type23ELi7ELb0ELb0EEvPKvS2_PKi31ggml_cuda_mm_fusion_args_devicePfj15HIP_vector_typeIjLj3EEjjjS8_jjjS8_jjjj ; -- Begin function _ZL13mul_mat_vec_qIL9ggml_type23ELi7ELb0ELb0EEvPKvS2_PKi31ggml_cuda_mm_fusion_args_devicePfj15HIP_vector_typeIjLj3EEjjjS8_jjjS8_jjjj
	.p2align	8
	.type	_ZL13mul_mat_vec_qIL9ggml_type23ELi7ELb0ELb0EEvPKvS2_PKi31ggml_cuda_mm_fusion_args_devicePfj15HIP_vector_typeIjLj3EEjjjS8_jjjS8_jjjj,@function
_ZL13mul_mat_vec_qIL9ggml_type23ELi7ELb0ELb0EEvPKvS2_PKi31ggml_cuda_mm_fusion_args_devicePfj15HIP_vector_typeIjLj3EEjjjS8_jjjS8_jjjj: ; @_ZL13mul_mat_vec_qIL9ggml_type23ELi7ELb0ELb0EEvPKvS2_PKi31ggml_cuda_mm_fusion_args_devicePfj15HIP_vector_typeIjLj3EEjjjS8_jjjS8_jjjj
; %bb.0:
	s_load_dword s9, s[4:5], 0x40
	s_load_dwordx4 s[0:3], s[4:5], 0x50
	s_load_dword s25, s[4:5], 0x60
	s_load_dwordx4 s[12:15], s[4:5], 0x68
	s_load_dword s24, s[4:5], 0x78
	s_load_dwordx4 s[16:19], s[4:5], 0x80
	v_lshl_or_b32 v2, v1, 6, v0
	s_waitcnt lgkmcnt(0)
	s_lshr_b32 s9, s9, 8
	v_lshrrev_b32_e32 v22, 3, v2
	s_lshl_b32 s6, s6, 1
	v_cmp_gt_u32_e32 vcc, s9, v22
	v_mov_b32_e32 v8, 0
	v_mov_b32_e32 v9, 0
	;; [unrolled: 1-line block ×14, first 2 shown]
	s_and_saveexec_b64 s[10:11], vcc
	s_cbranch_execz .LBB250_4
; %bb.1:
	s_mul_hi_u32 s3, s3, s7
	s_add_i32 s3, s7, s3
	s_load_dwordx4 s[20:23], s[4:5], 0x0
	s_lshr_b32 s3, s3, s25
	s_mul_i32 s3, s3, s12
	s_mul_hi_u32 s12, s15, s8
	s_add_i32 s12, s8, s12
	s_lshr_b32 s12, s12, s24
	s_mul_i32 s19, s17, s8
	s_mul_i32 s15, s12, s16
	;; [unrolled: 1-line block ×3, first 2 shown]
	s_mul_hi_u32 s12, s19, 36
	s_waitcnt lgkmcnt(0)
	s_add_u32 s16, s22, s16
	s_addc_u32 s17, s23, s12
	s_mul_i32 s12, s13, s7
	s_mul_hi_u32 s13, s12, 36
	s_mul_i32 s12, s12, 36
	s_add_u32 s16, s16, s12
	s_addc_u32 s17, s17, s13
	v_and_b32_e32 v7, 7, v0
	v_mad_u64_u32 v[2:3], s[16:17], v7, 36, s[16:17]
	v_lshlrev_b32_e32 v4, 2, v0
	s_add_i32 s16, s6, 1
	v_and_b32_e32 v6, 28, v4
	s_add_i32 s15, s15, s3
	v_bfe_u32 v23, v4, 3, 2
	v_and_b32_e32 v24, 4, v4
	s_mul_i32 s3, s6, s0
	s_mul_i32 s0, s0, s16
	v_mov_b32_e32 v4, s12
	s_add_i32 s3, s15, s3
	s_add_i32 s0, s15, s0
	s_movk_i32 s15, 0x120
	v_mov_b32_e32 v5, s13
	v_mad_u64_u32 v[4:5], s[12:13], v22, s15, v[4:5]
	v_lshrrev_b32_e32 v25, 1, v6
	v_lshlrev_b32_e32 v27, 2, v6
	v_mad_u64_u32 v[4:5], s[12:13], s19, 36, v[4:5]
	v_mov_b32_e32 v8, 0
	v_lshlrev_b32_e32 v26, 3, v22
	v_mad_u64_u32 v[4:5], s[12:13], v7, 36, v[4:5]
	v_mov_b32_e32 v7, s23
	s_mul_i32 s15, s1, 6
	v_add_co_u32_e32 v4, vcc, s22, v4
	v_addc_co_u32_e32 v5, vcc, v7, v5, vcc
	v_add_co_u32_e32 v4, vcc, 16, v4
	v_mov_b32_e32 v6, s20
	s_mul_i32 s16, s1, 5
	s_lshl_b32 s17, s1, 2
	s_mul_i32 s19, s1, 3
	s_lshl_b32 s24, s1, 1
	v_addc_co_u32_e32 v5, vcc, 0, v5, vcc
	s_mov_b64 s[12:13], 0
	s_movk_i32 s22, 0x88
	s_mov_b32 s23, 0xf6eaddcf
	s_mov_b32 s25, 0x71594535
	v_mov_b32_e32 v28, 0xbfad9881
	v_mov_b32_e32 v29, 0x26190d01
	;; [unrolled: 1-line block ×16, first 2 shown]
.LBB250_2:                              ; =>This Inner Loop Header: Depth=1
	v_add_u32_e32 v30, s3, v22
	v_mad_i64_i32 v[38:39], s[20:21], v30, s22, v[6:7]
	global_load_dword v49, v[4:5], off offset:16
	global_load_dwordx4 v[51:54], v[4:5], off
	global_load_dwordx4 v[44:47], v[4:5], off offset:-16
	v_add_co_u32_e32 v30, vcc, v38, v27
	v_addc_co_u32_e32 v31, vcc, 0, v39, vcc
	global_load_dwordx4 v[33:36], v[30:31], off offset:8
	s_waitcnt vmcnt(1)
	v_cvt_f32_f16_e32 v50, v44
	s_waitcnt vmcnt(0)
	v_ashrrev_i32_e32 v31, 4, v33
	v_and_b32_e32 v30, 0x7070707, v33
	v_lshrrev_b32_e32 v33, 1, v33
	v_and_b32_e32 v37, 0x7070707, v31
	v_and_b32_e32 v33, 0x4040404, v33
	v_lshrrev_b32_e32 v31, 1, v31
	v_perm_b32 v32, s23, v28, v30
	v_perm_b32 v30, s25, v29, v30
	v_or_b32_e32 v33, 0x3020100, v33
	v_and_b32_e32 v31, 0x4040404, v31
	v_perm_b32 v40, s23, v28, v37
	v_perm_b32 v37, s25, v29, v37
	;; [unrolled: 1-line block ×3, first 2 shown]
	v_or_b32_e32 v31, 0x3020100, v31
	v_perm_b32 v31, v37, v40, v31
	v_dot4_i32_i8 v32, v30, v45, 0
	v_dot4_i32_i8 v37, v31, v52, v32
	v_ashrrev_i32_e32 v33, 4, v34
	v_and_b32_e32 v32, 0x7070707, v34
	v_lshrrev_b32_e32 v34, 1, v34
	v_and_b32_e32 v41, 0x7070707, v33
	v_and_b32_e32 v34, 0x4040404, v34
	v_lshrrev_b32_e32 v33, 1, v33
	v_perm_b32 v40, s23, v28, v32
	v_perm_b32 v32, s25, v29, v32
	v_or_b32_e32 v34, 0x3020100, v34
	v_and_b32_e32 v33, 0x4040404, v33
	v_perm_b32 v42, s23, v28, v41
	v_perm_b32 v41, s25, v29, v41
	;; [unrolled: 1-line block ×3, first 2 shown]
	v_or_b32_e32 v33, 0x3020100, v33
	v_perm_b32 v33, v41, v42, v33
	v_dot4_i32_i8 v34, v32, v46, v37
	v_dot4_i32_i8 v37, v33, v53, v34
	v_ashrrev_i32_e32 v40, 4, v35
	v_and_b32_e32 v34, 0x7070707, v35
	v_lshrrev_b32_e32 v35, 1, v35
	v_and_b32_e32 v35, 0x4040404, v35
	v_perm_b32 v41, s23, v28, v34
	v_perm_b32 v34, s25, v29, v34
	v_or_b32_e32 v35, 0x3020100, v35
	v_perm_b32 v34, v34, v41, v35
	v_lshrrev_b32_e32 v35, 1, v40
	v_and_b32_e32 v42, 0x7070707, v40
	v_and_b32_e32 v35, 0x4040404, v35
	v_perm_b32 v43, s23, v28, v42
	v_perm_b32 v42, s25, v29, v42
	v_or_b32_e32 v35, 0x3020100, v35
	v_perm_b32 v35, v42, v43, v35
	v_dot4_i32_i8 v37, v34, v47, v37
	v_dot4_i32_i8 v40, v35, v54, v37
	v_ashrrev_i32_e32 v37, 4, v36
	v_and_b32_e32 v41, 0x7070707, v36
	v_lshrrev_b32_e32 v36, 1, v36
	v_and_b32_e32 v43, 0x7070707, v37
	v_and_b32_e32 v36, 0x4040404, v36
	v_lshrrev_b32_e32 v37, 1, v37
	v_perm_b32 v42, s23, v28, v41
	v_perm_b32 v41, s25, v29, v41
	v_or_b32_e32 v36, 0x3020100, v36
	v_and_b32_e32 v37, 0x4040404, v37
	v_perm_b32 v44, s23, v28, v43
	v_perm_b32 v43, s25, v29, v43
	;; [unrolled: 1-line block ×3, first 2 shown]
	v_or_b32_e32 v37, 0x3020100, v37
	v_perm_b32 v37, v43, v44, v37
	v_dot4_i32_i8 v40, v36, v51, v40
	v_dot4_i32_i8 v42, v37, v49, v40
	v_add_co_u32_e32 v40, vcc, v38, v23
	v_addc_co_u32_e32 v41, vcc, 0, v39, vcc
	global_load_ubyte v40, v[40:41], off offset:4
	s_nop 0
	global_load_dword v39, v[38:39], off
	s_waitcnt vmcnt(1)
	v_bfe_u32 v40, v40, v24, 4
	s_waitcnt vmcnt(0)
	v_lshrrev_b32_sdwa v38, v25, v39 dst_sel:DWORD dst_unused:UNUSED_PAD src0_sel:DWORD src1_sel:WORD_1
	v_lshlrev_b32_e32 v38, 4, v38
	v_and_or_b32 v38, v38, 48, v40
	v_subrev_u32_e32 v38, 32, v38
	v_mul_lo_u32 v40, v38, v42
	v_cvt_f32_f16_e32 v39, v39
	v_cvt_f32_i32_e32 v40, v40
	v_mul_f32_e32 v41, v39, v50
	v_fmac_f32_e32 v21, v41, v40
	v_add_u32_e32 v40, s0, v22
	v_mad_i64_i32 v[59:60], s[20:21], v40, s22, v[6:7]
	v_add_u32_e32 v22, 8, v22
	v_add_co_u32_e32 v40, vcc, v59, v27
	v_addc_co_u32_e32 v41, vcc, 0, v60, vcc
	global_load_dwordx4 v[55:58], v[40:41], off offset:8
	s_waitcnt vmcnt(0)
	v_ashrrev_i32_e32 v40, 4, v55
	v_and_b32_e32 v43, 0x7070707, v40
	v_lshrrev_b32_e32 v48, 1, v55
	v_lshrrev_b32_e32 v40, 1, v40
	v_and_b32_e32 v41, 0x7070707, v55
	v_and_b32_e32 v48, 0x4040404, v48
	;; [unrolled: 1-line block ×3, first 2 shown]
	v_perm_b32 v42, s23, v28, v41
	v_perm_b32 v44, s23, v28, v43
	;; [unrolled: 1-line block ×4, first 2 shown]
	v_or_b32_e32 v48, 0x3020100, v48
	v_or_b32_e32 v40, 0x3020100, v40
	v_lshrrev_b32_e32 v55, 1, v56
	v_perm_b32 v41, v41, v42, v48
	v_perm_b32 v42, v43, v44, v40
	v_ashrrev_i32_e32 v44, 4, v56
	v_and_b32_e32 v43, 0x7070707, v56
	v_and_b32_e32 v55, 0x4040404, v55
	v_dot4_i32_i8 v40, v41, v45, 0
	v_perm_b32 v45, s23, v28, v43
	v_and_b32_e32 v48, 0x7070707, v44
	v_perm_b32 v43, s25, v29, v43
	v_or_b32_e32 v55, 0x3020100, v55
	v_lshrrev_b32_e32 v44, 1, v44
	v_dot4_i32_i8 v40, v42, v52, v40
	v_perm_b32 v43, v43, v45, v55
	v_and_b32_e32 v44, 0x4040404, v44
	v_lshrrev_b32_e32 v55, 1, v57
	v_perm_b32 v52, s23, v28, v48
	v_perm_b32 v48, s25, v29, v48
	v_or_b32_e32 v44, 0x3020100, v44
	v_dot4_i32_i8 v40, v43, v46, v40
	v_ashrrev_i32_e32 v46, 4, v57
	v_and_b32_e32 v45, 0x7070707, v57
	v_and_b32_e32 v55, 0x4040404, v55
	v_perm_b32 v44, v48, v52, v44
	v_perm_b32 v48, s23, v28, v45
	v_and_b32_e32 v52, 0x7070707, v46
	v_perm_b32 v45, s25, v29, v45
	v_or_b32_e32 v55, 0x3020100, v55
	v_lshrrev_b32_e32 v46, 1, v46
	v_dot4_i32_i8 v40, v44, v53, v40
	v_perm_b32 v45, v45, v48, v55
	v_and_b32_e32 v46, 0x4040404, v46
	v_lshrrev_b32_e32 v55, 1, v58
	v_perm_b32 v53, s23, v28, v52
	v_perm_b32 v52, s25, v29, v52
	v_or_b32_e32 v46, 0x3020100, v46
	v_dot4_i32_i8 v40, v45, v47, v40
	v_ashrrev_i32_e32 v48, 4, v58
	v_and_b32_e32 v47, 0x7070707, v58
	v_and_b32_e32 v55, 0x4040404, v55
	v_perm_b32 v46, v52, v53, v46
	v_perm_b32 v52, s23, v28, v47
	v_and_b32_e32 v53, 0x7070707, v48
	v_perm_b32 v47, s25, v29, v47
	v_or_b32_e32 v55, 0x3020100, v55
	v_lshrrev_b32_e32 v48, 1, v48
	v_dot4_i32_i8 v40, v46, v54, v40
	v_perm_b32 v47, v47, v52, v55
	v_and_b32_e32 v48, 0x4040404, v48
	v_perm_b32 v54, s23, v28, v53
	v_perm_b32 v53, s25, v29, v53
	v_or_b32_e32 v48, 0x3020100, v48
	v_dot4_i32_i8 v40, v47, v51, v40
	v_add_co_u32_e32 v51, vcc, v59, v23
	v_perm_b32 v48, v53, v54, v48
	v_addc_co_u32_e32 v52, vcc, 0, v60, vcc
	v_dot4_i32_i8 v40, v48, v49, v40
	global_load_ubyte v49, v[51:52], off offset:4
	v_add_co_u32_e32 v4, vcc, 0x900, v4
	global_load_dword v51, v[59:60], off
	v_addc_co_u32_e32 v5, vcc, 0, v5, vcc
	v_cmp_le_u32_e32 vcc, s9, v22
	s_or_b64 s[12:13], vcc, s[12:13]
	s_waitcnt vmcnt(1)
	v_bfe_u32 v49, v49, v24, 4
	s_waitcnt vmcnt(0)
	v_lshrrev_b32_sdwa v52, v25, v51 dst_sel:DWORD dst_unused:UNUSED_PAD src0_sel:DWORD src1_sel:WORD_1
	v_lshlrev_b32_e32 v52, 4, v52
	v_and_or_b32 v49, v52, 48, v49
	v_subrev_u32_e32 v49, 32, v49
	v_mul_lo_u32 v52, v49, v40
	v_cvt_f32_f16_e32 v40, v51
	v_cvt_f32_i32_e32 v51, v52
	v_mul_f32_e32 v50, v40, v50
	v_fmac_f32_e32 v20, v50, v51
	v_add_u32_e32 v50, s1, v26
	v_mad_u64_u32 v[58:59], s[20:21], v50, 36, v[2:3]
	global_load_dword v60, v[58:59], off offset:32
	global_load_dwordx4 v[50:53], v[58:59], off offset:16
	global_load_dwordx4 v[54:57], v[58:59], off
	s_waitcnt vmcnt(0)
	v_dot4_i32_i8 v58, v30, v55, 0
	v_dot4_i32_i8 v55, v41, v55, 0
	v_dot4_i32_i8 v58, v31, v51, v58
	v_dot4_i32_i8 v51, v42, v51, v55
	v_dot4_i32_i8 v58, v32, v56, v58
	v_dot4_i32_i8 v51, v43, v56, v51
	v_dot4_i32_i8 v58, v33, v52, v58
	v_dot4_i32_i8 v51, v44, v52, v51
	v_dot4_i32_i8 v58, v34, v57, v58
	v_dot4_i32_i8 v51, v45, v57, v51
	v_dot4_i32_i8 v58, v35, v53, v58
	v_dot4_i32_i8 v51, v46, v53, v51
	v_dot4_i32_i8 v58, v36, v50, v58
	v_dot4_i32_i8 v50, v47, v50, v51
	v_dot4_i32_i8 v50, v48, v60, v50
	v_dot4_i32_i8 v58, v37, v60, v58
	v_mul_lo_u32 v50, v49, v50
	v_mul_lo_u32 v58, v38, v58
	v_cvt_f32_f16_e32 v54, v54
	v_cvt_f32_i32_e32 v50, v50
	v_cvt_f32_i32_e32 v58, v58
	v_mul_f32_e32 v51, v40, v54
	v_mul_f32_e32 v59, v39, v54
	v_fmac_f32_e32 v18, v51, v50
	v_add_u32_e32 v50, s24, v26
	v_fmac_f32_e32 v19, v59, v58
	v_mad_u64_u32 v[58:59], s[20:21], v50, 36, v[2:3]
	global_load_dword v60, v[58:59], off offset:32
	global_load_dwordx4 v[50:53], v[58:59], off offset:16
	global_load_dwordx4 v[54:57], v[58:59], off
	s_waitcnt vmcnt(0)
	v_dot4_i32_i8 v58, v30, v55, 0
	v_dot4_i32_i8 v55, v41, v55, 0
	v_dot4_i32_i8 v58, v31, v51, v58
	v_dot4_i32_i8 v51, v42, v51, v55
	v_dot4_i32_i8 v58, v32, v56, v58
	v_dot4_i32_i8 v51, v43, v56, v51
	v_dot4_i32_i8 v58, v33, v52, v58
	v_dot4_i32_i8 v51, v44, v52, v51
	v_dot4_i32_i8 v58, v34, v57, v58
	v_dot4_i32_i8 v51, v45, v57, v51
	v_dot4_i32_i8 v58, v35, v53, v58
	v_dot4_i32_i8 v51, v46, v53, v51
	v_dot4_i32_i8 v58, v36, v50, v58
	v_dot4_i32_i8 v50, v47, v50, v51
	v_dot4_i32_i8 v50, v48, v60, v50
	v_dot4_i32_i8 v58, v37, v60, v58
	v_mul_lo_u32 v50, v49, v50
	v_mul_lo_u32 v58, v38, v58
	v_cvt_f32_f16_e32 v54, v54
	v_cvt_f32_i32_e32 v50, v50
	v_cvt_f32_i32_e32 v58, v58
	v_mul_f32_e32 v51, v40, v54
	v_mul_f32_e32 v59, v39, v54
	v_fmac_f32_e32 v16, v51, v50
	v_add_u32_e32 v50, s19, v26
	v_fmac_f32_e32 v17, v59, v58
	;; [unrolled: 31-line block ×5, first 2 shown]
	v_mad_u64_u32 v[58:59], s[20:21], v50, 36, v[2:3]
	global_load_dword v60, v[58:59], off offset:32
	global_load_dwordx4 v[50:53], v[58:59], off offset:16
	global_load_dwordx4 v[54:57], v[58:59], off
	v_add_u32_e32 v26, 64, v26
	s_waitcnt vmcnt(0)
	v_dot4_i32_i8 v30, v30, v55, 0
	v_dot4_i32_i8 v30, v31, v51, v30
	;; [unrolled: 1-line block ×8, first 2 shown]
	v_mul_lo_u32 v30, v38, v30
	v_cvt_f32_f16_e32 v54, v54
	v_cvt_f32_i32_e32 v30, v30
	v_mul_f32_e32 v31, v39, v54
	v_fmac_f32_e32 v9, v31, v30
	v_dot4_i32_i8 v30, v41, v55, 0
	v_dot4_i32_i8 v30, v42, v51, v30
	v_dot4_i32_i8 v30, v43, v56, v30
	v_dot4_i32_i8 v30, v44, v52, v30
	v_dot4_i32_i8 v30, v45, v57, v30
	v_dot4_i32_i8 v30, v46, v53, v30
	v_dot4_i32_i8 v30, v47, v50, v30
	v_dot4_i32_i8 v30, v48, v60, v30
	v_mul_lo_u32 v30, v49, v30
	v_mul_f32_e32 v31, v40, v54
	v_cvt_f32_i32_e32 v30, v30
	v_fmac_f32_e32 v8, v31, v30
	s_andn2_b64 exec, exec, s[12:13]
	s_cbranch_execnz .LBB250_2
; %bb.3:
	s_or_b64 exec, exec, s[12:13]
.LBB250_4:
	s_or_b64 exec, exec, s[10:11]
	s_mov_b32 s1, 0
	v_cmp_eq_u32_e32 vcc, 0, v1
	; wave barrier
	s_and_saveexec_b64 s[10:11], vcc
	s_cbranch_execz .LBB250_19
; %bb.5:
	v_mbcnt_lo_u32_b32 v1, -1, 0
	v_mbcnt_hi_u32_b32 v6, -1, v1
	v_and_b32_e32 v1, 64, v6
	v_add_u32_e32 v7, 64, v1
	v_xor_b32_e32 v1, 32, v6
	v_cmp_lt_i32_e32 vcc, v1, v7
	v_cndmask_b32_e32 v1, v6, v1, vcc
	v_lshlrev_b32_e32 v1, 2, v1
	ds_bpermute_b32 v5, v1, v21
	ds_bpermute_b32 v22, v1, v20
	v_xor_b32_e32 v2, 16, v6
	v_cmp_lt_i32_e32 vcc, v2, v7
	v_cndmask_b32_e32 v2, v6, v2, vcc
	v_lshlrev_b32_e32 v2, 2, v2
	s_waitcnt lgkmcnt(1)
	v_add_f32_e32 v5, v21, v5
	s_waitcnt lgkmcnt(0)
	v_add_f32_e32 v20, v20, v22
	ds_bpermute_b32 v21, v2, v5
	ds_bpermute_b32 v22, v2, v20
	v_xor_b32_e32 v3, 8, v6
	v_cmp_lt_i32_e32 vcc, v3, v7
	v_cndmask_b32_e32 v3, v6, v3, vcc
	v_lshlrev_b32_e32 v3, 2, v3
	s_waitcnt lgkmcnt(1)
	v_add_f32_e32 v21, v5, v21
	s_waitcnt lgkmcnt(0)
	v_add_f32_e32 v20, v20, v22
	;; [unrolled: 10-line block ×3, first 2 shown]
	ds_bpermute_b32 v24, v4, v21
	ds_bpermute_b32 v22, v4, v20
	v_xor_b32_e32 v23, 2, v6
	v_cmp_lt_i32_e32 vcc, v23, v7
	v_cndmask_b32_e32 v23, v6, v23, vcc
	v_lshlrev_b32_e32 v5, 2, v23
	v_xor_b32_e32 v23, 1, v6
	v_cmp_lt_i32_e32 vcc, v23, v7
	s_waitcnt lgkmcnt(1)
	v_add_f32_e32 v7, v21, v24
	s_waitcnt lgkmcnt(0)
	v_add_f32_e32 v22, v20, v22
	v_cndmask_b32_e32 v6, v6, v23, vcc
	ds_bpermute_b32 v21, v5, v7
	ds_bpermute_b32 v23, v5, v22
	s_load_dwordx2 s[4:5], s[4:5], 0x38
	s_mul_i32 s3, s14, s7
	v_lshlrev_b32_e32 v20, 2, v6
	s_waitcnt lgkmcnt(0)
	v_add_f32_e32 v6, v7, v21
	v_add_f32_e32 v21, v22, v23
	s_mul_i32 s0, s18, s8
	s_add_i32 s3, s3, s6
	ds_bpermute_b32 v7, v20, v6
	ds_bpermute_b32 v22, v20, v21
	s_add_i32 s0, s3, s0
	s_lshl_b64 s[0:1], s[0:1], 2
	s_add_u32 s4, s4, s0
	v_add_u32_e32 v23, s6, v0
	s_addc_u32 s5, s5, s1
	v_cmp_gt_u32_e32 vcc, 2, v0
	v_cmp_gt_u32_e64 s[0:1], s2, v23
	s_and_b64 s[0:1], vcc, s[0:1]
	s_waitcnt lgkmcnt(1)
	v_add_f32_e32 v6, v6, v7
	s_waitcnt lgkmcnt(0)
	v_add_f32_e32 v7, v21, v22
	s_and_saveexec_b64 s[6:7], s[0:1]
	s_cbranch_execz .LBB250_7
; %bb.6:
	v_cmp_eq_u32_e32 vcc, 1, v0
	v_cndmask_b32_e32 v21, v6, v7, vcc
	v_cmp_eq_u32_e32 vcc, 2, v0
	v_cndmask_b32_e32 v21, v21, v19, vcc
	;; [unrolled: 2-line block ×13, first 2 shown]
	v_lshlrev_b32_e32 v22, 2, v0
	global_store_dword v22, v21, s[4:5]
.LBB250_7:
	s_or_b64 exec, exec, s[6:7]
	ds_bpermute_b32 v21, v1, v19
	ds_bpermute_b32 v22, v1, v18
	s_waitcnt lgkmcnt(1)
	v_add_f32_e32 v19, v19, v21
	s_waitcnt lgkmcnt(0)
	v_add_f32_e32 v18, v18, v22
	ds_bpermute_b32 v21, v2, v19
	ds_bpermute_b32 v22, v2, v18
	s_waitcnt lgkmcnt(1)
	v_add_f32_e32 v19, v19, v21
	s_waitcnt lgkmcnt(0)
	v_add_f32_e32 v18, v18, v22
	;; [unrolled: 6-line block ×6, first 2 shown]
	s_and_saveexec_b64 s[6:7], s[0:1]
	s_cbranch_execz .LBB250_9
; %bb.8:
	v_add_u32_e32 v21, 2, v0
	v_cmp_eq_u32_e32 vcc, 1, v21
	v_cndmask_b32_e32 v22, v6, v7, vcc
	v_cmp_eq_u32_e32 vcc, 2, v21
	v_cndmask_b32_e32 v22, v22, v19, vcc
	;; [unrolled: 2-line block ×13, first 2 shown]
	v_add_u32_e32 v21, s2, v0
	v_mov_b32_e32 v22, 0
	v_lshlrev_b64 v[21:22], 2, v[21:22]
	v_mov_b32_e32 v24, s5
	v_add_co_u32_e32 v21, vcc, s4, v21
	v_addc_co_u32_e32 v22, vcc, v24, v22, vcc
	global_store_dword v[21:22], v23, off
.LBB250_9:
	s_or_b64 exec, exec, s[6:7]
	ds_bpermute_b32 v21, v1, v17
	ds_bpermute_b32 v22, v1, v16
	s_waitcnt lgkmcnt(1)
	v_add_f32_e32 v17, v17, v21
	s_waitcnt lgkmcnt(0)
	v_add_f32_e32 v16, v16, v22
	ds_bpermute_b32 v21, v2, v17
	ds_bpermute_b32 v22, v2, v16
	s_waitcnt lgkmcnt(1)
	v_add_f32_e32 v17, v17, v21
	s_waitcnt lgkmcnt(0)
	v_add_f32_e32 v16, v16, v22
	;; [unrolled: 6-line block ×6, first 2 shown]
	s_and_saveexec_b64 s[6:7], s[0:1]
	s_cbranch_execz .LBB250_11
; %bb.10:
	v_add_u32_e32 v21, 4, v0
	v_cmp_eq_u32_e32 vcc, 1, v21
	v_cndmask_b32_e32 v22, v6, v7, vcc
	v_cmp_eq_u32_e32 vcc, 2, v21
	v_cndmask_b32_e32 v22, v22, v19, vcc
	;; [unrolled: 2-line block ×13, first 2 shown]
	v_lshl_or_b32 v21, s2, 1, v0
	v_mov_b32_e32 v22, 0
	v_lshlrev_b64 v[21:22], 2, v[21:22]
	v_mov_b32_e32 v24, s5
	v_add_co_u32_e32 v21, vcc, s4, v21
	v_addc_co_u32_e32 v22, vcc, v24, v22, vcc
	global_store_dword v[21:22], v23, off
.LBB250_11:
	s_or_b64 exec, exec, s[6:7]
	ds_bpermute_b32 v21, v1, v15
	ds_bpermute_b32 v22, v1, v14
	s_waitcnt lgkmcnt(1)
	v_add_f32_e32 v15, v15, v21
	s_waitcnt lgkmcnt(0)
	v_add_f32_e32 v14, v14, v22
	ds_bpermute_b32 v21, v2, v15
	ds_bpermute_b32 v22, v2, v14
	s_waitcnt lgkmcnt(1)
	v_add_f32_e32 v15, v15, v21
	s_waitcnt lgkmcnt(0)
	v_add_f32_e32 v14, v14, v22
	ds_bpermute_b32 v21, v3, v15
	ds_bpermute_b32 v22, v3, v14
	s_waitcnt lgkmcnt(1)
	v_add_f32_e32 v15, v15, v21
	s_waitcnt lgkmcnt(0)
	v_add_f32_e32 v14, v14, v22
	ds_bpermute_b32 v21, v4, v15
	ds_bpermute_b32 v22, v4, v14
	s_waitcnt lgkmcnt(1)
	v_add_f32_e32 v15, v15, v21
	s_waitcnt lgkmcnt(0)
	v_add_f32_e32 v14, v14, v22
	ds_bpermute_b32 v21, v5, v15
	ds_bpermute_b32 v22, v5, v14
	s_waitcnt lgkmcnt(1)
	v_add_f32_e32 v15, v15, v21
	s_waitcnt lgkmcnt(0)
	v_add_f32_e32 v14, v14, v22
	ds_bpermute_b32 v21, v20, v15
	ds_bpermute_b32 v22, v20, v14
	s_waitcnt lgkmcnt(1)
	v_add_f32_e32 v15, v15, v21
	s_waitcnt lgkmcnt(0)
	v_add_f32_e32 v14, v14, v22
	s_and_saveexec_b64 s[6:7], s[0:1]
	s_cbranch_execz .LBB250_13
; %bb.12:
	v_add_u32_e32 v23, 6, v0
	v_cmp_eq_u32_e32 vcc, 1, v23
	v_cndmask_b32_e32 v21, v6, v7, vcc
	v_cmp_eq_u32_e32 vcc, 2, v23
	v_cndmask_b32_e32 v21, v21, v19, vcc
	;; [unrolled: 2-line block ×12, first 2 shown]
	v_mad_u64_u32 v[21:22], s[8:9], s2, 3, v[0:1]
	v_mov_b32_e32 v22, 0
	v_cmp_eq_u32_e32 vcc, 13, v23
	v_lshlrev_b64 v[21:22], 2, v[21:22]
	v_cndmask_b32_e32 v23, v24, v8, vcc
	v_mov_b32_e32 v24, s5
	v_add_co_u32_e32 v21, vcc, s4, v21
	v_addc_co_u32_e32 v22, vcc, v24, v22, vcc
	global_store_dword v[21:22], v23, off
.LBB250_13:
	s_or_b64 exec, exec, s[6:7]
	ds_bpermute_b32 v21, v1, v13
	ds_bpermute_b32 v22, v1, v12
	s_waitcnt lgkmcnt(1)
	v_add_f32_e32 v13, v13, v21
	s_waitcnt lgkmcnt(0)
	v_add_f32_e32 v12, v12, v22
	ds_bpermute_b32 v21, v2, v13
	ds_bpermute_b32 v22, v2, v12
	s_waitcnt lgkmcnt(1)
	v_add_f32_e32 v13, v13, v21
	s_waitcnt lgkmcnt(0)
	v_add_f32_e32 v12, v12, v22
	;; [unrolled: 6-line block ×6, first 2 shown]
	s_and_saveexec_b64 s[6:7], s[0:1]
	s_cbranch_execz .LBB250_15
; %bb.14:
	v_add_u32_e32 v21, 8, v0
	v_cmp_eq_u32_e32 vcc, 1, v21
	v_cndmask_b32_e32 v22, v6, v7, vcc
	v_cmp_eq_u32_e32 vcc, 2, v21
	v_cndmask_b32_e32 v22, v22, v19, vcc
	;; [unrolled: 2-line block ×13, first 2 shown]
	v_lshl_or_b32 v21, s2, 2, v0
	v_mov_b32_e32 v22, 0
	v_lshlrev_b64 v[21:22], 2, v[21:22]
	v_mov_b32_e32 v24, s5
	v_add_co_u32_e32 v21, vcc, s4, v21
	v_addc_co_u32_e32 v22, vcc, v24, v22, vcc
	global_store_dword v[21:22], v23, off
.LBB250_15:
	s_or_b64 exec, exec, s[6:7]
	ds_bpermute_b32 v21, v1, v11
	ds_bpermute_b32 v22, v1, v10
	s_waitcnt lgkmcnt(1)
	v_add_f32_e32 v11, v11, v21
	s_waitcnt lgkmcnt(0)
	v_add_f32_e32 v10, v10, v22
	ds_bpermute_b32 v21, v2, v11
	ds_bpermute_b32 v22, v2, v10
	s_waitcnt lgkmcnt(1)
	v_add_f32_e32 v11, v11, v21
	s_waitcnt lgkmcnt(0)
	v_add_f32_e32 v10, v10, v22
	;; [unrolled: 6-line block ×6, first 2 shown]
	s_and_saveexec_b64 s[6:7], s[0:1]
	s_cbranch_execz .LBB250_17
; %bb.16:
	v_add_u32_e32 v23, 10, v0
	v_cmp_eq_u32_e32 vcc, 1, v23
	v_cndmask_b32_e32 v21, v6, v7, vcc
	v_cmp_eq_u32_e32 vcc, 2, v23
	v_cndmask_b32_e32 v21, v21, v19, vcc
	;; [unrolled: 2-line block ×12, first 2 shown]
	v_mad_u64_u32 v[21:22], s[8:9], s2, 5, v[0:1]
	v_mov_b32_e32 v22, 0
	v_cmp_eq_u32_e32 vcc, 13, v23
	v_lshlrev_b64 v[21:22], 2, v[21:22]
	v_cndmask_b32_e32 v23, v24, v8, vcc
	v_mov_b32_e32 v24, s5
	v_add_co_u32_e32 v21, vcc, s4, v21
	v_addc_co_u32_e32 v22, vcc, v24, v22, vcc
	global_store_dword v[21:22], v23, off
.LBB250_17:
	s_or_b64 exec, exec, s[6:7]
	ds_bpermute_b32 v21, v1, v9
	ds_bpermute_b32 v1, v1, v8
	s_waitcnt lgkmcnt(1)
	v_add_f32_e32 v9, v9, v21
	s_waitcnt lgkmcnt(0)
	v_add_f32_e32 v1, v8, v1
	ds_bpermute_b32 v8, v2, v9
	ds_bpermute_b32 v2, v2, v1
	s_waitcnt lgkmcnt(1)
	v_add_f32_e32 v8, v9, v8
	s_waitcnt lgkmcnt(0)
	v_add_f32_e32 v1, v1, v2
	;; [unrolled: 6-line block ×5, first 2 shown]
	ds_bpermute_b32 v3, v20, v1
	ds_bpermute_b32 v4, v20, v2
	s_and_b64 exec, exec, s[0:1]
	s_cbranch_execz .LBB250_19
; %bb.18:
	s_waitcnt lgkmcnt(1)
	v_add_f32_e32 v1, v1, v3
	v_add_u32_e32 v3, 12, v0
	v_cmp_eq_u32_e32 vcc, 1, v3
	s_waitcnt lgkmcnt(0)
	v_add_f32_e32 v2, v2, v4
	v_cndmask_b32_e32 v4, v6, v7, vcc
	v_cmp_eq_u32_e32 vcc, 2, v3
	v_cndmask_b32_e32 v4, v4, v19, vcc
	v_cmp_eq_u32_e32 vcc, 3, v3
	;; [unrolled: 2-line block ×12, first 2 shown]
	s_mul_i32 s0, s2, 6
	v_cndmask_b32_e32 v2, v1, v2, vcc
	v_or_b32_e32 v0, s0, v0
	v_mov_b32_e32 v1, 0
	v_lshlrev_b64 v[0:1], 2, v[0:1]
	v_mov_b32_e32 v3, s5
	v_add_co_u32_e32 v0, vcc, s4, v0
	v_addc_co_u32_e32 v1, vcc, v3, v1, vcc
	global_store_dword v[0:1], v2, off
.LBB250_19:
	s_endpgm
	.section	.rodata,"a",@progbits
	.p2align	6, 0x0
	.amdhsa_kernel _ZL13mul_mat_vec_qIL9ggml_type23ELi7ELb0ELb0EEvPKvS2_PKi31ggml_cuda_mm_fusion_args_devicePfj15HIP_vector_typeIjLj3EEjjjS8_jjjS8_jjjj
		.amdhsa_group_segment_fixed_size 0
		.amdhsa_private_segment_fixed_size 0
		.amdhsa_kernarg_size 144
		.amdhsa_user_sgpr_count 6
		.amdhsa_user_sgpr_private_segment_buffer 1
		.amdhsa_user_sgpr_dispatch_ptr 0
		.amdhsa_user_sgpr_queue_ptr 0
		.amdhsa_user_sgpr_kernarg_segment_ptr 1
		.amdhsa_user_sgpr_dispatch_id 0
		.amdhsa_user_sgpr_flat_scratch_init 0
		.amdhsa_user_sgpr_private_segment_size 0
		.amdhsa_uses_dynamic_stack 0
		.amdhsa_system_sgpr_private_segment_wavefront_offset 0
		.amdhsa_system_sgpr_workgroup_id_x 1
		.amdhsa_system_sgpr_workgroup_id_y 1
		.amdhsa_system_sgpr_workgroup_id_z 1
		.amdhsa_system_sgpr_workgroup_info 0
		.amdhsa_system_vgpr_workitem_id 1
		.amdhsa_next_free_vgpr 61
		.amdhsa_next_free_sgpr 26
		.amdhsa_reserve_vcc 1
		.amdhsa_reserve_flat_scratch 0
		.amdhsa_float_round_mode_32 0
		.amdhsa_float_round_mode_16_64 0
		.amdhsa_float_denorm_mode_32 3
		.amdhsa_float_denorm_mode_16_64 3
		.amdhsa_dx10_clamp 1
		.amdhsa_ieee_mode 1
		.amdhsa_fp16_overflow 0
		.amdhsa_exception_fp_ieee_invalid_op 0
		.amdhsa_exception_fp_denorm_src 0
		.amdhsa_exception_fp_ieee_div_zero 0
		.amdhsa_exception_fp_ieee_overflow 0
		.amdhsa_exception_fp_ieee_underflow 0
		.amdhsa_exception_fp_ieee_inexact 0
		.amdhsa_exception_int_div_zero 0
	.end_amdhsa_kernel
	.section	.text._ZL13mul_mat_vec_qIL9ggml_type23ELi7ELb0ELb0EEvPKvS2_PKi31ggml_cuda_mm_fusion_args_devicePfj15HIP_vector_typeIjLj3EEjjjS8_jjjS8_jjjj,"axG",@progbits,_ZL13mul_mat_vec_qIL9ggml_type23ELi7ELb0ELb0EEvPKvS2_PKi31ggml_cuda_mm_fusion_args_devicePfj15HIP_vector_typeIjLj3EEjjjS8_jjjS8_jjjj,comdat
.Lfunc_end250:
	.size	_ZL13mul_mat_vec_qIL9ggml_type23ELi7ELb0ELb0EEvPKvS2_PKi31ggml_cuda_mm_fusion_args_devicePfj15HIP_vector_typeIjLj3EEjjjS8_jjjS8_jjjj, .Lfunc_end250-_ZL13mul_mat_vec_qIL9ggml_type23ELi7ELb0ELb0EEvPKvS2_PKi31ggml_cuda_mm_fusion_args_devicePfj15HIP_vector_typeIjLj3EEjjjS8_jjjS8_jjjj
                                        ; -- End function
	.set _ZL13mul_mat_vec_qIL9ggml_type23ELi7ELb0ELb0EEvPKvS2_PKi31ggml_cuda_mm_fusion_args_devicePfj15HIP_vector_typeIjLj3EEjjjS8_jjjS8_jjjj.num_vgpr, 61
	.set _ZL13mul_mat_vec_qIL9ggml_type23ELi7ELb0ELb0EEvPKvS2_PKi31ggml_cuda_mm_fusion_args_devicePfj15HIP_vector_typeIjLj3EEjjjS8_jjjS8_jjjj.num_agpr, 0
	.set _ZL13mul_mat_vec_qIL9ggml_type23ELi7ELb0ELb0EEvPKvS2_PKi31ggml_cuda_mm_fusion_args_devicePfj15HIP_vector_typeIjLj3EEjjjS8_jjjS8_jjjj.numbered_sgpr, 26
	.set _ZL13mul_mat_vec_qIL9ggml_type23ELi7ELb0ELb0EEvPKvS2_PKi31ggml_cuda_mm_fusion_args_devicePfj15HIP_vector_typeIjLj3EEjjjS8_jjjS8_jjjj.num_named_barrier, 0
	.set _ZL13mul_mat_vec_qIL9ggml_type23ELi7ELb0ELb0EEvPKvS2_PKi31ggml_cuda_mm_fusion_args_devicePfj15HIP_vector_typeIjLj3EEjjjS8_jjjS8_jjjj.private_seg_size, 0
	.set _ZL13mul_mat_vec_qIL9ggml_type23ELi7ELb0ELb0EEvPKvS2_PKi31ggml_cuda_mm_fusion_args_devicePfj15HIP_vector_typeIjLj3EEjjjS8_jjjS8_jjjj.uses_vcc, 1
	.set _ZL13mul_mat_vec_qIL9ggml_type23ELi7ELb0ELb0EEvPKvS2_PKi31ggml_cuda_mm_fusion_args_devicePfj15HIP_vector_typeIjLj3EEjjjS8_jjjS8_jjjj.uses_flat_scratch, 0
	.set _ZL13mul_mat_vec_qIL9ggml_type23ELi7ELb0ELb0EEvPKvS2_PKi31ggml_cuda_mm_fusion_args_devicePfj15HIP_vector_typeIjLj3EEjjjS8_jjjS8_jjjj.has_dyn_sized_stack, 0
	.set _ZL13mul_mat_vec_qIL9ggml_type23ELi7ELb0ELb0EEvPKvS2_PKi31ggml_cuda_mm_fusion_args_devicePfj15HIP_vector_typeIjLj3EEjjjS8_jjjS8_jjjj.has_recursion, 0
	.set _ZL13mul_mat_vec_qIL9ggml_type23ELi7ELb0ELb0EEvPKvS2_PKi31ggml_cuda_mm_fusion_args_devicePfj15HIP_vector_typeIjLj3EEjjjS8_jjjS8_jjjj.has_indirect_call, 0
	.section	.AMDGPU.csdata,"",@progbits
; Kernel info:
; codeLenInByte = 5672
; TotalNumSgprs: 30
; NumVgprs: 61
; ScratchSize: 0
; MemoryBound: 0
; FloatMode: 240
; IeeeMode: 1
; LDSByteSize: 0 bytes/workgroup (compile time only)
; SGPRBlocks: 3
; VGPRBlocks: 15
; NumSGPRsForWavesPerEU: 30
; NumVGPRsForWavesPerEU: 61
; Occupancy: 4
; WaveLimiterHint : 0
; COMPUTE_PGM_RSRC2:SCRATCH_EN: 0
; COMPUTE_PGM_RSRC2:USER_SGPR: 6
; COMPUTE_PGM_RSRC2:TRAP_HANDLER: 0
; COMPUTE_PGM_RSRC2:TGID_X_EN: 1
; COMPUTE_PGM_RSRC2:TGID_Y_EN: 1
; COMPUTE_PGM_RSRC2:TGID_Z_EN: 1
; COMPUTE_PGM_RSRC2:TIDIG_COMP_CNT: 1
	.section	.text._ZL13mul_mat_vec_qIL9ggml_type23ELi8ELb0ELb0EEvPKvS2_PKi31ggml_cuda_mm_fusion_args_devicePfj15HIP_vector_typeIjLj3EEjjjS8_jjjS8_jjjj,"axG",@progbits,_ZL13mul_mat_vec_qIL9ggml_type23ELi8ELb0ELb0EEvPKvS2_PKi31ggml_cuda_mm_fusion_args_devicePfj15HIP_vector_typeIjLj3EEjjjS8_jjjS8_jjjj,comdat
	.globl	_ZL13mul_mat_vec_qIL9ggml_type23ELi8ELb0ELb0EEvPKvS2_PKi31ggml_cuda_mm_fusion_args_devicePfj15HIP_vector_typeIjLj3EEjjjS8_jjjS8_jjjj ; -- Begin function _ZL13mul_mat_vec_qIL9ggml_type23ELi8ELb0ELb0EEvPKvS2_PKi31ggml_cuda_mm_fusion_args_devicePfj15HIP_vector_typeIjLj3EEjjjS8_jjjS8_jjjj
	.p2align	8
	.type	_ZL13mul_mat_vec_qIL9ggml_type23ELi8ELb0ELb0EEvPKvS2_PKi31ggml_cuda_mm_fusion_args_devicePfj15HIP_vector_typeIjLj3EEjjjS8_jjjS8_jjjj,@function
_ZL13mul_mat_vec_qIL9ggml_type23ELi8ELb0ELb0EEvPKvS2_PKi31ggml_cuda_mm_fusion_args_devicePfj15HIP_vector_typeIjLj3EEjjjS8_jjjS8_jjjj: ; @_ZL13mul_mat_vec_qIL9ggml_type23ELi8ELb0ELb0EEvPKvS2_PKi31ggml_cuda_mm_fusion_args_devicePfj15HIP_vector_typeIjLj3EEjjjS8_jjjS8_jjjj
; %bb.0:
	s_load_dword s9, s[4:5], 0x40
	s_load_dwordx4 s[0:3], s[4:5], 0x50
	s_load_dword s25, s[4:5], 0x60
	s_load_dwordx4 s[12:15], s[4:5], 0x68
	;; [unrolled: 2-line block ×3, first 2 shown]
	v_lshl_or_b32 v2, v1, 6, v0
	s_waitcnt lgkmcnt(0)
	s_lshr_b32 s9, s9, 8
	v_lshrrev_b32_e32 v24, 3, v2
	v_mov_b32_e32 v8, 0
	s_lshl_b32 s6, s6, 1
	v_cmp_gt_u32_e32 vcc, s9, v24
	v_mov_b32_e32 v9, v8
	v_mov_b32_e32 v10, v8
	;; [unrolled: 1-line block ×15, first 2 shown]
	s_and_saveexec_b64 s[10:11], vcc
	s_cbranch_execz .LBB251_4
; %bb.1:
	s_mul_hi_u32 s3, s3, s7
	s_add_i32 s3, s7, s3
	s_load_dwordx4 s[20:23], s[4:5], 0x0
	s_lshr_b32 s3, s3, s25
	s_mul_i32 s3, s3, s12
	s_mul_hi_u32 s12, s15, s8
	s_add_i32 s12, s8, s12
	s_lshr_b32 s12, s12, s24
	s_mul_i32 s19, s17, s8
	s_mul_i32 s15, s12, s16
	;; [unrolled: 1-line block ×3, first 2 shown]
	s_mul_hi_u32 s12, s19, 36
	s_waitcnt lgkmcnt(0)
	s_add_u32 s16, s22, s16
	s_addc_u32 s17, s23, s12
	s_mul_i32 s12, s13, s7
	s_mul_hi_u32 s13, s12, 36
	s_mul_i32 s12, s12, 36
	s_add_u32 s16, s16, s12
	s_addc_u32 s17, s17, s13
	v_and_b32_e32 v7, 7, v0
	v_lshlrev_b32_e32 v4, 2, v0
	v_mad_u64_u32 v[2:3], s[16:17], v7, 36, s[16:17]
	v_and_b32_e32 v6, 28, v4
	v_bfe_u32 v25, v4, 3, 2
	v_and_b32_e32 v26, 4, v4
	s_add_i32 s16, s6, 1
	v_mov_b32_e32 v4, s12
	s_add_i32 s15, s15, s3
	s_mul_i32 s3, s6, s0
	s_mul_i32 s0, s0, s16
	s_movk_i32 s16, 0x120
	v_mov_b32_e32 v5, s13
	v_mad_u64_u32 v[4:5], s[12:13], v24, s16, v[4:5]
	v_mov_b32_e32 v8, 0
	v_lshrrev_b32_e32 v27, 1, v6
	v_mad_u64_u32 v[4:5], s[12:13], s19, 36, v[4:5]
	v_lshlrev_b32_e32 v29, 2, v6
	s_add_i32 s3, s15, s3
	v_mad_u64_u32 v[4:5], s[12:13], v7, 36, v[4:5]
	v_mov_b32_e32 v7, s23
	s_add_i32 s0, s15, s0
	v_add_co_u32_e32 v4, vcc, s22, v4
	v_addc_co_u32_e32 v5, vcc, v7, v5, vcc
	v_add_co_u32_e32 v4, vcc, 16, v4
	v_mov_b32_e32 v6, s20
	v_lshlrev_b32_e32 v28, 3, v24
	s_mul_i32 s15, s1, 7
	s_mul_i32 s16, s1, 6
	s_mul_i32 s17, s1, 5
	s_lshl_b32 s19, s1, 2
	s_mul_i32 s24, s1, 3
	s_lshl_b32 s25, s1, 1
	v_addc_co_u32_e32 v5, vcc, 0, v5, vcc
	s_mov_b64 s[12:13], 0
	s_movk_i32 s22, 0x88
	s_mov_b32 s23, 0xf6eaddcf
	s_mov_b32 s26, 0x71594535
	v_mov_b32_e32 v30, 0xbfad9881
	v_mov_b32_e32 v31, 0x26190d01
	;; [unrolled: 1-line block ×18, first 2 shown]
.LBB251_2:                              ; =>This Inner Loop Header: Depth=1
	v_add_u32_e32 v32, s3, v24
	v_mad_i64_i32 v[40:41], s[20:21], v32, s22, v[6:7]
	global_load_dword v51, v[4:5], off offset:16
	global_load_dwordx4 v[53:56], v[4:5], off
	global_load_dwordx4 v[47:50], v[4:5], off offset:-16
	v_add_co_u32_e32 v32, vcc, v40, v29
	v_addc_co_u32_e32 v33, vcc, 0, v41, vcc
	global_load_dwordx4 v[35:38], v[32:33], off offset:8
	s_waitcnt vmcnt(1)
	v_cvt_f32_f16_e32 v52, v47
	s_waitcnt vmcnt(0)
	v_ashrrev_i32_e32 v33, 4, v35
	v_and_b32_e32 v32, 0x7070707, v35
	v_lshrrev_b32_e32 v35, 1, v35
	v_and_b32_e32 v39, 0x7070707, v33
	v_and_b32_e32 v35, 0x4040404, v35
	v_lshrrev_b32_e32 v33, 1, v33
	v_perm_b32 v34, s23, v30, v32
	v_perm_b32 v32, s26, v31, v32
	v_or_b32_e32 v35, 0x3020100, v35
	v_and_b32_e32 v33, 0x4040404, v33
	v_perm_b32 v42, s23, v30, v39
	v_perm_b32 v39, s26, v31, v39
	;; [unrolled: 1-line block ×3, first 2 shown]
	v_or_b32_e32 v33, 0x3020100, v33
	v_perm_b32 v33, v39, v42, v33
	v_dot4_i32_i8 v34, v32, v48, 0
	v_dot4_i32_i8 v39, v33, v54, v34
	v_ashrrev_i32_e32 v35, 4, v36
	v_and_b32_e32 v34, 0x7070707, v36
	v_lshrrev_b32_e32 v36, 1, v36
	v_and_b32_e32 v43, 0x7070707, v35
	v_and_b32_e32 v36, 0x4040404, v36
	v_lshrrev_b32_e32 v35, 1, v35
	v_perm_b32 v42, s23, v30, v34
	v_perm_b32 v34, s26, v31, v34
	v_or_b32_e32 v36, 0x3020100, v36
	v_and_b32_e32 v35, 0x4040404, v35
	v_perm_b32 v44, s23, v30, v43
	v_perm_b32 v43, s26, v31, v43
	;; [unrolled: 1-line block ×3, first 2 shown]
	v_or_b32_e32 v35, 0x3020100, v35
	v_perm_b32 v35, v43, v44, v35
	v_dot4_i32_i8 v36, v34, v49, v39
	v_dot4_i32_i8 v39, v35, v55, v36
	v_ashrrev_i32_e32 v42, 4, v37
	v_and_b32_e32 v36, 0x7070707, v37
	v_lshrrev_b32_e32 v37, 1, v37
	v_and_b32_e32 v37, 0x4040404, v37
	v_perm_b32 v43, s23, v30, v36
	v_perm_b32 v36, s26, v31, v36
	v_or_b32_e32 v37, 0x3020100, v37
	v_perm_b32 v36, v36, v43, v37
	v_lshrrev_b32_e32 v37, 1, v42
	v_and_b32_e32 v44, 0x7070707, v42
	v_and_b32_e32 v37, 0x4040404, v37
	v_perm_b32 v45, s23, v30, v44
	v_perm_b32 v44, s26, v31, v44
	v_or_b32_e32 v37, 0x3020100, v37
	v_perm_b32 v37, v44, v45, v37
	v_dot4_i32_i8 v39, v36, v50, v39
	v_dot4_i32_i8 v42, v37, v56, v39
	v_ashrrev_i32_e32 v39, 4, v38
	v_and_b32_e32 v43, 0x7070707, v38
	v_lshrrev_b32_e32 v38, 1, v38
	v_and_b32_e32 v45, 0x7070707, v39
	v_and_b32_e32 v38, 0x4040404, v38
	v_lshrrev_b32_e32 v39, 1, v39
	v_perm_b32 v44, s23, v30, v43
	v_perm_b32 v43, s26, v31, v43
	v_or_b32_e32 v38, 0x3020100, v38
	v_and_b32_e32 v39, 0x4040404, v39
	v_perm_b32 v46, s23, v30, v45
	v_perm_b32 v45, s26, v31, v45
	;; [unrolled: 1-line block ×3, first 2 shown]
	v_or_b32_e32 v39, 0x3020100, v39
	v_perm_b32 v39, v45, v46, v39
	v_dot4_i32_i8 v42, v38, v53, v42
	v_dot4_i32_i8 v44, v39, v51, v42
	v_add_co_u32_e32 v42, vcc, v40, v25
	v_addc_co_u32_e32 v43, vcc, 0, v41, vcc
	global_load_ubyte v42, v[42:43], off offset:4
	s_nop 0
	global_load_dword v41, v[40:41], off
	s_waitcnt vmcnt(1)
	v_bfe_u32 v42, v42, v26, 4
	s_waitcnt vmcnt(0)
	v_lshrrev_b32_sdwa v40, v27, v41 dst_sel:DWORD dst_unused:UNUSED_PAD src0_sel:DWORD src1_sel:WORD_1
	v_lshlrev_b32_e32 v40, 4, v40
	v_and_or_b32 v40, v40, 48, v42
	v_subrev_u32_e32 v40, 32, v40
	v_mul_lo_u32 v42, v40, v44
	v_cvt_f32_f16_e32 v41, v41
	v_cvt_f32_i32_e32 v42, v42
	v_mul_f32_e32 v43, v41, v52
	v_fmac_f32_e32 v23, v43, v42
	v_add_u32_e32 v42, s0, v24
	v_mad_i64_i32 v[61:62], s[20:21], v42, s22, v[6:7]
	v_add_u32_e32 v24, 8, v24
	v_add_co_u32_e32 v42, vcc, v61, v29
	v_addc_co_u32_e32 v43, vcc, 0, v62, vcc
	global_load_dwordx4 v[57:60], v[42:43], off offset:8
	s_waitcnt vmcnt(0)
	v_ashrrev_i32_e32 v42, 4, v57
	v_lshrrev_b32_e32 v47, 1, v57
	v_and_b32_e32 v43, 0x7070707, v57
	v_and_b32_e32 v45, 0x7070707, v42
	;; [unrolled: 1-line block ×3, first 2 shown]
	v_lshrrev_b32_e32 v42, 1, v42
	v_perm_b32 v44, s23, v30, v43
	v_perm_b32 v43, s26, v31, v43
	v_or_b32_e32 v47, 0x3020100, v47
	v_and_b32_e32 v42, 0x4040404, v42
	v_perm_b32 v46, s23, v30, v45
	v_perm_b32 v45, s26, v31, v45
	;; [unrolled: 1-line block ×3, first 2 shown]
	v_or_b32_e32 v42, 0x3020100, v42
	v_ashrrev_i32_e32 v43, 4, v58
	v_perm_b32 v45, v45, v46, v42
	v_dot4_i32_i8 v42, v44, v48, 0
	v_and_b32_e32 v48, 0x7070707, v43
	v_lshrrev_b32_e32 v57, 1, v58
	v_lshrrev_b32_e32 v43, 1, v43
	v_and_b32_e32 v46, 0x7070707, v58
	v_and_b32_e32 v57, 0x4040404, v57
	;; [unrolled: 1-line block ×3, first 2 shown]
	v_dot4_i32_i8 v42, v45, v54, v42
	v_perm_b32 v47, s23, v30, v46
	v_perm_b32 v54, s23, v30, v48
	;; [unrolled: 1-line block ×4, first 2 shown]
	v_or_b32_e32 v57, 0x3020100, v57
	v_or_b32_e32 v43, 0x3020100, v43
	v_perm_b32 v46, v46, v47, v57
	v_perm_b32 v47, v48, v54, v43
	v_ashrrev_i32_e32 v43, 4, v59
	v_lshrrev_b32_e32 v57, 1, v59
	v_and_b32_e32 v48, 0x7070707, v59
	v_and_b32_e32 v54, 0x7070707, v43
	;; [unrolled: 1-line block ×3, first 2 shown]
	v_lshrrev_b32_e32 v43, 1, v43
	v_dot4_i32_i8 v42, v46, v49, v42
	v_perm_b32 v49, s23, v30, v48
	v_perm_b32 v48, s26, v31, v48
	v_or_b32_e32 v57, 0x3020100, v57
	v_and_b32_e32 v43, 0x4040404, v43
	v_dot4_i32_i8 v42, v47, v55, v42
	v_perm_b32 v55, s23, v30, v54
	v_perm_b32 v54, s26, v31, v54
	;; [unrolled: 1-line block ×3, first 2 shown]
	v_or_b32_e32 v43, 0x3020100, v43
	v_perm_b32 v49, v54, v55, v43
	v_dot4_i32_i8 v42, v48, v50, v42
	v_lshrrev_b32_e32 v57, 1, v60
	v_dot4_i32_i8 v43, v49, v56, v42
	v_ashrrev_i32_e32 v42, 4, v60
	v_and_b32_e32 v50, 0x7070707, v60
	v_and_b32_e32 v57, 0x4040404, v57
	v_perm_b32 v54, s23, v30, v50
	v_and_b32_e32 v55, 0x7070707, v42
	v_perm_b32 v50, s26, v31, v50
	v_or_b32_e32 v57, 0x3020100, v57
	v_lshrrev_b32_e32 v42, 1, v42
	v_perm_b32 v50, v50, v54, v57
	v_and_b32_e32 v42, 0x4040404, v42
	v_perm_b32 v56, s23, v30, v55
	v_perm_b32 v55, s26, v31, v55
	v_or_b32_e32 v42, 0x3020100, v42
	v_dot4_i32_i8 v43, v50, v53, v43
	v_add_co_u32_e32 v53, vcc, v61, v25
	v_perm_b32 v42, v55, v56, v42
	v_addc_co_u32_e32 v54, vcc, 0, v62, vcc
	v_dot4_i32_i8 v43, v42, v51, v43
	global_load_ubyte v51, v[53:54], off offset:4
	v_add_co_u32_e32 v4, vcc, 0x900, v4
	global_load_dword v53, v[61:62], off
	v_addc_co_u32_e32 v5, vcc, 0, v5, vcc
	v_cmp_le_u32_e32 vcc, s9, v24
	s_or_b64 s[12:13], vcc, s[12:13]
	s_waitcnt vmcnt(1)
	v_bfe_u32 v51, v51, v26, 4
	s_waitcnt vmcnt(0)
	v_lshrrev_b32_sdwa v54, v27, v53 dst_sel:DWORD dst_unused:UNUSED_PAD src0_sel:DWORD src1_sel:WORD_1
	v_lshlrev_b32_e32 v54, 4, v54
	v_and_or_b32 v51, v54, 48, v51
	v_subrev_u32_e32 v51, 32, v51
	v_mul_lo_u32 v54, v51, v43
	v_cvt_f32_f16_e32 v43, v53
	v_cvt_f32_i32_e32 v53, v54
	v_mul_f32_e32 v52, v43, v52
	v_fmac_f32_e32 v22, v52, v53
	v_add_u32_e32 v52, s1, v28
	v_mad_u64_u32 v[60:61], s[20:21], v52, 36, v[2:3]
	global_load_dword v62, v[60:61], off offset:32
	global_load_dwordx4 v[52:55], v[60:61], off offset:16
	global_load_dwordx4 v[56:59], v[60:61], off
	s_waitcnt vmcnt(0)
	v_dot4_i32_i8 v60, v32, v57, 0
	v_dot4_i32_i8 v57, v44, v57, 0
	v_dot4_i32_i8 v60, v33, v53, v60
	v_dot4_i32_i8 v53, v45, v53, v57
	v_dot4_i32_i8 v60, v34, v58, v60
	v_dot4_i32_i8 v53, v46, v58, v53
	v_dot4_i32_i8 v60, v35, v54, v60
	v_dot4_i32_i8 v53, v47, v54, v53
	v_dot4_i32_i8 v60, v36, v59, v60
	v_dot4_i32_i8 v53, v48, v59, v53
	v_dot4_i32_i8 v60, v37, v55, v60
	v_dot4_i32_i8 v53, v49, v55, v53
	v_dot4_i32_i8 v60, v38, v52, v60
	v_dot4_i32_i8 v52, v50, v52, v53
	v_dot4_i32_i8 v52, v42, v62, v52
	v_dot4_i32_i8 v60, v39, v62, v60
	v_mul_lo_u32 v52, v51, v52
	v_mul_lo_u32 v60, v40, v60
	v_cvt_f32_f16_e32 v56, v56
	v_cvt_f32_i32_e32 v52, v52
	v_cvt_f32_i32_e32 v60, v60
	v_mul_f32_e32 v53, v43, v56
	v_mul_f32_e32 v61, v41, v56
	v_fmac_f32_e32 v20, v53, v52
	v_add_u32_e32 v52, s25, v28
	v_fmac_f32_e32 v21, v61, v60
	v_mad_u64_u32 v[60:61], s[20:21], v52, 36, v[2:3]
	global_load_dword v62, v[60:61], off offset:32
	global_load_dwordx4 v[52:55], v[60:61], off offset:16
	global_load_dwordx4 v[56:59], v[60:61], off
	s_waitcnt vmcnt(0)
	v_dot4_i32_i8 v60, v32, v57, 0
	v_dot4_i32_i8 v57, v44, v57, 0
	v_dot4_i32_i8 v60, v33, v53, v60
	v_dot4_i32_i8 v53, v45, v53, v57
	v_dot4_i32_i8 v60, v34, v58, v60
	v_dot4_i32_i8 v53, v46, v58, v53
	v_dot4_i32_i8 v60, v35, v54, v60
	v_dot4_i32_i8 v53, v47, v54, v53
	v_dot4_i32_i8 v60, v36, v59, v60
	v_dot4_i32_i8 v53, v48, v59, v53
	v_dot4_i32_i8 v60, v37, v55, v60
	v_dot4_i32_i8 v53, v49, v55, v53
	v_dot4_i32_i8 v60, v38, v52, v60
	v_dot4_i32_i8 v52, v50, v52, v53
	v_dot4_i32_i8 v52, v42, v62, v52
	v_dot4_i32_i8 v60, v39, v62, v60
	v_mul_lo_u32 v52, v51, v52
	v_mul_lo_u32 v60, v40, v60
	v_cvt_f32_f16_e32 v56, v56
	v_cvt_f32_i32_e32 v52, v52
	v_cvt_f32_i32_e32 v60, v60
	v_mul_f32_e32 v53, v43, v56
	v_mul_f32_e32 v61, v41, v56
	v_fmac_f32_e32 v18, v53, v52
	v_add_u32_e32 v52, s24, v28
	v_fmac_f32_e32 v19, v61, v60
	;; [unrolled: 31-line block ×6, first 2 shown]
	v_mad_u64_u32 v[60:61], s[20:21], v52, 36, v[2:3]
	global_load_dword v62, v[60:61], off offset:32
	global_load_dwordx4 v[52:55], v[60:61], off offset:16
	global_load_dwordx4 v[56:59], v[60:61], off
	v_add_u32_e32 v28, 64, v28
	s_waitcnt vmcnt(0)
	v_dot4_i32_i8 v32, v32, v57, 0
	v_dot4_i32_i8 v32, v33, v53, v32
	;; [unrolled: 1-line block ×8, first 2 shown]
	v_mul_lo_u32 v32, v40, v32
	v_cvt_f32_f16_e32 v56, v56
	v_cvt_f32_i32_e32 v32, v32
	v_mul_f32_e32 v33, v41, v56
	v_fmac_f32_e32 v9, v33, v32
	v_dot4_i32_i8 v32, v44, v57, 0
	v_dot4_i32_i8 v32, v45, v53, v32
	;; [unrolled: 1-line block ×8, first 2 shown]
	v_mul_lo_u32 v32, v51, v32
	v_mul_f32_e32 v33, v43, v56
	v_cvt_f32_i32_e32 v32, v32
	v_fmac_f32_e32 v8, v33, v32
	s_andn2_b64 exec, exec, s[12:13]
	s_cbranch_execnz .LBB251_2
; %bb.3:
	s_or_b64 exec, exec, s[12:13]
.LBB251_4:
	s_or_b64 exec, exec, s[10:11]
	s_mov_b32 s1, 0
	v_cmp_eq_u32_e32 vcc, 0, v1
	; wave barrier
	s_and_saveexec_b64 s[10:11], vcc
	s_cbranch_execz .LBB251_21
; %bb.5:
	v_mbcnt_lo_u32_b32 v1, -1, 0
	v_mbcnt_hi_u32_b32 v6, -1, v1
	v_and_b32_e32 v1, 64, v6
	v_add_u32_e32 v7, 64, v1
	v_xor_b32_e32 v1, 32, v6
	v_cmp_lt_i32_e32 vcc, v1, v7
	v_cndmask_b32_e32 v1, v6, v1, vcc
	v_lshlrev_b32_e32 v1, 2, v1
	ds_bpermute_b32 v5, v1, v23
	ds_bpermute_b32 v24, v1, v22
	v_xor_b32_e32 v2, 16, v6
	v_cmp_lt_i32_e32 vcc, v2, v7
	v_cndmask_b32_e32 v2, v6, v2, vcc
	v_lshlrev_b32_e32 v2, 2, v2
	s_waitcnt lgkmcnt(1)
	v_add_f32_e32 v5, v23, v5
	s_waitcnt lgkmcnt(0)
	v_add_f32_e32 v22, v22, v24
	ds_bpermute_b32 v23, v2, v5
	ds_bpermute_b32 v24, v2, v22
	v_xor_b32_e32 v3, 8, v6
	v_cmp_lt_i32_e32 vcc, v3, v7
	v_cndmask_b32_e32 v3, v6, v3, vcc
	v_lshlrev_b32_e32 v3, 2, v3
	s_waitcnt lgkmcnt(1)
	v_add_f32_e32 v23, v5, v23
	s_waitcnt lgkmcnt(0)
	v_add_f32_e32 v22, v22, v24
	;; [unrolled: 10-line block ×3, first 2 shown]
	ds_bpermute_b32 v26, v4, v23
	ds_bpermute_b32 v24, v4, v22
	v_xor_b32_e32 v25, 2, v6
	v_cmp_lt_i32_e32 vcc, v25, v7
	v_cndmask_b32_e32 v25, v6, v25, vcc
	v_lshlrev_b32_e32 v5, 2, v25
	v_xor_b32_e32 v25, 1, v6
	v_cmp_lt_i32_e32 vcc, v25, v7
	s_waitcnt lgkmcnt(1)
	v_add_f32_e32 v7, v23, v26
	s_waitcnt lgkmcnt(0)
	v_add_f32_e32 v24, v22, v24
	v_cndmask_b32_e32 v6, v6, v25, vcc
	ds_bpermute_b32 v23, v5, v7
	ds_bpermute_b32 v25, v5, v24
	s_load_dwordx2 s[4:5], s[4:5], 0x38
	s_mul_i32 s3, s14, s7
	v_lshlrev_b32_e32 v22, 2, v6
	s_waitcnt lgkmcnt(0)
	v_add_f32_e32 v6, v7, v23
	v_add_f32_e32 v23, v24, v25
	s_mul_i32 s0, s18, s8
	s_add_i32 s3, s3, s6
	ds_bpermute_b32 v7, v22, v6
	ds_bpermute_b32 v24, v22, v23
	s_add_i32 s0, s3, s0
	s_lshl_b64 s[0:1], s[0:1], 2
	s_add_u32 s4, s4, s0
	v_add_u32_e32 v25, s6, v0
	s_addc_u32 s5, s5, s1
	v_cmp_gt_u32_e32 vcc, 2, v0
	v_cmp_gt_u32_e64 s[0:1], s2, v25
	s_and_b64 s[0:1], vcc, s[0:1]
	s_waitcnt lgkmcnt(1)
	v_add_f32_e32 v6, v6, v7
	s_waitcnt lgkmcnt(0)
	v_add_f32_e32 v7, v23, v24
	s_and_saveexec_b64 s[6:7], s[0:1]
	s_cbranch_execz .LBB251_7
; %bb.6:
	v_cmp_eq_u32_e32 vcc, 1, v0
	v_cndmask_b32_e32 v23, v6, v7, vcc
	v_cmp_eq_u32_e32 vcc, 2, v0
	v_cndmask_b32_e32 v23, v23, v21, vcc
	;; [unrolled: 2-line block ×15, first 2 shown]
	v_lshlrev_b32_e32 v24, 2, v0
	global_store_dword v24, v23, s[4:5]
.LBB251_7:
	s_or_b64 exec, exec, s[6:7]
	ds_bpermute_b32 v23, v1, v21
	ds_bpermute_b32 v24, v1, v20
	s_waitcnt lgkmcnt(1)
	v_add_f32_e32 v21, v21, v23
	s_waitcnt lgkmcnt(0)
	v_add_f32_e32 v20, v20, v24
	ds_bpermute_b32 v23, v2, v21
	ds_bpermute_b32 v24, v2, v20
	s_waitcnt lgkmcnt(1)
	v_add_f32_e32 v21, v21, v23
	s_waitcnt lgkmcnt(0)
	v_add_f32_e32 v20, v20, v24
	;; [unrolled: 6-line block ×6, first 2 shown]
	s_and_saveexec_b64 s[6:7], s[0:1]
	s_cbranch_execz .LBB251_9
; %bb.8:
	v_add_u32_e32 v23, 2, v0
	v_cmp_eq_u32_e32 vcc, 1, v23
	v_cndmask_b32_e32 v24, v6, v7, vcc
	v_cmp_eq_u32_e32 vcc, 2, v23
	v_cndmask_b32_e32 v24, v24, v21, vcc
	;; [unrolled: 2-line block ×15, first 2 shown]
	v_add_u32_e32 v23, s2, v0
	v_mov_b32_e32 v24, 0
	v_lshlrev_b64 v[23:24], 2, v[23:24]
	v_mov_b32_e32 v26, s5
	v_add_co_u32_e32 v23, vcc, s4, v23
	v_addc_co_u32_e32 v24, vcc, v26, v24, vcc
	global_store_dword v[23:24], v25, off
.LBB251_9:
	s_or_b64 exec, exec, s[6:7]
	ds_bpermute_b32 v23, v1, v19
	ds_bpermute_b32 v24, v1, v18
	s_waitcnt lgkmcnt(1)
	v_add_f32_e32 v19, v19, v23
	s_waitcnt lgkmcnt(0)
	v_add_f32_e32 v18, v18, v24
	ds_bpermute_b32 v23, v2, v19
	ds_bpermute_b32 v24, v2, v18
	s_waitcnt lgkmcnt(1)
	v_add_f32_e32 v19, v19, v23
	s_waitcnt lgkmcnt(0)
	v_add_f32_e32 v18, v18, v24
	;; [unrolled: 6-line block ×6, first 2 shown]
	s_and_saveexec_b64 s[6:7], s[0:1]
	s_cbranch_execz .LBB251_11
; %bb.10:
	v_add_u32_e32 v23, 4, v0
	v_cmp_eq_u32_e32 vcc, 1, v23
	v_cndmask_b32_e32 v24, v6, v7, vcc
	v_cmp_eq_u32_e32 vcc, 2, v23
	v_cndmask_b32_e32 v24, v24, v21, vcc
	;; [unrolled: 2-line block ×15, first 2 shown]
	v_lshl_or_b32 v23, s2, 1, v0
	v_mov_b32_e32 v24, 0
	v_lshlrev_b64 v[23:24], 2, v[23:24]
	v_mov_b32_e32 v26, s5
	v_add_co_u32_e32 v23, vcc, s4, v23
	v_addc_co_u32_e32 v24, vcc, v26, v24, vcc
	global_store_dword v[23:24], v25, off
.LBB251_11:
	s_or_b64 exec, exec, s[6:7]
	ds_bpermute_b32 v23, v1, v17
	ds_bpermute_b32 v24, v1, v16
	s_waitcnt lgkmcnt(1)
	v_add_f32_e32 v17, v17, v23
	s_waitcnt lgkmcnt(0)
	v_add_f32_e32 v16, v16, v24
	ds_bpermute_b32 v23, v2, v17
	ds_bpermute_b32 v24, v2, v16
	s_waitcnt lgkmcnt(1)
	v_add_f32_e32 v17, v17, v23
	s_waitcnt lgkmcnt(0)
	v_add_f32_e32 v16, v16, v24
	ds_bpermute_b32 v23, v3, v17
	ds_bpermute_b32 v24, v3, v16
	s_waitcnt lgkmcnt(1)
	v_add_f32_e32 v17, v17, v23
	s_waitcnt lgkmcnt(0)
	v_add_f32_e32 v16, v16, v24
	ds_bpermute_b32 v23, v4, v17
	ds_bpermute_b32 v24, v4, v16
	s_waitcnt lgkmcnt(1)
	v_add_f32_e32 v17, v17, v23
	s_waitcnt lgkmcnt(0)
	v_add_f32_e32 v16, v16, v24
	ds_bpermute_b32 v23, v5, v17
	ds_bpermute_b32 v24, v5, v16
	s_waitcnt lgkmcnt(1)
	v_add_f32_e32 v17, v17, v23
	s_waitcnt lgkmcnt(0)
	v_add_f32_e32 v16, v16, v24
	ds_bpermute_b32 v23, v22, v17
	ds_bpermute_b32 v24, v22, v16
	s_waitcnt lgkmcnt(1)
	v_add_f32_e32 v17, v17, v23
	s_waitcnt lgkmcnt(0)
	v_add_f32_e32 v16, v16, v24
	s_and_saveexec_b64 s[6:7], s[0:1]
	s_cbranch_execz .LBB251_13
; %bb.12:
	v_add_u32_e32 v25, 6, v0
	v_cmp_eq_u32_e32 vcc, 1, v25
	v_cndmask_b32_e32 v23, v6, v7, vcc
	v_cmp_eq_u32_e32 vcc, 2, v25
	v_cndmask_b32_e32 v23, v23, v21, vcc
	;; [unrolled: 2-line block ×14, first 2 shown]
	v_mad_u64_u32 v[23:24], s[8:9], s2, 3, v[0:1]
	v_mov_b32_e32 v24, 0
	v_cmp_eq_u32_e32 vcc, 15, v25
	v_lshlrev_b64 v[23:24], 2, v[23:24]
	v_cndmask_b32_e32 v25, v26, v8, vcc
	v_mov_b32_e32 v26, s5
	v_add_co_u32_e32 v23, vcc, s4, v23
	v_addc_co_u32_e32 v24, vcc, v26, v24, vcc
	global_store_dword v[23:24], v25, off
.LBB251_13:
	s_or_b64 exec, exec, s[6:7]
	ds_bpermute_b32 v23, v1, v15
	ds_bpermute_b32 v24, v1, v14
	s_waitcnt lgkmcnt(1)
	v_add_f32_e32 v15, v15, v23
	s_waitcnt lgkmcnt(0)
	v_add_f32_e32 v14, v14, v24
	ds_bpermute_b32 v23, v2, v15
	ds_bpermute_b32 v24, v2, v14
	s_waitcnt lgkmcnt(1)
	v_add_f32_e32 v15, v15, v23
	s_waitcnt lgkmcnt(0)
	v_add_f32_e32 v14, v14, v24
	;; [unrolled: 6-line block ×6, first 2 shown]
	s_and_saveexec_b64 s[6:7], s[0:1]
	s_cbranch_execz .LBB251_15
; %bb.14:
	v_add_u32_e32 v23, 8, v0
	v_cmp_eq_u32_e32 vcc, 1, v23
	v_cndmask_b32_e32 v24, v6, v7, vcc
	v_cmp_eq_u32_e32 vcc, 2, v23
	v_cndmask_b32_e32 v24, v24, v21, vcc
	;; [unrolled: 2-line block ×15, first 2 shown]
	v_lshl_or_b32 v23, s2, 2, v0
	v_mov_b32_e32 v24, 0
	v_lshlrev_b64 v[23:24], 2, v[23:24]
	v_mov_b32_e32 v26, s5
	v_add_co_u32_e32 v23, vcc, s4, v23
	v_addc_co_u32_e32 v24, vcc, v26, v24, vcc
	global_store_dword v[23:24], v25, off
.LBB251_15:
	s_or_b64 exec, exec, s[6:7]
	ds_bpermute_b32 v23, v1, v13
	ds_bpermute_b32 v24, v1, v12
	s_waitcnt lgkmcnt(1)
	v_add_f32_e32 v13, v13, v23
	s_waitcnt lgkmcnt(0)
	v_add_f32_e32 v12, v12, v24
	ds_bpermute_b32 v23, v2, v13
	ds_bpermute_b32 v24, v2, v12
	s_waitcnt lgkmcnt(1)
	v_add_f32_e32 v13, v13, v23
	s_waitcnt lgkmcnt(0)
	v_add_f32_e32 v12, v12, v24
	;; [unrolled: 6-line block ×6, first 2 shown]
	s_and_saveexec_b64 s[6:7], s[0:1]
	s_cbranch_execz .LBB251_17
; %bb.16:
	v_add_u32_e32 v25, 10, v0
	v_cmp_eq_u32_e32 vcc, 1, v25
	v_cndmask_b32_e32 v23, v6, v7, vcc
	v_cmp_eq_u32_e32 vcc, 2, v25
	v_cndmask_b32_e32 v23, v23, v21, vcc
	;; [unrolled: 2-line block ×14, first 2 shown]
	v_mad_u64_u32 v[23:24], s[8:9], s2, 5, v[0:1]
	v_mov_b32_e32 v24, 0
	v_cmp_eq_u32_e32 vcc, 15, v25
	v_lshlrev_b64 v[23:24], 2, v[23:24]
	v_cndmask_b32_e32 v25, v26, v8, vcc
	v_mov_b32_e32 v26, s5
	v_add_co_u32_e32 v23, vcc, s4, v23
	v_addc_co_u32_e32 v24, vcc, v26, v24, vcc
	global_store_dword v[23:24], v25, off
.LBB251_17:
	s_or_b64 exec, exec, s[6:7]
	ds_bpermute_b32 v23, v1, v11
	ds_bpermute_b32 v24, v1, v10
	s_waitcnt lgkmcnt(1)
	v_add_f32_e32 v11, v11, v23
	s_waitcnt lgkmcnt(0)
	v_add_f32_e32 v10, v10, v24
	ds_bpermute_b32 v23, v2, v11
	ds_bpermute_b32 v24, v2, v10
	s_waitcnt lgkmcnt(1)
	v_add_f32_e32 v11, v11, v23
	s_waitcnt lgkmcnt(0)
	v_add_f32_e32 v10, v10, v24
	;; [unrolled: 6-line block ×6, first 2 shown]
	s_and_saveexec_b64 s[6:7], s[0:1]
	s_cbranch_execz .LBB251_19
; %bb.18:
	v_add_u32_e32 v23, 12, v0
	v_cmp_eq_u32_e32 vcc, 1, v23
	v_cndmask_b32_e32 v24, v6, v7, vcc
	v_cmp_eq_u32_e32 vcc, 2, v23
	v_cndmask_b32_e32 v24, v24, v21, vcc
	;; [unrolled: 2-line block ×14, first 2 shown]
	v_cmp_eq_u32_e32 vcc, 15, v23
	s_mul_i32 s3, s2, 6
	v_cndmask_b32_e32 v25, v24, v8, vcc
	v_or_b32_e32 v23, s3, v0
	v_mov_b32_e32 v24, 0
	v_lshlrev_b64 v[23:24], 2, v[23:24]
	v_mov_b32_e32 v26, s5
	v_add_co_u32_e32 v23, vcc, s4, v23
	v_addc_co_u32_e32 v24, vcc, v26, v24, vcc
	global_store_dword v[23:24], v25, off
.LBB251_19:
	s_or_b64 exec, exec, s[6:7]
	ds_bpermute_b32 v23, v1, v9
	ds_bpermute_b32 v1, v1, v8
	s_waitcnt lgkmcnt(1)
	v_add_f32_e32 v9, v9, v23
	s_waitcnt lgkmcnt(0)
	v_add_f32_e32 v1, v8, v1
	ds_bpermute_b32 v8, v2, v9
	ds_bpermute_b32 v2, v2, v1
	s_waitcnt lgkmcnt(1)
	v_add_f32_e32 v8, v9, v8
	s_waitcnt lgkmcnt(0)
	v_add_f32_e32 v1, v1, v2
	;; [unrolled: 6-line block ×5, first 2 shown]
	ds_bpermute_b32 v3, v22, v1
	ds_bpermute_b32 v4, v22, v2
	s_and_b64 exec, exec, s[0:1]
	s_cbranch_execz .LBB251_21
; %bb.20:
	s_waitcnt lgkmcnt(1)
	v_add_f32_e32 v1, v1, v3
	v_add_u32_e32 v3, 14, v0
	v_cmp_eq_u32_e32 vcc, 1, v3
	s_waitcnt lgkmcnt(0)
	v_add_f32_e32 v2, v2, v4
	v_cndmask_b32_e32 v4, v6, v7, vcc
	v_cmp_eq_u32_e32 vcc, 2, v3
	v_cndmask_b32_e32 v4, v4, v21, vcc
	v_cmp_eq_u32_e32 vcc, 3, v3
	;; [unrolled: 2-line block ×13, first 2 shown]
	v_cndmask_b32_e32 v4, v4, v1, vcc
	v_mad_u64_u32 v[0:1], s[0:1], s2, 7, v[0:1]
	v_mov_b32_e32 v1, 0
	v_cmp_eq_u32_e32 vcc, 15, v3
	v_lshlrev_b64 v[0:1], 2, v[0:1]
	v_cndmask_b32_e32 v2, v4, v2, vcc
	v_mov_b32_e32 v3, s5
	v_add_co_u32_e32 v0, vcc, s4, v0
	v_addc_co_u32_e32 v1, vcc, v3, v1, vcc
	global_store_dword v[0:1], v2, off
.LBB251_21:
	s_endpgm
	.section	.rodata,"a",@progbits
	.p2align	6, 0x0
	.amdhsa_kernel _ZL13mul_mat_vec_qIL9ggml_type23ELi8ELb0ELb0EEvPKvS2_PKi31ggml_cuda_mm_fusion_args_devicePfj15HIP_vector_typeIjLj3EEjjjS8_jjjS8_jjjj
		.amdhsa_group_segment_fixed_size 0
		.amdhsa_private_segment_fixed_size 0
		.amdhsa_kernarg_size 144
		.amdhsa_user_sgpr_count 6
		.amdhsa_user_sgpr_private_segment_buffer 1
		.amdhsa_user_sgpr_dispatch_ptr 0
		.amdhsa_user_sgpr_queue_ptr 0
		.amdhsa_user_sgpr_kernarg_segment_ptr 1
		.amdhsa_user_sgpr_dispatch_id 0
		.amdhsa_user_sgpr_flat_scratch_init 0
		.amdhsa_user_sgpr_private_segment_size 0
		.amdhsa_uses_dynamic_stack 0
		.amdhsa_system_sgpr_private_segment_wavefront_offset 0
		.amdhsa_system_sgpr_workgroup_id_x 1
		.amdhsa_system_sgpr_workgroup_id_y 1
		.amdhsa_system_sgpr_workgroup_id_z 1
		.amdhsa_system_sgpr_workgroup_info 0
		.amdhsa_system_vgpr_workitem_id 1
		.amdhsa_next_free_vgpr 63
		.amdhsa_next_free_sgpr 27
		.amdhsa_reserve_vcc 1
		.amdhsa_reserve_flat_scratch 0
		.amdhsa_float_round_mode_32 0
		.amdhsa_float_round_mode_16_64 0
		.amdhsa_float_denorm_mode_32 3
		.amdhsa_float_denorm_mode_16_64 3
		.amdhsa_dx10_clamp 1
		.amdhsa_ieee_mode 1
		.amdhsa_fp16_overflow 0
		.amdhsa_exception_fp_ieee_invalid_op 0
		.amdhsa_exception_fp_denorm_src 0
		.amdhsa_exception_fp_ieee_div_zero 0
		.amdhsa_exception_fp_ieee_overflow 0
		.amdhsa_exception_fp_ieee_underflow 0
		.amdhsa_exception_fp_ieee_inexact 0
		.amdhsa_exception_int_div_zero 0
	.end_amdhsa_kernel
	.section	.text._ZL13mul_mat_vec_qIL9ggml_type23ELi8ELb0ELb0EEvPKvS2_PKi31ggml_cuda_mm_fusion_args_devicePfj15HIP_vector_typeIjLj3EEjjjS8_jjjS8_jjjj,"axG",@progbits,_ZL13mul_mat_vec_qIL9ggml_type23ELi8ELb0ELb0EEvPKvS2_PKi31ggml_cuda_mm_fusion_args_devicePfj15HIP_vector_typeIjLj3EEjjjS8_jjjS8_jjjj,comdat
.Lfunc_end251:
	.size	_ZL13mul_mat_vec_qIL9ggml_type23ELi8ELb0ELb0EEvPKvS2_PKi31ggml_cuda_mm_fusion_args_devicePfj15HIP_vector_typeIjLj3EEjjjS8_jjjS8_jjjj, .Lfunc_end251-_ZL13mul_mat_vec_qIL9ggml_type23ELi8ELb0ELb0EEvPKvS2_PKi31ggml_cuda_mm_fusion_args_devicePfj15HIP_vector_typeIjLj3EEjjjS8_jjjS8_jjjj
                                        ; -- End function
	.set _ZL13mul_mat_vec_qIL9ggml_type23ELi8ELb0ELb0EEvPKvS2_PKi31ggml_cuda_mm_fusion_args_devicePfj15HIP_vector_typeIjLj3EEjjjS8_jjjS8_jjjj.num_vgpr, 63
	.set _ZL13mul_mat_vec_qIL9ggml_type23ELi8ELb0ELb0EEvPKvS2_PKi31ggml_cuda_mm_fusion_args_devicePfj15HIP_vector_typeIjLj3EEjjjS8_jjjS8_jjjj.num_agpr, 0
	.set _ZL13mul_mat_vec_qIL9ggml_type23ELi8ELb0ELb0EEvPKvS2_PKi31ggml_cuda_mm_fusion_args_devicePfj15HIP_vector_typeIjLj3EEjjjS8_jjjS8_jjjj.numbered_sgpr, 27
	.set _ZL13mul_mat_vec_qIL9ggml_type23ELi8ELb0ELb0EEvPKvS2_PKi31ggml_cuda_mm_fusion_args_devicePfj15HIP_vector_typeIjLj3EEjjjS8_jjjS8_jjjj.num_named_barrier, 0
	.set _ZL13mul_mat_vec_qIL9ggml_type23ELi8ELb0ELb0EEvPKvS2_PKi31ggml_cuda_mm_fusion_args_devicePfj15HIP_vector_typeIjLj3EEjjjS8_jjjS8_jjjj.private_seg_size, 0
	.set _ZL13mul_mat_vec_qIL9ggml_type23ELi8ELb0ELb0EEvPKvS2_PKi31ggml_cuda_mm_fusion_args_devicePfj15HIP_vector_typeIjLj3EEjjjS8_jjjS8_jjjj.uses_vcc, 1
	.set _ZL13mul_mat_vec_qIL9ggml_type23ELi8ELb0ELb0EEvPKvS2_PKi31ggml_cuda_mm_fusion_args_devicePfj15HIP_vector_typeIjLj3EEjjjS8_jjjS8_jjjj.uses_flat_scratch, 0
	.set _ZL13mul_mat_vec_qIL9ggml_type23ELi8ELb0ELb0EEvPKvS2_PKi31ggml_cuda_mm_fusion_args_devicePfj15HIP_vector_typeIjLj3EEjjjS8_jjjS8_jjjj.has_dyn_sized_stack, 0
	.set _ZL13mul_mat_vec_qIL9ggml_type23ELi8ELb0ELb0EEvPKvS2_PKi31ggml_cuda_mm_fusion_args_devicePfj15HIP_vector_typeIjLj3EEjjjS8_jjjS8_jjjj.has_recursion, 0
	.set _ZL13mul_mat_vec_qIL9ggml_type23ELi8ELb0ELb0EEvPKvS2_PKi31ggml_cuda_mm_fusion_args_devicePfj15HIP_vector_typeIjLj3EEjjjS8_jjjS8_jjjj.has_indirect_call, 0
	.section	.AMDGPU.csdata,"",@progbits
; Kernel info:
; codeLenInByte = 6384
; TotalNumSgprs: 31
; NumVgprs: 63
; ScratchSize: 0
; MemoryBound: 0
; FloatMode: 240
; IeeeMode: 1
; LDSByteSize: 0 bytes/workgroup (compile time only)
; SGPRBlocks: 3
; VGPRBlocks: 15
; NumSGPRsForWavesPerEU: 31
; NumVGPRsForWavesPerEU: 63
; Occupancy: 4
; WaveLimiterHint : 0
; COMPUTE_PGM_RSRC2:SCRATCH_EN: 0
; COMPUTE_PGM_RSRC2:USER_SGPR: 6
; COMPUTE_PGM_RSRC2:TRAP_HANDLER: 0
; COMPUTE_PGM_RSRC2:TGID_X_EN: 1
; COMPUTE_PGM_RSRC2:TGID_Y_EN: 1
; COMPUTE_PGM_RSRC2:TGID_Z_EN: 1
; COMPUTE_PGM_RSRC2:TIDIG_COMP_CNT: 1
	.section	.text._ZL17mul_mat_vec_q_moeIL9ggml_type21ELi2EEvPKvS2_PKiPfj15HIP_vector_typeIjLj3EEjjjjjjjjj,"axG",@progbits,_ZL17mul_mat_vec_q_moeIL9ggml_type21ELi2EEvPKvS2_PKiPfj15HIP_vector_typeIjLj3EEjjjjjjjjj,comdat
	.globl	_ZL17mul_mat_vec_q_moeIL9ggml_type21ELi2EEvPKvS2_PKiPfj15HIP_vector_typeIjLj3EEjjjjjjjjj ; -- Begin function _ZL17mul_mat_vec_q_moeIL9ggml_type21ELi2EEvPKvS2_PKiPfj15HIP_vector_typeIjLj3EEjjjjjjjjj
	.p2align	8
	.type	_ZL17mul_mat_vec_q_moeIL9ggml_type21ELi2EEvPKvS2_PKiPfj15HIP_vector_typeIjLj3EEjjjjjjjjj,@function
_ZL17mul_mat_vec_q_moeIL9ggml_type21ELi2EEvPKvS2_PKiPfj15HIP_vector_typeIjLj3EEjjjjjjjjj: ; @_ZL17mul_mat_vec_q_moeIL9ggml_type21ELi2EEvPKvS2_PKiPfj15HIP_vector_typeIjLj3EEjjjjjjjjj
; %bb.0:
	s_load_dwordx8 s[8:15], s[4:5], 0x30
	s_waitcnt lgkmcnt(0)
	v_cmp_gt_u32_e32 vcc, s15, v1
	s_and_saveexec_b64 s[0:1], vcc
	s_cbranch_execz .LBB252_7
; %bb.1:
	s_load_dword s1, s[4:5], 0x20
	s_load_dword s0, s[4:5], 0x50
	s_load_dwordx8 s[16:23], s[4:5], 0x0
	v_lshrrev_b32_e32 v15, 3, v0
	s_lshl_b32 s6, s6, 1
	s_waitcnt lgkmcnt(0)
	s_lshr_b32 s15, s1, 8
	v_cmp_gt_u32_e32 vcc, s15, v15
	v_mov_b32_e32 v17, 0
	v_mov_b32_e32 v16, 0
	s_and_saveexec_b64 s[24:25], vcc
	s_cbranch_execz .LBB252_5
; %bb.2:
	v_mul_lo_u32 v2, s0, v1
	v_mov_b32_e32 v10, 0
	v_mov_b32_e32 v4, s21
	s_load_dwordx4 s[0:3], s[4:5], 0x24
	v_add_u32_e32 v9, s7, v2
	v_lshlrev_b64 v[2:3], 2, v[9:10]
	s_add_i32 s26, s6, 1
	v_add_co_u32_e32 v2, vcc, s20, v2
	v_addc_co_u32_e32 v3, vcc, v4, v3, vcc
	global_load_dword v4, v[2:3], off
	v_mul_lo_u32 v2, s10, v1
	v_lshlrev_b32_e32 v3, 1, v0
	s_mul_i32 s21, s6, s9
	v_and_b32_e32 v7, 14, v3
	v_bfe_u32 v20, v3, 2, 2
	s_mul_i32 s9, s9, s26
	v_mad_u64_u32 v[2:3], s[26:27], v2, 36, 0
	s_waitcnt lgkmcnt(0)
	s_mul_hi_u32 s0, s0, s7
	s_add_i32 s0, s7, s0
	v_lshrrev_b32_e32 v5, 3, v0
	s_movk_i32 s28, 0x120
	s_lshr_b32 s0, s0, s1
	s_mul_i32 s2, s0, s2
	v_mad_u64_u32 v[2:3], s[0:1], v5, s28, v[2:3]
	s_sub_i32 s0, s7, s2
	s_mul_i32 s0, s0, s13
	v_mad_u64_u32 v[2:3], s[0:1], s0, 36, v[2:3]
	v_and_b32_e32 v18, 7, v0
	v_mov_b32_e32 v6, s19
	v_mad_u64_u32 v[2:3], s[0:1], v18, 36, v[2:3]
	v_lshlrev_b32_e32 v5, 1, v7
	s_mov_b64 s[4:5], 0
	v_add_co_u32_e32 v2, vcc, s18, v2
	v_addc_co_u32_e32 v3, vcc, v6, v3, vcc
	v_add_co_u32_e32 v11, vcc, 32, v2
	s_movk_i32 s3, 0x6e
	s_movk_i32 s10, 0x100
	;; [unrolled: 1-line block ×3, first 2 shown]
	s_mov_b32 s20, 0xc0c0105
	v_mov_b32_e32 v19, 8
	v_mov_b32_e32 v16, 0
	v_lshlrev_b32_e32 v21, 1, v7
	v_and_b32_e32 v22, 4, v5
	v_lshlrev_b32_e32 v23, 1, v5
	v_addc_co_u32_e32 v12, vcc, 0, v3, vcc
	v_mov_b32_e32 v17, 0
	s_waitcnt vmcnt(0)
	v_mul_lo_u32 v4, v4, s12
	v_add_u32_e32 v24, s21, v4
	v_add_u32_e32 v25, s9, v4
.LBB252_3:                              ; =>This Inner Loop Header: Depth=1
	v_mov_b32_e32 v13, s16
	v_add_u32_e32 v27, v24, v15
	v_mov_b32_e32 v14, s17
	v_mad_i64_i32 v[27:28], s[0:1], v27, s3, v[13:14]
	global_load_dword v26, v[11:12], off
	global_load_dwordx4 v[2:5], v[11:12], off offset:-16
	global_load_dwordx4 v[6:9], v[11:12], off offset:-32
	s_getpc_b64 s[0:1]
	s_add_u32 s0, s0, _ZL9iq3s_grid@rel32@lo+4
	s_addc_u32 s1, s1, _ZL9iq3s_grid@rel32@hi+12
	v_add_co_u32_e32 v29, vcc, v27, v23
	v_addc_co_u32_e32 v30, vcc, 0, v28, vcc
	v_add_co_u32_e32 v31, vcc, v27, v18
	v_addc_co_u32_e32 v32, vcc, 0, v28, vcc
	global_load_dwordx2 v[29:30], v[29:30], off offset:2
	s_waitcnt vmcnt(1)
	v_cvt_f32_f16_e32 v6, v6
	global_load_ubyte v33, v[31:32], off offset:66
	v_add_co_u32_e32 v31, vcc, v27, v21
	v_addc_co_u32_e32 v32, vcc, 0, v28, vcc
	global_load_dword v31, v[31:32], off offset:74
	s_waitcnt vmcnt(2)
	v_and_b32_e32 v34, 0xff, v29
	s_waitcnt vmcnt(1)
	v_lshlrev_b32_e32 v35, 8, v33
	v_and_or_b32 v34, v35, s10, v34
	v_lshlrev_b32_e32 v34, 2, v34
	global_load_dword v34, v34, s[0:1]
	v_bfe_u32 v35, v29, 8, 8
	v_lshlrev_b32_e32 v36, 7, v33
	v_and_or_b32 v35, v36, s10, v35
	v_lshlrev_b32_e32 v35, 2, v35
	global_load_dword v35, v35, s[0:1]
	s_waitcnt vmcnt(2)
	v_and_b32_e32 v36, 0xff, v31
	v_lshlrev_b32_e32 v37, 21, v31
	v_lshl_or_b32 v37, v36, 7, v37
	v_and_b32_e32 v38, 0x1800180, v37
	v_bfe_u32 v37, v37, 24, 1
	v_cmp_ne_u16_e32 vcc, 0, v37
	v_cmp_ne_u16_sdwa s[12:13], v38, v10 src0_sel:BYTE_1 src1_sel:DWORD
	v_lshrrev_b16_e32 v37, 7, v38
	v_lshrrev_b32_e32 v38, 2, v31
	v_cndmask_b32_e64 v39, 0, -1, s[12:13]
	v_cndmask_b32_e64 v41, 0, -1, vcc
	v_bfe_i32 v37, v37, 0, 1
	v_lshlrev_b16_e32 v39, 8, v39
	v_lshlrev_b16_e32 v41, 8, v41
	v_bfe_i32 v38, v38, 0, 1
	v_or_b32_sdwa v40, v37, v39 dst_sel:DWORD dst_unused:UNUSED_PAD src0_sel:BYTE_0 src1_sel:DWORD
	v_or_b32_sdwa v42, v38, v41 dst_sel:WORD_1 dst_unused:UNUSED_PAD src0_sel:BYTE_0 src1_sel:DWORD
	v_or_b32_sdwa v40, v40, v42 dst_sel:DWORD dst_unused:UNUSED_PAD src0_sel:WORD_0 src1_sel:DWORD
	v_lshlrev_b32_e32 v42, 17, v31
	v_lshl_or_b32 v36, v36, 3, v42
	v_and_b32_e32 v42, 0x1800180, v36
	v_bfe_u32 v36, v36, 24, 1
	v_cmp_ne_u16_e32 vcc, 0, v36
	v_cmp_ne_u16_sdwa s[12:13], v42, v10 src0_sel:BYTE_1 src1_sel:DWORD
	v_lshrrev_b16_e32 v36, 7, v42
	v_lshrrev_b32_e32 v42, 6, v31
	v_cndmask_b32_e64 v43, 0, -1, s[12:13]
	v_cndmask_b32_e64 v45, 0, -1, vcc
	v_lshlrev_b16_e32 v37, 8, v37
	v_bfe_i32 v36, v36, 0, 1
	v_lshlrev_b16_e32 v43, 8, v43
	v_lshlrev_b16_e32 v45, 8, v45
	v_bfe_i32 v42, v42, 0, 1
	v_or_b32_sdwa v44, v36, v43 dst_sel:DWORD dst_unused:UNUSED_PAD src0_sel:BYTE_0 src1_sel:DWORD
	v_or_b32_sdwa v46, v42, v45 dst_sel:WORD_1 dst_unused:UNUSED_PAD src0_sel:BYTE_0 src1_sel:DWORD
	v_lshlrev_b16_e32 v38, 8, v38
	v_or_b32_sdwa v44, v44, v46 dst_sel:DWORD dst_unused:UNUSED_PAD src0_sel:WORD_0 src1_sel:DWORD
	v_lshlrev_b16_e32 v36, 8, v36
	v_lshrrev_b32_e32 v32, 16, v31
	s_waitcnt vmcnt(1)
	v_xor_b32_e32 v34, v34, v40
	v_and_b32_e32 v40, 0xffffff00, v34
	v_sub_i16 v39, v40, v39 clamp
	v_lshlrev_b16_e32 v40, 8, v34
	v_sub_i16 v37, v40, v37 clamp
	v_perm_b32 v37, v37, v39, s20
	v_and_b32_sdwa v39, v34, s19 dst_sel:DWORD dst_unused:UNUSED_PAD src0_sel:WORD_1 src1_sel:DWORD
	v_lshlrev_b16_sdwa v34, v19, v34 dst_sel:DWORD dst_unused:UNUSED_PAD src0_sel:DWORD src1_sel:WORD_1
	v_sub_i16 v39, v39, v41 clamp
	v_sub_i16 v34, v34, v38 clamp
	v_perm_b32 v34, v34, v39, s20
	s_waitcnt vmcnt(0)
	v_xor_b32_e32 v35, v35, v44
	v_lshl_or_b32 v34, v34, 16, v37
	v_and_b32_e32 v37, 0xffffff00, v35
	v_lshlrev_b16_e32 v38, 8, v35
	v_sub_i16 v37, v37, v43 clamp
	v_sub_i16 v36, v38, v36 clamp
	v_perm_b32 v36, v36, v37, s20
	v_and_b32_sdwa v37, v35, s19 dst_sel:DWORD dst_unused:UNUSED_PAD src0_sel:WORD_1 src1_sel:DWORD
	v_lshlrev_b16_sdwa v35, v19, v35 dst_sel:DWORD dst_unused:UNUSED_PAD src0_sel:DWORD src1_sel:WORD_1
	v_lshlrev_b16_e32 v38, 8, v42
	v_sub_i16 v37, v37, v45 clamp
	v_sub_i16 v35, v35, v38 clamp
	v_perm_b32 v35, v35, v37, s20
	v_lshl_or_b32 v35, v35, 16, v36
	v_dot4_i32_i8 v34, v34, v7, 0
	v_dot4_i32_i8 v34, v35, v8, v34
	v_bfe_u32 v35, v29, 16, 8
	v_lshlrev_b32_e32 v36, 6, v33
	v_and_or_b32 v35, v36, s10, v35
	v_lshlrev_b32_e32 v35, 2, v35
	global_load_dword v35, v35, s[0:1]
	v_lshrrev_b32_e32 v29, 24, v29
	v_lshlrev_b32_e32 v36, 5, v33
	v_and_or_b32 v29, v36, s10, v29
	v_lshlrev_b32_e32 v29, 2, v29
	global_load_dword v29, v29, s[0:1]
	v_lshrrev_b32_e32 v36, 1, v31
	v_and_b32_e32 v36, 0x180, v36
	v_lshrrev_b32_e32 v37, 11, v31
	v_cmp_ne_u16_sdwa s[12:13], v36, v10 src0_sel:BYTE_1 src1_sel:DWORD
	v_lshrrev_b32_e32 v38, 10, v31
	v_lshrrev_b16_e32 v36, 7, v36
	v_cndmask_b32_e64 v39, 0, -1, s[12:13]
	v_bfe_i32 v37, v37, 0, 1
	v_bfe_i32 v36, v36, 0, 1
	v_lshlrev_b16_e32 v39, 8, v39
	v_lshlrev_b16_e32 v37, 8, v37
	v_bfe_i32 v38, v38, 0, 1
	v_or_b32_sdwa v40, v36, v39 dst_sel:DWORD dst_unused:UNUSED_PAD src0_sel:BYTE_0 src1_sel:DWORD
	v_or_b32_sdwa v41, v38, v37 dst_sel:WORD_1 dst_unused:UNUSED_PAD src0_sel:BYTE_0 src1_sel:DWORD
	v_or_b32_sdwa v40, v40, v41 dst_sel:DWORD dst_unused:UNUSED_PAD src0_sel:WORD_0 src1_sel:DWORD
	v_lshrrev_b32_e32 v41, 5, v31
	v_and_b32_e32 v41, 0x180, v41
	v_lshrrev_b32_e32 v42, 15, v31
	v_cmp_ne_u16_sdwa s[12:13], v41, v10 src0_sel:BYTE_1 src1_sel:DWORD
	v_lshrrev_b32_e32 v43, 14, v31
	v_lshrrev_b16_e32 v41, 7, v41
	v_cndmask_b32_e64 v44, 0, -1, s[12:13]
	v_bfe_i32 v42, v42, 0, 1
	v_lshlrev_b16_e32 v36, 8, v36
	v_bfe_i32 v41, v41, 0, 1
	v_lshlrev_b16_e32 v44, 8, v44
	v_lshlrev_b16_e32 v42, 8, v42
	v_bfe_i32 v43, v43, 0, 1
	v_or_b32_sdwa v45, v41, v44 dst_sel:DWORD dst_unused:UNUSED_PAD src0_sel:BYTE_0 src1_sel:DWORD
	v_or_b32_sdwa v46, v43, v42 dst_sel:WORD_1 dst_unused:UNUSED_PAD src0_sel:BYTE_0 src1_sel:DWORD
	v_lshlrev_b16_e32 v38, 8, v38
	v_or_b32_sdwa v45, v45, v46 dst_sel:DWORD dst_unused:UNUSED_PAD src0_sel:WORD_0 src1_sel:DWORD
	s_waitcnt vmcnt(1)
	v_xor_b32_e32 v35, v35, v40
	v_and_b32_e32 v40, 0xffffff00, v35
	v_sub_i16 v39, v40, v39 clamp
	v_lshlrev_b16_e32 v40, 8, v35
	v_sub_i16 v36, v40, v36 clamp
	v_perm_b32 v36, v36, v39, s20
	v_and_b32_sdwa v39, v35, s19 dst_sel:DWORD dst_unused:UNUSED_PAD src0_sel:WORD_1 src1_sel:DWORD
	v_lshlrev_b16_sdwa v35, v19, v35 dst_sel:DWORD dst_unused:UNUSED_PAD src0_sel:DWORD src1_sel:WORD_1
	v_sub_i16 v37, v39, v37 clamp
	v_sub_i16 v35, v35, v38 clamp
	v_perm_b32 v35, v35, v37, s20
	s_waitcnt vmcnt(0)
	v_xor_b32_e32 v29, v29, v45
	v_lshl_or_b32 v35, v35, 16, v36
	v_and_b32_e32 v36, 0xffffff00, v29
	v_lshlrev_b16_e32 v37, 8, v29
	v_lshlrev_b16_e32 v38, 8, v41
	v_sub_i16 v36, v36, v44 clamp
	v_sub_i16 v37, v37, v38 clamp
	v_perm_b32 v36, v37, v36, s20
	v_and_b32_sdwa v37, v29, s19 dst_sel:DWORD dst_unused:UNUSED_PAD src0_sel:WORD_1 src1_sel:DWORD
	v_lshlrev_b16_sdwa v29, v19, v29 dst_sel:DWORD dst_unused:UNUSED_PAD src0_sel:DWORD src1_sel:WORD_1
	v_lshlrev_b16_e32 v38, 8, v43
	v_sub_i16 v37, v37, v42 clamp
	v_sub_i16 v29, v29, v38 clamp
	v_perm_b32 v29, v29, v37, s20
	v_lshl_or_b32 v29, v29, 16, v36
	v_dot4_i32_i8 v34, v35, v9, v34
	v_dot4_i32_i8 v29, v29, v2, v34
	v_and_b32_e32 v34, 0xff, v30
	v_lshlrev_b32_e32 v35, 4, v33
	v_and_or_b32 v34, v35, s10, v34
	v_lshlrev_b32_e32 v34, 2, v34
	global_load_dword v34, v34, s[0:1]
	v_bfe_u32 v35, v30, 8, 8
	v_lshlrev_b32_e32 v36, 3, v33
	v_and_or_b32 v35, v36, s10, v35
	v_lshlrev_b32_e32 v35, 2, v35
	global_load_dword v35, v35, s[0:1]
	v_lshrrev_b32_e32 v36, 9, v31
	v_lshl_or_b32 v36, v32, 21, v36
	v_and_b32_e32 v37, 0x1800180, v36
	v_bfe_u32 v36, v36, 24, 1
	v_cmp_ne_u16_e32 vcc, 0, v36
	v_cmp_ne_u16_sdwa s[12:13], v37, v10 src0_sel:BYTE_1 src1_sel:DWORD
	v_lshrrev_b16_e32 v36, 7, v37
	v_lshrrev_b32_e32 v37, 18, v31
	v_cndmask_b32_e64 v38, 0, -1, s[12:13]
	v_cndmask_b32_e64 v40, 0, -1, vcc
	v_bfe_i32 v36, v36, 0, 1
	v_lshlrev_b16_e32 v38, 8, v38
	v_lshlrev_b16_e32 v40, 8, v40
	v_bfe_i32 v37, v37, 0, 1
	v_or_b32_sdwa v39, v36, v38 dst_sel:DWORD dst_unused:UNUSED_PAD src0_sel:BYTE_0 src1_sel:DWORD
	v_or_b32_sdwa v41, v37, v40 dst_sel:WORD_1 dst_unused:UNUSED_PAD src0_sel:BYTE_0 src1_sel:DWORD
	v_or_b32_sdwa v39, v39, v41 dst_sel:DWORD dst_unused:UNUSED_PAD src0_sel:WORD_0 src1_sel:DWORD
	v_lshrrev_b32_e32 v41, 13, v31
	v_lshl_or_b32 v32, v32, 17, v41
	v_and_b32_e32 v41, 0x1800180, v32
	v_bfe_u32 v32, v32, 24, 1
	v_cmp_ne_u16_e32 vcc, 0, v32
	v_cmp_ne_u16_sdwa s[12:13], v41, v10 src0_sel:BYTE_1 src1_sel:DWORD
	v_lshrrev_b16_e32 v32, 7, v41
	v_lshrrev_b32_e32 v41, 22, v31
	v_cndmask_b32_e64 v42, 0, -1, s[12:13]
	v_cndmask_b32_e64 v44, 0, -1, vcc
	v_lshlrev_b16_e32 v36, 8, v36
	v_bfe_i32 v32, v32, 0, 1
	v_lshlrev_b16_e32 v42, 8, v42
	v_lshlrev_b16_e32 v44, 8, v44
	v_bfe_i32 v41, v41, 0, 1
	v_or_b32_sdwa v43, v32, v42 dst_sel:DWORD dst_unused:UNUSED_PAD src0_sel:BYTE_0 src1_sel:DWORD
	v_or_b32_sdwa v45, v41, v44 dst_sel:WORD_1 dst_unused:UNUSED_PAD src0_sel:BYTE_0 src1_sel:DWORD
	v_lshlrev_b16_e32 v37, 8, v37
	v_or_b32_sdwa v43, v43, v45 dst_sel:DWORD dst_unused:UNUSED_PAD src0_sel:WORD_0 src1_sel:DWORD
	v_lshlrev_b16_e32 v32, 8, v32
	s_waitcnt vmcnt(1)
	v_xor_b32_e32 v34, v34, v39
	v_and_b32_e32 v39, 0xffffff00, v34
	v_sub_i16 v38, v39, v38 clamp
	v_lshlrev_b16_e32 v39, 8, v34
	v_sub_i16 v36, v39, v36 clamp
	v_perm_b32 v36, v36, v38, s20
	v_and_b32_sdwa v38, v34, s19 dst_sel:DWORD dst_unused:UNUSED_PAD src0_sel:WORD_1 src1_sel:DWORD
	v_lshlrev_b16_sdwa v34, v19, v34 dst_sel:DWORD dst_unused:UNUSED_PAD src0_sel:DWORD src1_sel:WORD_1
	v_sub_i16 v38, v38, v40 clamp
	v_sub_i16 v34, v34, v37 clamp
	v_perm_b32 v34, v34, v38, s20
	s_waitcnt vmcnt(0)
	v_xor_b32_e32 v35, v35, v43
	v_lshl_or_b32 v34, v34, 16, v36
	v_and_b32_e32 v36, 0xffffff00, v35
	v_lshlrev_b16_e32 v37, 8, v35
	v_sub_i16 v36, v36, v42 clamp
	v_sub_i16 v32, v37, v32 clamp
	v_perm_b32 v32, v32, v36, s20
	v_and_b32_sdwa v36, v35, s19 dst_sel:DWORD dst_unused:UNUSED_PAD src0_sel:WORD_1 src1_sel:DWORD
	v_lshlrev_b16_sdwa v35, v19, v35 dst_sel:DWORD dst_unused:UNUSED_PAD src0_sel:DWORD src1_sel:WORD_1
	v_lshlrev_b16_e32 v37, 8, v41
	v_sub_i16 v36, v36, v44 clamp
	v_sub_i16 v35, v35, v37 clamp
	v_perm_b32 v35, v35, v36, s20
	v_lshl_or_b32 v32, v35, 16, v32
	v_dot4_i32_i8 v29, v34, v3, v29
	v_dot4_i32_i8 v29, v32, v4, v29
	v_bfe_u32 v32, v30, 16, 8
	v_lshlrev_b32_e32 v34, 2, v33
	v_and_or_b32 v32, v34, s10, v32
	v_lshlrev_b32_e32 v32, 2, v32
	global_load_dword v32, v32, s[0:1]
	v_lshrrev_b32_e32 v30, 24, v30
	v_lshlrev_b32_e32 v33, 1, v33
	v_and_or_b32 v30, v33, s10, v30
	v_lshlrev_b32_e32 v30, 2, v30
	global_load_dword v30, v30, s[0:1]
	v_lshrrev_b32_e32 v33, 17, v31
	v_lshrrev_b32_e32 v34, 24, v31
	v_lshl_or_b32 v33, v34, 21, v33
	v_and_b32_e32 v34, 0x1800180, v33
	v_bfe_u32 v33, v33, 24, 1
	v_cmp_ne_u16_e32 vcc, 0, v33
	v_cmp_ne_u16_sdwa s[12:13], v34, v10 src0_sel:BYTE_1 src1_sel:DWORD
	v_lshrrev_b16_e32 v33, 7, v34
	v_lshrrev_b32_e32 v34, 26, v31
	v_cndmask_b32_e64 v35, 0, -1, s[12:13]
	v_cndmask_b32_e64 v37, 0, -1, vcc
	v_bfe_i32 v33, v33, 0, 1
	v_lshlrev_b16_e32 v35, 8, v35
	v_lshlrev_b16_e32 v37, 8, v37
	v_bfe_i32 v34, v34, 0, 1
	v_or_b32_sdwa v36, v33, v35 dst_sel:DWORD dst_unused:UNUSED_PAD src0_sel:BYTE_0 src1_sel:DWORD
	v_or_b32_sdwa v38, v34, v37 dst_sel:WORD_1 dst_unused:UNUSED_PAD src0_sel:BYTE_0 src1_sel:DWORD
	v_or_b32_sdwa v36, v36, v38 dst_sel:DWORD dst_unused:UNUSED_PAD src0_sel:WORD_0 src1_sel:DWORD
	v_lshrrev_b32_e32 v38, 21, v31
	v_lshrrev_b32_e32 v40, 31, v31
	v_lshrrev_b16_e32 v39, 8, v38
	v_cmp_ne_u16_e32 vcc, 0, v40
	v_lshrrev_b32_e32 v31, 30, v31
	v_lshrrev_b16_e32 v38, 7, v38
	v_bfe_i32 v39, v39, 0, 1
	v_cndmask_b32_e64 v41, 0, -1, vcc
	v_lshlrev_b16_e32 v33, 8, v33
	v_lshlrev_b16_e32 v39, 8, v39
	v_bfe_i32 v38, v38, 0, 1
	v_bfe_i32 v31, v31, 0, 1
	v_lshlrev_b16_e32 v41, 8, v41
	v_or_b32_sdwa v40, v38, v39 dst_sel:DWORD dst_unused:UNUSED_PAD src0_sel:BYTE_0 src1_sel:DWORD
	v_or_b32_sdwa v42, v31, v41 dst_sel:WORD_1 dst_unused:UNUSED_PAD src0_sel:BYTE_0 src1_sel:DWORD
	v_lshlrev_b16_e32 v34, 8, v34
	v_or_b32_sdwa v40, v40, v42 dst_sel:DWORD dst_unused:UNUSED_PAD src0_sel:WORD_0 src1_sel:DWORD
	v_lshlrev_b16_e32 v31, 8, v31
	s_waitcnt vmcnt(1)
	v_xor_b32_e32 v32, v32, v36
	v_and_b32_e32 v36, 0xffffff00, v32
	v_sub_i16 v35, v36, v35 clamp
	v_lshlrev_b16_e32 v36, 8, v32
	v_sub_i16 v33, v36, v33 clamp
	v_perm_b32 v33, v33, v35, s20
	v_and_b32_sdwa v35, v32, s19 dst_sel:DWORD dst_unused:UNUSED_PAD src0_sel:WORD_1 src1_sel:DWORD
	v_lshlrev_b16_sdwa v32, v19, v32 dst_sel:DWORD dst_unused:UNUSED_PAD src0_sel:DWORD src1_sel:WORD_1
	v_sub_i16 v35, v35, v37 clamp
	v_sub_i16 v32, v32, v34 clamp
	v_perm_b32 v32, v32, v35, s20
	s_waitcnt vmcnt(0)
	v_xor_b32_e32 v30, v30, v40
	v_lshl_or_b32 v32, v32, 16, v33
	v_and_b32_e32 v33, 0xffffff00, v30
	v_lshlrev_b16_e32 v34, 8, v30
	v_lshlrev_b16_e32 v35, 8, v38
	v_sub_i16 v33, v33, v39 clamp
	v_sub_i16 v34, v34, v35 clamp
	v_perm_b32 v33, v34, v33, s20
	v_and_b32_sdwa v34, v30, s19 dst_sel:DWORD dst_unused:UNUSED_PAD src0_sel:WORD_1 src1_sel:DWORD
	v_lshlrev_b16_sdwa v30, v19, v30 dst_sel:DWORD dst_unused:UNUSED_PAD src0_sel:DWORD src1_sel:WORD_1
	v_sub_i16 v34, v34, v41 clamp
	v_sub_i16 v30, v30, v31 clamp
	v_perm_b32 v30, v30, v34, s20
	v_lshl_or_b32 v30, v30, 16, v33
	v_dot4_i32_i8 v29, v32, v5, v29
	v_dot4_i32_i8 v31, v30, v26, v29
	v_add_co_u32_e32 v29, vcc, v27, v20
	v_addc_co_u32_e32 v30, vcc, 0, v28, vcc
	global_load_ubyte v29, v[29:30], off offset:106
	s_nop 0
	global_load_ushort v27, v[27:28], off
	s_waitcnt vmcnt(1)
	v_lshrrev_b32_e32 v29, v22, v29
	v_lshlrev_b32_e32 v29, 1, v29
	v_and_or_b32 v29, v29, 30, 1
	v_mul_lo_u32 v29, v31, v29
	s_waitcnt vmcnt(0)
	v_cvt_f32_f16_e32 v27, v27
	v_cvt_f32_i32_e32 v28, v29
	v_mul_f32_e32 v27, v27, v6
	v_fmac_f32_e32 v16, v27, v28
	v_add_u32_e32 v27, v25, v15
	v_mad_i64_i32 v[13:14], s[12:13], v27, s3, v[13:14]
	v_add_u32_e32 v15, 8, v15
	v_add_co_u32_e32 v27, vcc, v13, v23
	v_addc_co_u32_e32 v28, vcc, 0, v14, vcc
	v_add_co_u32_e32 v29, vcc, v13, v18
	v_addc_co_u32_e32 v30, vcc, 0, v14, vcc
	global_load_dwordx2 v[27:28], v[27:28], off offset:2
	s_nop 0
	global_load_ubyte v31, v[29:30], off offset:66
	v_add_co_u32_e32 v29, vcc, v13, v21
	v_addc_co_u32_e32 v30, vcc, 0, v14, vcc
	global_load_dword v29, v[29:30], off offset:74
	s_waitcnt vmcnt(2)
	v_and_b32_e32 v32, 0xff, v27
	s_waitcnt vmcnt(1)
	v_lshlrev_b32_e32 v33, 8, v31
	v_and_or_b32 v32, v33, s10, v32
	v_lshlrev_b32_e32 v32, 2, v32
	global_load_dword v32, v32, s[0:1]
	v_bfe_u32 v33, v27, 8, 8
	v_lshlrev_b32_e32 v34, 7, v31
	v_and_or_b32 v33, v34, s10, v33
	v_lshlrev_b32_e32 v33, 2, v33
	global_load_dword v33, v33, s[0:1]
	s_waitcnt vmcnt(2)
	v_and_b32_e32 v34, 0xff, v29
	v_lshlrev_b32_e32 v35, 21, v29
	v_lshl_or_b32 v35, v34, 7, v35
	v_and_b32_e32 v36, 0x1800180, v35
	v_bfe_u32 v35, v35, 24, 1
	v_cmp_ne_u16_e32 vcc, 0, v35
	v_cmp_ne_u16_sdwa s[12:13], v36, v10 src0_sel:BYTE_1 src1_sel:DWORD
	v_lshrrev_b16_e32 v35, 7, v36
	v_lshrrev_b32_e32 v36, 2, v29
	v_cndmask_b32_e64 v37, 0, -1, s[12:13]
	v_cndmask_b32_e64 v39, 0, -1, vcc
	v_bfe_i32 v35, v35, 0, 1
	v_lshlrev_b16_e32 v37, 8, v37
	v_lshlrev_b16_e32 v39, 8, v39
	v_bfe_i32 v36, v36, 0, 1
	v_or_b32_sdwa v38, v35, v37 dst_sel:DWORD dst_unused:UNUSED_PAD src0_sel:BYTE_0 src1_sel:DWORD
	v_or_b32_sdwa v40, v36, v39 dst_sel:WORD_1 dst_unused:UNUSED_PAD src0_sel:BYTE_0 src1_sel:DWORD
	v_or_b32_sdwa v38, v38, v40 dst_sel:DWORD dst_unused:UNUSED_PAD src0_sel:WORD_0 src1_sel:DWORD
	v_lshlrev_b32_e32 v40, 17, v29
	v_lshl_or_b32 v34, v34, 3, v40
	v_and_b32_e32 v40, 0x1800180, v34
	v_bfe_u32 v34, v34, 24, 1
	v_cmp_ne_u16_e32 vcc, 0, v34
	v_cmp_ne_u16_sdwa s[12:13], v40, v10 src0_sel:BYTE_1 src1_sel:DWORD
	v_lshrrev_b16_e32 v34, 7, v40
	v_lshrrev_b32_e32 v40, 6, v29
	v_cndmask_b32_e64 v41, 0, -1, s[12:13]
	v_cndmask_b32_e64 v43, 0, -1, vcc
	v_lshlrev_b16_e32 v35, 8, v35
	v_bfe_i32 v34, v34, 0, 1
	v_lshlrev_b16_e32 v41, 8, v41
	v_lshlrev_b16_e32 v43, 8, v43
	v_bfe_i32 v40, v40, 0, 1
	v_or_b32_sdwa v42, v34, v41 dst_sel:DWORD dst_unused:UNUSED_PAD src0_sel:BYTE_0 src1_sel:DWORD
	v_or_b32_sdwa v44, v40, v43 dst_sel:WORD_1 dst_unused:UNUSED_PAD src0_sel:BYTE_0 src1_sel:DWORD
	v_lshlrev_b16_e32 v36, 8, v36
	v_or_b32_sdwa v42, v42, v44 dst_sel:DWORD dst_unused:UNUSED_PAD src0_sel:WORD_0 src1_sel:DWORD
	v_lshlrev_b16_e32 v34, 8, v34
	v_lshrrev_b32_e32 v30, 16, v29
	s_waitcnt vmcnt(1)
	v_xor_b32_e32 v32, v32, v38
	v_and_b32_e32 v38, 0xffffff00, v32
	v_sub_i16 v37, v38, v37 clamp
	v_lshlrev_b16_e32 v38, 8, v32
	v_sub_i16 v35, v38, v35 clamp
	v_perm_b32 v35, v35, v37, s20
	v_and_b32_sdwa v37, v32, s19 dst_sel:DWORD dst_unused:UNUSED_PAD src0_sel:WORD_1 src1_sel:DWORD
	v_lshlrev_b16_sdwa v32, v19, v32 dst_sel:DWORD dst_unused:UNUSED_PAD src0_sel:DWORD src1_sel:WORD_1
	v_sub_i16 v37, v37, v39 clamp
	v_sub_i16 v32, v32, v36 clamp
	v_perm_b32 v32, v32, v37, s20
	s_waitcnt vmcnt(0)
	v_xor_b32_e32 v33, v33, v42
	v_lshl_or_b32 v32, v32, 16, v35
	v_and_b32_e32 v35, 0xffffff00, v33
	v_lshlrev_b16_e32 v36, 8, v33
	v_sub_i16 v35, v35, v41 clamp
	v_sub_i16 v34, v36, v34 clamp
	v_perm_b32 v34, v34, v35, s20
	v_and_b32_sdwa v35, v33, s19 dst_sel:DWORD dst_unused:UNUSED_PAD src0_sel:WORD_1 src1_sel:DWORD
	v_lshlrev_b16_sdwa v33, v19, v33 dst_sel:DWORD dst_unused:UNUSED_PAD src0_sel:DWORD src1_sel:WORD_1
	v_lshlrev_b16_e32 v36, 8, v40
	v_sub_i16 v35, v35, v43 clamp
	v_sub_i16 v33, v33, v36 clamp
	v_perm_b32 v33, v33, v35, s20
	v_lshl_or_b32 v33, v33, 16, v34
	v_dot4_i32_i8 v7, v32, v7, 0
	v_dot4_i32_i8 v7, v33, v8, v7
	v_bfe_u32 v8, v27, 16, 8
	v_lshlrev_b32_e32 v32, 6, v31
	v_and_or_b32 v8, v32, s10, v8
	v_lshlrev_b32_e32 v8, 2, v8
	global_load_dword v8, v8, s[0:1]
	v_lshrrev_b32_e32 v27, 24, v27
	v_lshlrev_b32_e32 v32, 5, v31
	v_and_or_b32 v27, v32, s10, v27
	v_lshlrev_b32_e32 v27, 2, v27
	global_load_dword v27, v27, s[0:1]
	v_lshrrev_b32_e32 v32, 1, v29
	v_and_b32_e32 v32, 0x180, v32
	v_lshrrev_b32_e32 v33, 11, v29
	v_cmp_ne_u16_sdwa s[12:13], v32, v10 src0_sel:BYTE_1 src1_sel:DWORD
	v_lshrrev_b32_e32 v34, 10, v29
	v_lshrrev_b16_e32 v32, 7, v32
	v_cndmask_b32_e64 v35, 0, -1, s[12:13]
	v_bfe_i32 v33, v33, 0, 1
	v_bfe_i32 v32, v32, 0, 1
	v_lshlrev_b16_e32 v35, 8, v35
	v_lshlrev_b16_e32 v33, 8, v33
	v_bfe_i32 v34, v34, 0, 1
	v_or_b32_sdwa v36, v32, v35 dst_sel:DWORD dst_unused:UNUSED_PAD src0_sel:BYTE_0 src1_sel:DWORD
	v_or_b32_sdwa v37, v34, v33 dst_sel:WORD_1 dst_unused:UNUSED_PAD src0_sel:BYTE_0 src1_sel:DWORD
	v_or_b32_sdwa v36, v36, v37 dst_sel:DWORD dst_unused:UNUSED_PAD src0_sel:WORD_0 src1_sel:DWORD
	v_lshrrev_b32_e32 v37, 5, v29
	v_and_b32_e32 v37, 0x180, v37
	v_lshrrev_b32_e32 v38, 15, v29
	v_cmp_ne_u16_sdwa s[12:13], v37, v10 src0_sel:BYTE_1 src1_sel:DWORD
	v_lshrrev_b32_e32 v39, 14, v29
	v_lshrrev_b16_e32 v37, 7, v37
	v_cndmask_b32_e64 v40, 0, -1, s[12:13]
	v_bfe_i32 v38, v38, 0, 1
	v_lshlrev_b16_e32 v32, 8, v32
	v_bfe_i32 v37, v37, 0, 1
	v_lshlrev_b16_e32 v40, 8, v40
	v_lshlrev_b16_e32 v38, 8, v38
	v_bfe_i32 v39, v39, 0, 1
	v_or_b32_sdwa v41, v37, v40 dst_sel:DWORD dst_unused:UNUSED_PAD src0_sel:BYTE_0 src1_sel:DWORD
	v_or_b32_sdwa v42, v39, v38 dst_sel:WORD_1 dst_unused:UNUSED_PAD src0_sel:BYTE_0 src1_sel:DWORD
	v_lshlrev_b16_e32 v34, 8, v34
	v_or_b32_sdwa v41, v41, v42 dst_sel:DWORD dst_unused:UNUSED_PAD src0_sel:WORD_0 src1_sel:DWORD
	s_waitcnt vmcnt(1)
	v_xor_b32_e32 v8, v8, v36
	v_and_b32_e32 v36, 0xffffff00, v8
	v_sub_i16 v35, v36, v35 clamp
	v_lshlrev_b16_e32 v36, 8, v8
	v_sub_i16 v32, v36, v32 clamp
	v_perm_b32 v32, v32, v35, s20
	v_and_b32_sdwa v35, v8, s19 dst_sel:DWORD dst_unused:UNUSED_PAD src0_sel:WORD_1 src1_sel:DWORD
	v_lshlrev_b16_sdwa v8, v19, v8 dst_sel:DWORD dst_unused:UNUSED_PAD src0_sel:DWORD src1_sel:WORD_1
	v_sub_i16 v33, v35, v33 clamp
	v_sub_i16 v8, v8, v34 clamp
	v_perm_b32 v8, v8, v33, s20
	s_waitcnt vmcnt(0)
	v_xor_b32_e32 v27, v27, v41
	v_lshl_or_b32 v8, v8, 16, v32
	v_and_b32_e32 v32, 0xffffff00, v27
	v_lshlrev_b16_e32 v33, 8, v27
	v_lshlrev_b16_e32 v34, 8, v37
	v_sub_i16 v32, v32, v40 clamp
	v_sub_i16 v33, v33, v34 clamp
	v_perm_b32 v32, v33, v32, s20
	v_and_b32_sdwa v33, v27, s19 dst_sel:DWORD dst_unused:UNUSED_PAD src0_sel:WORD_1 src1_sel:DWORD
	v_lshlrev_b16_sdwa v27, v19, v27 dst_sel:DWORD dst_unused:UNUSED_PAD src0_sel:DWORD src1_sel:WORD_1
	v_lshlrev_b16_e32 v34, 8, v39
	v_sub_i16 v33, v33, v38 clamp
	v_sub_i16 v27, v27, v34 clamp
	v_perm_b32 v27, v27, v33, s20
	v_lshl_or_b32 v27, v27, 16, v32
	v_dot4_i32_i8 v7, v8, v9, v7
	v_dot4_i32_i8 v2, v27, v2, v7
	v_and_b32_e32 v7, 0xff, v28
	v_lshlrev_b32_e32 v8, 4, v31
	v_and_or_b32 v7, v8, s10, v7
	v_lshlrev_b32_e32 v7, 2, v7
	global_load_dword v7, v7, s[0:1]
	v_bfe_u32 v8, v28, 8, 8
	v_lshlrev_b32_e32 v9, 3, v31
	v_and_or_b32 v8, v9, s10, v8
	v_lshlrev_b32_e32 v8, 2, v8
	global_load_dword v8, v8, s[0:1]
	v_lshrrev_b32_e32 v9, 9, v29
	v_lshl_or_b32 v9, v30, 21, v9
	v_and_b32_e32 v27, 0x1800180, v9
	v_bfe_u32 v9, v9, 24, 1
	v_cmp_ne_u16_e32 vcc, 0, v9
	v_cmp_ne_u16_sdwa s[12:13], v27, v10 src0_sel:BYTE_1 src1_sel:DWORD
	v_lshrrev_b16_e32 v9, 7, v27
	v_lshrrev_b32_e32 v27, 18, v29
	v_cndmask_b32_e64 v32, 0, -1, s[12:13]
	v_cndmask_b32_e64 v34, 0, -1, vcc
	v_bfe_i32 v9, v9, 0, 1
	v_lshlrev_b16_e32 v32, 8, v32
	v_lshlrev_b16_e32 v34, 8, v34
	v_bfe_i32 v27, v27, 0, 1
	v_or_b32_sdwa v33, v9, v32 dst_sel:DWORD dst_unused:UNUSED_PAD src0_sel:BYTE_0 src1_sel:DWORD
	v_or_b32_sdwa v35, v27, v34 dst_sel:WORD_1 dst_unused:UNUSED_PAD src0_sel:BYTE_0 src1_sel:DWORD
	v_or_b32_sdwa v33, v33, v35 dst_sel:DWORD dst_unused:UNUSED_PAD src0_sel:WORD_0 src1_sel:DWORD
	v_lshrrev_b32_e32 v35, 13, v29
	v_lshl_or_b32 v30, v30, 17, v35
	v_and_b32_e32 v35, 0x1800180, v30
	v_bfe_u32 v30, v30, 24, 1
	v_cmp_ne_u16_e32 vcc, 0, v30
	v_cmp_ne_u16_sdwa s[12:13], v35, v10 src0_sel:BYTE_1 src1_sel:DWORD
	v_lshrrev_b16_e32 v30, 7, v35
	v_lshrrev_b32_e32 v35, 22, v29
	v_cndmask_b32_e64 v36, 0, -1, s[12:13]
	v_cndmask_b32_e64 v38, 0, -1, vcc
	v_lshlrev_b16_e32 v9, 8, v9
	v_bfe_i32 v30, v30, 0, 1
	v_lshlrev_b16_e32 v36, 8, v36
	v_lshlrev_b16_e32 v38, 8, v38
	v_bfe_i32 v35, v35, 0, 1
	v_or_b32_sdwa v37, v30, v36 dst_sel:DWORD dst_unused:UNUSED_PAD src0_sel:BYTE_0 src1_sel:DWORD
	v_or_b32_sdwa v39, v35, v38 dst_sel:WORD_1 dst_unused:UNUSED_PAD src0_sel:BYTE_0 src1_sel:DWORD
	v_lshlrev_b16_e32 v27, 8, v27
	v_or_b32_sdwa v37, v37, v39 dst_sel:DWORD dst_unused:UNUSED_PAD src0_sel:WORD_0 src1_sel:DWORD
	v_lshlrev_b16_e32 v30, 8, v30
	s_waitcnt vmcnt(1)
	v_xor_b32_e32 v7, v7, v33
	v_and_b32_e32 v33, 0xffffff00, v7
	v_sub_i16 v32, v33, v32 clamp
	v_lshlrev_b16_e32 v33, 8, v7
	v_sub_i16 v9, v33, v9 clamp
	v_perm_b32 v9, v9, v32, s20
	v_and_b32_sdwa v32, v7, s19 dst_sel:DWORD dst_unused:UNUSED_PAD src0_sel:WORD_1 src1_sel:DWORD
	v_lshlrev_b16_sdwa v7, v19, v7 dst_sel:DWORD dst_unused:UNUSED_PAD src0_sel:DWORD src1_sel:WORD_1
	v_sub_i16 v32, v32, v34 clamp
	v_sub_i16 v7, v7, v27 clamp
	v_perm_b32 v7, v7, v32, s20
	s_waitcnt vmcnt(0)
	v_xor_b32_e32 v8, v8, v37
	v_lshl_or_b32 v7, v7, 16, v9
	v_and_b32_e32 v9, 0xffffff00, v8
	v_lshlrev_b16_e32 v27, 8, v8
	v_sub_i16 v9, v9, v36 clamp
	v_sub_i16 v27, v27, v30 clamp
	v_perm_b32 v9, v27, v9, s20
	v_and_b32_sdwa v27, v8, s19 dst_sel:DWORD dst_unused:UNUSED_PAD src0_sel:WORD_1 src1_sel:DWORD
	v_lshlrev_b16_sdwa v8, v19, v8 dst_sel:DWORD dst_unused:UNUSED_PAD src0_sel:DWORD src1_sel:WORD_1
	v_lshlrev_b16_e32 v30, 8, v35
	v_sub_i16 v27, v27, v38 clamp
	v_sub_i16 v8, v8, v30 clamp
	v_perm_b32 v8, v8, v27, s20
	v_lshl_or_b32 v8, v8, 16, v9
	v_dot4_i32_i8 v2, v7, v3, v2
	v_dot4_i32_i8 v2, v8, v4, v2
	v_bfe_u32 v3, v28, 16, 8
	v_lshlrev_b32_e32 v4, 2, v31
	v_and_or_b32 v3, v4, s10, v3
	v_lshlrev_b32_e32 v3, 2, v3
	global_load_dword v3, v3, s[0:1]
	v_lshrrev_b32_e32 v4, 24, v28
	v_lshlrev_b32_e32 v7, 1, v31
	v_and_or_b32 v4, v7, s10, v4
	v_lshlrev_b32_e32 v4, 2, v4
	global_load_dword v4, v4, s[0:1]
	v_lshrrev_b32_e32 v7, 17, v29
	v_lshrrev_b32_e32 v8, 24, v29
	v_lshl_or_b32 v7, v8, 21, v7
	v_and_b32_e32 v8, 0x1800180, v7
	v_bfe_u32 v7, v7, 24, 1
	v_cmp_ne_u16_e32 vcc, 0, v7
	v_cmp_ne_u16_sdwa s[0:1], v8, v10 src0_sel:BYTE_1 src1_sel:DWORD
	v_lshrrev_b16_e32 v7, 7, v8
	v_lshrrev_b32_e32 v8, 26, v29
	v_cndmask_b32_e64 v9, 0, -1, s[0:1]
	v_cndmask_b32_e64 v28, 0, -1, vcc
	v_bfe_i32 v7, v7, 0, 1
	v_lshlrev_b16_e32 v9, 8, v9
	v_lshlrev_b16_e32 v28, 8, v28
	v_bfe_i32 v8, v8, 0, 1
	v_or_b32_sdwa v27, v7, v9 dst_sel:DWORD dst_unused:UNUSED_PAD src0_sel:BYTE_0 src1_sel:DWORD
	v_or_b32_sdwa v30, v8, v28 dst_sel:WORD_1 dst_unused:UNUSED_PAD src0_sel:BYTE_0 src1_sel:DWORD
	v_or_b32_sdwa v27, v27, v30 dst_sel:DWORD dst_unused:UNUSED_PAD src0_sel:WORD_0 src1_sel:DWORD
	v_lshrrev_b32_e32 v30, 21, v29
	v_lshrrev_b32_e32 v32, 31, v29
	v_lshrrev_b16_e32 v31, 8, v30
	v_cmp_ne_u16_e32 vcc, 0, v32
	v_lshrrev_b32_e32 v29, 30, v29
	v_lshrrev_b16_e32 v30, 7, v30
	v_bfe_i32 v31, v31, 0, 1
	v_cndmask_b32_e64 v33, 0, -1, vcc
	v_lshlrev_b16_e32 v7, 8, v7
	v_lshlrev_b16_e32 v31, 8, v31
	v_bfe_i32 v30, v30, 0, 1
	v_bfe_i32 v29, v29, 0, 1
	v_lshlrev_b16_e32 v33, 8, v33
	v_or_b32_sdwa v32, v30, v31 dst_sel:DWORD dst_unused:UNUSED_PAD src0_sel:BYTE_0 src1_sel:DWORD
	v_or_b32_sdwa v34, v29, v33 dst_sel:WORD_1 dst_unused:UNUSED_PAD src0_sel:BYTE_0 src1_sel:DWORD
	v_lshlrev_b16_e32 v8, 8, v8
	v_or_b32_sdwa v32, v32, v34 dst_sel:DWORD dst_unused:UNUSED_PAD src0_sel:WORD_0 src1_sel:DWORD
	s_waitcnt vmcnt(1)
	v_xor_b32_e32 v3, v3, v27
	v_and_b32_e32 v27, 0xffffff00, v3
	v_sub_i16 v9, v27, v9 clamp
	v_lshlrev_b16_e32 v27, 8, v3
	v_sub_i16 v7, v27, v7 clamp
	v_perm_b32 v7, v7, v9, s20
	v_and_b32_sdwa v9, v3, s19 dst_sel:DWORD dst_unused:UNUSED_PAD src0_sel:WORD_1 src1_sel:DWORD
	v_lshlrev_b16_sdwa v3, v19, v3 dst_sel:DWORD dst_unused:UNUSED_PAD src0_sel:DWORD src1_sel:WORD_1
	v_sub_i16 v9, v9, v28 clamp
	v_sub_i16 v3, v3, v8 clamp
	v_perm_b32 v3, v3, v9, s20
	s_waitcnt vmcnt(0)
	v_xor_b32_e32 v4, v4, v32
	v_lshl_or_b32 v3, v3, 16, v7
	v_and_b32_e32 v7, 0xffffff00, v4
	v_lshlrev_b16_e32 v8, 8, v4
	v_lshlrev_b16_e32 v9, 8, v30
	v_sub_i16 v7, v7, v31 clamp
	v_sub_i16 v8, v8, v9 clamp
	v_perm_b32 v7, v8, v7, s20
	v_and_b32_sdwa v8, v4, s19 dst_sel:DWORD dst_unused:UNUSED_PAD src0_sel:WORD_1 src1_sel:DWORD
	v_lshlrev_b16_sdwa v4, v19, v4 dst_sel:DWORD dst_unused:UNUSED_PAD src0_sel:DWORD src1_sel:WORD_1
	v_lshlrev_b16_e32 v9, 8, v29
	v_sub_i16 v8, v8, v33 clamp
	v_sub_i16 v4, v4, v9 clamp
	v_perm_b32 v4, v4, v8, s20
	v_lshl_or_b32 v4, v4, 16, v7
	v_dot4_i32_i8 v2, v3, v5, v2
	v_add_co_u32_e32 v3, vcc, v13, v20
	v_dot4_i32_i8 v2, v4, v26, v2
	v_addc_co_u32_e32 v4, vcc, 0, v14, vcc
	global_load_ubyte v3, v[3:4], off offset:106
	v_add_co_u32_e32 v11, vcc, 0x900, v11
	v_addc_co_u32_e32 v12, vcc, 0, v12, vcc
	v_cmp_le_u32_e32 vcc, s15, v15
	s_or_b64 s[4:5], vcc, s[4:5]
	s_waitcnt vmcnt(0)
	v_lshrrev_b32_e32 v3, v22, v3
	v_lshlrev_b32_e32 v3, 1, v3
	v_and_or_b32 v3, v3, 30, 1
	v_mul_lo_u32 v2, v2, v3
	global_load_ushort v3, v[13:14], off
	v_cvt_f32_i32_e32 v2, v2
	s_waitcnt vmcnt(0)
	v_cvt_f32_f16_e32 v3, v3
	v_mul_f32_e32 v3, v3, v6
	v_fmac_f32_e32 v17, v3, v2
	s_andn2_b64 exec, exec, s[4:5]
	s_cbranch_execnz .LBB252_3
; %bb.4:
	s_or_b64 exec, exec, s[4:5]
.LBB252_5:
	s_or_b64 exec, exec, s[24:25]
	v_mbcnt_lo_u32_b32 v2, -1, 0
	v_mbcnt_hi_u32_b32 v2, -1, v2
	v_and_b32_e32 v3, 64, v2
	v_add_u32_e32 v3, 64, v3
	v_xor_b32_e32 v4, 32, v2
	v_cmp_lt_i32_e32 vcc, v4, v3
	v_cndmask_b32_e32 v4, v2, v4, vcc
	v_lshlrev_b32_e32 v4, 2, v4
	ds_bpermute_b32 v7, v4, v16
	ds_bpermute_b32 v4, v4, v17
	v_xor_b32_e32 v5, 16, v2
	v_cmp_lt_i32_e32 vcc, v5, v3
	v_cndmask_b32_e32 v5, v2, v5, vcc
	v_lshlrev_b32_e32 v5, 2, v5
	s_waitcnt lgkmcnt(1)
	v_add_f32_e32 v7, v16, v7
	s_waitcnt lgkmcnt(0)
	v_add_f32_e32 v4, v17, v4
	ds_bpermute_b32 v9, v5, v7
	ds_bpermute_b32 v5, v5, v4
	v_xor_b32_e32 v6, 8, v2
	v_cmp_lt_i32_e32 vcc, v6, v3
	v_cndmask_b32_e32 v6, v2, v6, vcc
	v_lshlrev_b32_e32 v6, 2, v6
	s_waitcnt lgkmcnt(1)
	v_add_f32_e32 v7, v7, v9
	s_waitcnt lgkmcnt(0)
	v_add_f32_e32 v4, v4, v5
	ds_bpermute_b32 v9, v6, v7
	ds_bpermute_b32 v5, v6, v4
	v_xor_b32_e32 v8, 4, v2
	v_cmp_lt_i32_e32 vcc, v8, v3
	v_cndmask_b32_e32 v8, v2, v8, vcc
	v_lshlrev_b32_e32 v8, 2, v8
	s_waitcnt lgkmcnt(1)
	v_add_f32_e32 v7, v7, v9
	s_waitcnt lgkmcnt(0)
	v_add_f32_e32 v4, v4, v5
	ds_bpermute_b32 v9, v8, v7
	ds_bpermute_b32 v5, v8, v4
	v_xor_b32_e32 v10, 2, v2
	v_cmp_lt_i32_e32 vcc, v10, v3
	v_cndmask_b32_e32 v6, v2, v10, vcc
	v_lshlrev_b32_e32 v6, 2, v6
	s_waitcnt lgkmcnt(1)
	v_add_f32_e32 v7, v7, v9
	s_waitcnt lgkmcnt(0)
	v_add_f32_e32 v4, v4, v5
	ds_bpermute_b32 v9, v6, v7
	ds_bpermute_b32 v5, v6, v4
	v_xor_b32_e32 v8, 1, v2
	v_cmp_lt_i32_e32 vcc, v8, v3
	v_cndmask_b32_e32 v2, v2, v8, vcc
	v_lshlrev_b32_e32 v6, 2, v2
	s_waitcnt lgkmcnt(1)
	v_add_f32_e32 v2, v7, v9
	s_waitcnt lgkmcnt(0)
	v_add_f32_e32 v4, v4, v5
	ds_bpermute_b32 v3, v6, v2
	ds_bpermute_b32 v5, v6, v4
	v_add_u32_e32 v6, s6, v0
	v_cmp_gt_u32_e32 vcc, 2, v0
	v_cmp_gt_u32_e64 s[0:1], s8, v6
	s_and_b64 s[0:1], vcc, s[0:1]
	s_and_b64 exec, exec, s[0:1]
	s_cbranch_execz .LBB252_7
; %bb.6:
	v_mul_lo_u32 v1, s11, v1
	v_cmp_eq_u32_e32 vcc, 1, v0
	s_mul_i32 s0, s14, s7
	v_or_b32_e32 v0, s6, v0
	v_add3_u32 v0, v0, v1, s0
	v_mov_b32_e32 v1, 0
	v_lshlrev_b64 v[0:1], 2, v[0:1]
	s_waitcnt lgkmcnt(1)
	v_add_f32_e32 v2, v2, v3
	s_waitcnt lgkmcnt(0)
	v_add_f32_e32 v3, v4, v5
	v_cndmask_b32_e32 v2, v2, v3, vcc
	v_mov_b32_e32 v3, s23
	v_add_co_u32_e32 v0, vcc, s22, v0
	v_addc_co_u32_e32 v1, vcc, v3, v1, vcc
	global_store_dword v[0:1], v2, off
.LBB252_7:
	s_endpgm
	.section	.rodata,"a",@progbits
	.p2align	6, 0x0
	.amdhsa_kernel _ZL17mul_mat_vec_q_moeIL9ggml_type21ELi2EEvPKvS2_PKiPfj15HIP_vector_typeIjLj3EEjjjjjjjjj
		.amdhsa_group_segment_fixed_size 0
		.amdhsa_private_segment_fixed_size 0
		.amdhsa_kernarg_size 84
		.amdhsa_user_sgpr_count 6
		.amdhsa_user_sgpr_private_segment_buffer 1
		.amdhsa_user_sgpr_dispatch_ptr 0
		.amdhsa_user_sgpr_queue_ptr 0
		.amdhsa_user_sgpr_kernarg_segment_ptr 1
		.amdhsa_user_sgpr_dispatch_id 0
		.amdhsa_user_sgpr_flat_scratch_init 0
		.amdhsa_user_sgpr_private_segment_size 0
		.amdhsa_uses_dynamic_stack 0
		.amdhsa_system_sgpr_private_segment_wavefront_offset 0
		.amdhsa_system_sgpr_workgroup_id_x 1
		.amdhsa_system_sgpr_workgroup_id_y 1
		.amdhsa_system_sgpr_workgroup_id_z 0
		.amdhsa_system_sgpr_workgroup_info 0
		.amdhsa_system_vgpr_workitem_id 1
		.amdhsa_next_free_vgpr 47
		.amdhsa_next_free_sgpr 29
		.amdhsa_reserve_vcc 1
		.amdhsa_reserve_flat_scratch 0
		.amdhsa_float_round_mode_32 0
		.amdhsa_float_round_mode_16_64 0
		.amdhsa_float_denorm_mode_32 3
		.amdhsa_float_denorm_mode_16_64 3
		.amdhsa_dx10_clamp 1
		.amdhsa_ieee_mode 1
		.amdhsa_fp16_overflow 0
		.amdhsa_exception_fp_ieee_invalid_op 0
		.amdhsa_exception_fp_denorm_src 0
		.amdhsa_exception_fp_ieee_div_zero 0
		.amdhsa_exception_fp_ieee_overflow 0
		.amdhsa_exception_fp_ieee_underflow 0
		.amdhsa_exception_fp_ieee_inexact 0
		.amdhsa_exception_int_div_zero 0
	.end_amdhsa_kernel
	.section	.text._ZL17mul_mat_vec_q_moeIL9ggml_type21ELi2EEvPKvS2_PKiPfj15HIP_vector_typeIjLj3EEjjjjjjjjj,"axG",@progbits,_ZL17mul_mat_vec_q_moeIL9ggml_type21ELi2EEvPKvS2_PKiPfj15HIP_vector_typeIjLj3EEjjjjjjjjj,comdat
.Lfunc_end252:
	.size	_ZL17mul_mat_vec_q_moeIL9ggml_type21ELi2EEvPKvS2_PKiPfj15HIP_vector_typeIjLj3EEjjjjjjjjj, .Lfunc_end252-_ZL17mul_mat_vec_q_moeIL9ggml_type21ELi2EEvPKvS2_PKiPfj15HIP_vector_typeIjLj3EEjjjjjjjjj
                                        ; -- End function
	.set _ZL17mul_mat_vec_q_moeIL9ggml_type21ELi2EEvPKvS2_PKiPfj15HIP_vector_typeIjLj3EEjjjjjjjjj.num_vgpr, 47
	.set _ZL17mul_mat_vec_q_moeIL9ggml_type21ELi2EEvPKvS2_PKiPfj15HIP_vector_typeIjLj3EEjjjjjjjjj.num_agpr, 0
	.set _ZL17mul_mat_vec_q_moeIL9ggml_type21ELi2EEvPKvS2_PKiPfj15HIP_vector_typeIjLj3EEjjjjjjjjj.numbered_sgpr, 29
	.set _ZL17mul_mat_vec_q_moeIL9ggml_type21ELi2EEvPKvS2_PKiPfj15HIP_vector_typeIjLj3EEjjjjjjjjj.num_named_barrier, 0
	.set _ZL17mul_mat_vec_q_moeIL9ggml_type21ELi2EEvPKvS2_PKiPfj15HIP_vector_typeIjLj3EEjjjjjjjjj.private_seg_size, 0
	.set _ZL17mul_mat_vec_q_moeIL9ggml_type21ELi2EEvPKvS2_PKiPfj15HIP_vector_typeIjLj3EEjjjjjjjjj.uses_vcc, 1
	.set _ZL17mul_mat_vec_q_moeIL9ggml_type21ELi2EEvPKvS2_PKiPfj15HIP_vector_typeIjLj3EEjjjjjjjjj.uses_flat_scratch, 0
	.set _ZL17mul_mat_vec_q_moeIL9ggml_type21ELi2EEvPKvS2_PKiPfj15HIP_vector_typeIjLj3EEjjjjjjjjj.has_dyn_sized_stack, 0
	.set _ZL17mul_mat_vec_q_moeIL9ggml_type21ELi2EEvPKvS2_PKiPfj15HIP_vector_typeIjLj3EEjjjjjjjjj.has_recursion, 0
	.set _ZL17mul_mat_vec_q_moeIL9ggml_type21ELi2EEvPKvS2_PKiPfj15HIP_vector_typeIjLj3EEjjjjjjjjj.has_indirect_call, 0
	.section	.AMDGPU.csdata,"",@progbits
; Kernel info:
; codeLenInByte = 5076
; TotalNumSgprs: 33
; NumVgprs: 47
; ScratchSize: 0
; MemoryBound: 0
; FloatMode: 240
; IeeeMode: 1
; LDSByteSize: 0 bytes/workgroup (compile time only)
; SGPRBlocks: 4
; VGPRBlocks: 11
; NumSGPRsForWavesPerEU: 33
; NumVGPRsForWavesPerEU: 47
; Occupancy: 5
; WaveLimiterHint : 1
; COMPUTE_PGM_RSRC2:SCRATCH_EN: 0
; COMPUTE_PGM_RSRC2:USER_SGPR: 6
; COMPUTE_PGM_RSRC2:TRAP_HANDLER: 0
; COMPUTE_PGM_RSRC2:TGID_X_EN: 1
; COMPUTE_PGM_RSRC2:TGID_Y_EN: 1
; COMPUTE_PGM_RSRC2:TGID_Z_EN: 0
; COMPUTE_PGM_RSRC2:TIDIG_COMP_CNT: 1
	.section	.text._ZL13mul_mat_vec_qIL9ggml_type21ELi1ELb1ELb1EEvPKvS2_PKi31ggml_cuda_mm_fusion_args_devicePfj15HIP_vector_typeIjLj3EEjjjS8_jjjS8_jjjj,"axG",@progbits,_ZL13mul_mat_vec_qIL9ggml_type21ELi1ELb1ELb1EEvPKvS2_PKi31ggml_cuda_mm_fusion_args_devicePfj15HIP_vector_typeIjLj3EEjjjS8_jjjS8_jjjj,comdat
	.globl	_ZL13mul_mat_vec_qIL9ggml_type21ELi1ELb1ELb1EEvPKvS2_PKi31ggml_cuda_mm_fusion_args_devicePfj15HIP_vector_typeIjLj3EEjjjS8_jjjS8_jjjj ; -- Begin function _ZL13mul_mat_vec_qIL9ggml_type21ELi1ELb1ELb1EEvPKvS2_PKi31ggml_cuda_mm_fusion_args_devicePfj15HIP_vector_typeIjLj3EEjjjS8_jjjS8_jjjj
	.p2align	8
	.type	_ZL13mul_mat_vec_qIL9ggml_type21ELi1ELb1ELb1EEvPKvS2_PKi31ggml_cuda_mm_fusion_args_devicePfj15HIP_vector_typeIjLj3EEjjjS8_jjjS8_jjjj,@function
_ZL13mul_mat_vec_qIL9ggml_type21ELi1ELb1ELb1EEvPKvS2_PKi31ggml_cuda_mm_fusion_args_devicePfj15HIP_vector_typeIjLj3EEjjjS8_jjjS8_jjjj: ; @_ZL13mul_mat_vec_qIL9ggml_type21ELi1ELb1ELb1EEvPKvS2_PKi31ggml_cuda_mm_fusion_args_devicePfj15HIP_vector_typeIjLj3EEjjjS8_jjjS8_jjjj
; %bb.0:
	s_load_dwordx8 s[36:43], s[4:5], 0x0
	s_load_dwordx4 s[52:55], s[4:5], 0x20
	s_load_dwordx4 s[12:15], s[4:5], 0x40
	;; [unrolled: 1-line block ×3, first 2 shown]
	s_mov_b32 s56, s7
	s_waitcnt lgkmcnt(0)
	s_cmp_lg_u64 s[40:41], 0
	s_cselect_b64 s[0:1], -1, 0
	s_cmp_eq_u64 s[40:41], 0
	s_mov_b64 s[2:3], 0
	s_cbranch_scc1 .LBB253_5
; %bb.1:
	s_mov_b32 s57, 0
	s_lshl_b64 s[10:11], s[56:57], 2
	s_add_u32 s10, s40, s10
	s_addc_u32 s11, s41, s11
	s_load_dword s17, s[10:11], 0x0
	s_load_dword s16, s[4:5], 0x50
	;; [unrolled: 1-line block ×3, first 2 shown]
	s_andn2_b64 vcc, exec, s[2:3]
	s_cbranch_vccnz .LBB253_3
.LBB253_2:
	s_load_dwordx2 s[2:3], s[4:5], 0x5c
	s_waitcnt lgkmcnt(0)
	s_mul_hi_u32 s2, s2, s56
	s_add_i32 s2, s56, s2
	s_lshr_b32 s17, s2, s3
.LBB253_3:
	s_andn2_b64 vcc, exec, s[0:1]
	s_cbranch_vccnz .LBB253_6
; %bb.4:
	s_mul_hi_u32 s0, s13, s56
	s_add_i32 s0, s56, s0
	s_lshr_b32 s0, s0, s14
	s_mul_i32 s0, s0, s15
	s_sub_i32 s13, s56, s0
	s_waitcnt lgkmcnt(0)
	s_mov_b32 s19, s17
	s_branch .LBB253_7
.LBB253_5:
                                        ; implicit-def: $sgpr17
	s_load_dword s16, s[4:5], 0x50
	s_load_dword s18, s[4:5], 0x78
	s_branch .LBB253_2
.LBB253_6:
	s_mov_b32 s19, s56
	s_mov_b32 s13, s56
.LBB253_7:
	s_load_dword s9, s[4:5], 0x58
	s_load_dwordx4 s[48:51], s[4:5], 0x80
	s_lshl_b32 s40, s6, 1
	s_cmp_eq_u64 s[42:43], 0
	s_cselect_b64 s[0:1], -1, 0
	v_mov_b32_e32 v22, 0
	s_and_b64 vcc, exec, s[0:1]
	v_cmp_gt_u32_e64 s[2:3], 2, v0
	v_cmp_eq_u32_e64 s[6:7], 0, v1
	v_add_u32_e32 v21, s40, v0
	v_mov_b32_e32 v23, 0
	s_cbranch_vccnz .LBB253_11
; %bb.8:
	s_waitcnt lgkmcnt(0)
	v_cmp_gt_u32_e32 vcc, s9, v21
	s_and_b64 s[2:3], s[2:3], vcc
	s_mov_b32 s11, 0
	s_and_b64 s[6:7], s[2:3], s[6:7]
	v_mov_b32_e32 v23, 0
	s_and_saveexec_b64 s[2:3], s[6:7]
	s_cbranch_execz .LBB253_10
; %bb.9:
	s_mul_i32 s10, s50, s8
	s_lshl_b64 s[6:7], s[10:11], 2
	s_add_u32 s14, s42, s6
	s_mul_i32 s10, s19, s46
	s_addc_u32 s15, s43, s7
	s_lshl_b64 s[6:7], s[10:11], 2
	s_add_u32 s10, s14, s6
	s_addc_u32 s11, s15, s7
	s_ashr_i32 s41, s40, 31
	s_lshl_b64 s[6:7], s[40:41], 2
	s_add_u32 s6, s10, s6
	s_addc_u32 s7, s11, s7
	v_lshlrev_b32_e32 v2, 2, v0
	global_load_dword v23, v2, s[6:7]
.LBB253_10:
	s_or_b64 exec, exec, s[2:3]
.LBB253_11:
	s_cmp_lg_u64 s[52:53], 0
	s_cselect_b64 s[42:43], -1, 0
	s_cmp_eq_u64 s[52:53], 0
	s_cselect_b64 s[58:59], -1, 0
	s_cmp_lg_u64 s[54:55], 0
	s_cselect_b64 s[2:3], -1, 0
	s_and_b64 s[6:7], s[2:3], s[42:43]
	s_andn2_b64 vcc, exec, s[6:7]
	s_waitcnt lgkmcnt(0)
	v_cmp_gt_u32_e64 s[6:7], s9, v21
	s_cbranch_vccnz .LBB253_15
; %bb.12:
	v_cmp_gt_u32_e32 vcc, 2, v0
	v_cmp_eq_u32_e64 s[10:11], 0, v1
	s_and_b64 s[6:7], vcc, s[6:7]
	s_mov_b32 s15, 0
	s_and_b64 s[10:11], s[6:7], s[10:11]
	v_mov_b32_e32 v22, 0
	s_and_saveexec_b64 s[6:7], s[10:11]
	s_cbranch_execz .LBB253_14
; %bb.13:
	s_mul_i32 s14, s50, s8
	s_lshl_b64 s[10:11], s[14:15], 2
	s_add_u32 s20, s54, s10
	s_mul_i32 s14, s19, s46
	s_addc_u32 s21, s55, s11
	s_lshl_b64 s[10:11], s[14:15], 2
	s_add_u32 s14, s20, s10
	s_addc_u32 s15, s21, s11
	s_ashr_i32 s41, s40, 31
	s_lshl_b64 s[10:11], s[40:41], 2
	s_add_u32 s10, s14, s10
	s_addc_u32 s11, s15, s11
	v_lshlrev_b32_e32 v2, 2, v0
	global_load_dword v22, v2, s[10:11]
.LBB253_14:
	s_or_b64 exec, exec, s[6:7]
.LBB253_15:
	v_lshl_add_u32 v2, v1, 6, v0
	v_mov_b32_e32 v12, 0
	s_lshr_b32 s33, s12, 8
	v_lshrrev_b32_e32 v24, 3, v2
	v_mov_b32_e32 v13, v12
	v_mov_b32_e32 v10, v12
	v_cmp_gt_u32_e32 vcc, s33, v24
	v_mov_b32_e32 v14, v12
	v_mov_b32_e32 v11, v13
	s_and_saveexec_b64 s[54:55], vcc
	s_cbranch_execz .LBB253_23
; %bb.16:
	s_mul_hi_u32 s6, s47, s8
	s_add_i32 s6, s8, s6
	s_lshr_b32 s6, s6, s18
	s_mul_i32 s7, s17, s44
	s_mul_i32 s6, s6, s48
	;; [unrolled: 1-line block ×3, first 2 shown]
	v_lshlrev_b32_e32 v3, 1, v0
	s_add_i32 s47, s7, s6
	s_mul_hi_u32 s6, s11, 36
	s_mul_i32 s11, s11, 36
	v_and_b32_e32 v4, 14, v3
	v_bfe_u32 v26, v3, 2, 2
	v_lshrrev_b32_e32 v6, 3, v2
	v_mov_b32_e32 v2, s11
	v_mov_b32_e32 v3, s6
	s_movk_i32 s6, 0x120
	v_mad_u64_u32 v[2:3], s[6:7], v6, s6, v[2:3]
	s_mul_i32 s10, s49, s8
	s_mul_i32 s6, s40, s16
	s_add_i32 s41, s47, s6
	v_mad_u64_u32 v[2:3], s[6:7], s10, 36, v[2:3]
	v_and_b32_e32 v25, 7, v0
	s_add_i32 s6, s40, 1
	s_mul_i32 s16, s16, s6
	v_mad_u64_u32 v[2:3], s[6:7], v25, 36, v[2:3]
	v_mov_b32_e32 v6, s39
	v_mov_b32_e32 v13, 0
	v_add_co_u32_e32 v2, vcc, s38, v2
	v_addc_co_u32_e32 v3, vcc, v6, v3, vcc
	v_lshlrev_b32_e32 v5, 1, v4
	v_add_co_u32_e32 v15, vcc, 32, v2
	v_mov_b32_e32 v14, v13
	v_mov_b32_e32 v10, v13
	v_and_b32_e32 v27, 4, v5
	s_add_i32 s47, s47, s16
	v_addc_co_u32_e32 v16, vcc, 0, v3, vcc
	s_mov_b64 s[38:39], 0
	s_movk_i32 s51, 0x6e
	v_lshlrev_b32_e32 v28, 1, v4
	s_movk_i32 s57, 0x100
	s_movk_i32 s86, 0xff00
	s_mov_b32 s87, 0xc0c0105
	v_lshlrev_b32_e32 v29, 1, v5
	v_mov_b32_e32 v30, 8
	v_mov_b32_e32 v11, v14
	;; [unrolled: 1-line block ×4, first 2 shown]
	s_branch .LBB253_18
.LBB253_17:                             ;   in Loop: Header=BB253_18 Depth=1
	v_lshrrev_b16_e32 v63, 7, v63
	v_lshrrev_b32_e32 v64, 2, v34
	v_cndmask_b32_e64 v65, 0, -1, s[82:83]
	v_cndmask_b32_e64 v67, 0, -1, s[28:29]
	v_bfe_i32 v63, v63, 0, 1
	v_lshlrev_b16_e32 v65, 8, v65
	v_lshlrev_b16_e32 v67, 8, v67
	v_bfe_i32 v64, v64, 0, 1
	v_or_b32_sdwa v66, v63, v65 dst_sel:DWORD dst_unused:UNUSED_PAD src0_sel:BYTE_0 src1_sel:DWORD
	v_or_b32_sdwa v68, v64, v67 dst_sel:WORD_1 dst_unused:UNUSED_PAD src0_sel:BYTE_0 src1_sel:DWORD
	v_or_b32_sdwa v66, v66, v68 dst_sel:DWORD dst_unused:UNUSED_PAD src0_sel:WORD_0 src1_sel:DWORD
	v_xor_b32_e32 v42, v42, v66
	v_and_b32_e32 v66, 0xffffff00, v42
	v_lshrrev_b16_e32 v62, 7, v62
	v_lshrrev_b32_e32 v68, 6, v34
	v_cndmask_b32_e64 v69, 0, -1, s[80:81]
	v_cndmask_b32_e64 v71, 0, -1, s[26:27]
	v_sub_i16 v65, v66, v65 clamp
	v_lshlrev_b16_e32 v66, 8, v42
	v_lshlrev_b16_e32 v63, 8, v63
	v_bfe_i32 v62, v62, 0, 1
	v_lshlrev_b16_e32 v69, 8, v69
	v_lshlrev_b16_e32 v71, 8, v71
	v_bfe_i32 v68, v68, 0, 1
	v_sub_i16 v63, v66, v63 clamp
	v_or_b32_sdwa v70, v62, v69 dst_sel:DWORD dst_unused:UNUSED_PAD src0_sel:BYTE_0 src1_sel:DWORD
	v_or_b32_sdwa v72, v68, v71 dst_sel:WORD_1 dst_unused:UNUSED_PAD src0_sel:BYTE_0 src1_sel:DWORD
	v_perm_b32 v63, v63, v65, s87
	v_and_b32_sdwa v65, v42, s86 dst_sel:DWORD dst_unused:UNUSED_PAD src0_sel:WORD_1 src1_sel:DWORD
	v_lshlrev_b16_sdwa v42, v30, v42 dst_sel:DWORD dst_unused:UNUSED_PAD src0_sel:DWORD src1_sel:WORD_1
	v_lshlrev_b16_e32 v64, 8, v64
	v_or_b32_sdwa v70, v70, v72 dst_sel:DWORD dst_unused:UNUSED_PAD src0_sel:WORD_0 src1_sel:DWORD
	v_sub_i16 v65, v65, v67 clamp
	v_sub_i16 v42, v42, v64 clamp
	v_perm_b32 v42, v42, v65, s87
	v_xor_b32_e32 v41, v41, v70
	v_lshl_or_b32 v42, v42, 16, v63
	v_and_b32_e32 v63, 0xffffff00, v41
	v_lshlrev_b16_e32 v64, 8, v41
	v_lshlrev_b16_e32 v62, 8, v62
	v_sub_i16 v63, v63, v69 clamp
	v_sub_i16 v62, v64, v62 clamp
	v_perm_b32 v62, v62, v63, s87
	v_and_b32_sdwa v63, v41, s86 dst_sel:DWORD dst_unused:UNUSED_PAD src0_sel:WORD_1 src1_sel:DWORD
	v_lshlrev_b16_sdwa v41, v30, v41 dst_sel:DWORD dst_unused:UNUSED_PAD src0_sel:DWORD src1_sel:WORD_1
	v_lshlrev_b16_e32 v64, 8, v68
	v_sub_i16 v63, v63, v71 clamp
	v_sub_i16 v41, v41, v64 clamp
	v_perm_b32 v41, v41, v63, s87
	v_lshl_or_b32 v41, v41, 16, v62
	v_dot4_i32_i8 v42, v42, v7, 0
	v_dot4_i32_i8 v41, v41, v8, v42
	v_lshrrev_b32_e32 v42, 11, v34
	v_lshrrev_b32_e32 v62, 10, v34
	v_lshrrev_b16_e32 v61, 7, v61
	v_cndmask_b32_e64 v63, 0, -1, s[78:79]
	v_bfe_i32 v42, v42, 0, 1
	v_bfe_i32 v61, v61, 0, 1
	v_lshlrev_b16_e32 v63, 8, v63
	v_lshlrev_b16_e32 v42, 8, v42
	v_bfe_i32 v62, v62, 0, 1
	v_or_b32_sdwa v64, v61, v63 dst_sel:DWORD dst_unused:UNUSED_PAD src0_sel:BYTE_0 src1_sel:DWORD
	v_or_b32_sdwa v65, v62, v42 dst_sel:WORD_1 dst_unused:UNUSED_PAD src0_sel:BYTE_0 src1_sel:DWORD
	v_or_b32_sdwa v64, v64, v65 dst_sel:DWORD dst_unused:UNUSED_PAD src0_sel:WORD_0 src1_sel:DWORD
	v_xor_b32_e32 v40, v40, v64
	v_lshrrev_b32_e32 v65, 15, v34
	v_and_b32_e32 v64, 0xffffff00, v40
	v_lshrrev_b32_e32 v66, 14, v34
	v_lshrrev_b16_e32 v60, 7, v60
	v_cndmask_b32_e64 v67, 0, -1, s[76:77]
	v_bfe_i32 v65, v65, 0, 1
	v_sub_i16 v63, v64, v63 clamp
	v_lshlrev_b16_e32 v64, 8, v40
	v_lshlrev_b16_e32 v61, 8, v61
	v_bfe_i32 v60, v60, 0, 1
	v_lshlrev_b16_e32 v67, 8, v67
	v_lshlrev_b16_e32 v65, 8, v65
	v_bfe_i32 v66, v66, 0, 1
	v_sub_i16 v61, v64, v61 clamp
	v_or_b32_sdwa v68, v60, v67 dst_sel:DWORD dst_unused:UNUSED_PAD src0_sel:BYTE_0 src1_sel:DWORD
	v_or_b32_sdwa v69, v66, v65 dst_sel:WORD_1 dst_unused:UNUSED_PAD src0_sel:BYTE_0 src1_sel:DWORD
	v_perm_b32 v61, v61, v63, s87
	v_and_b32_sdwa v63, v40, s86 dst_sel:DWORD dst_unused:UNUSED_PAD src0_sel:WORD_1 src1_sel:DWORD
	v_lshlrev_b16_sdwa v40, v30, v40 dst_sel:DWORD dst_unused:UNUSED_PAD src0_sel:DWORD src1_sel:WORD_1
	v_lshlrev_b16_e32 v62, 8, v62
	v_or_b32_sdwa v68, v68, v69 dst_sel:DWORD dst_unused:UNUSED_PAD src0_sel:WORD_0 src1_sel:DWORD
	v_sub_i16 v42, v63, v42 clamp
	v_sub_i16 v40, v40, v62 clamp
	v_perm_b32 v40, v40, v42, s87
	v_xor_b32_e32 v39, v39, v68
	v_lshl_or_b32 v40, v40, 16, v61
	v_and_b32_e32 v42, 0xffffff00, v39
	v_lshlrev_b16_e32 v61, 8, v39
	v_lshlrev_b16_e32 v60, 8, v60
	v_sub_i16 v42, v42, v67 clamp
	v_sub_i16 v60, v61, v60 clamp
	v_perm_b32 v42, v60, v42, s87
	v_and_b32_sdwa v60, v39, s86 dst_sel:DWORD dst_unused:UNUSED_PAD src0_sel:WORD_1 src1_sel:DWORD
	v_lshlrev_b16_sdwa v39, v30, v39 dst_sel:DWORD dst_unused:UNUSED_PAD src0_sel:DWORD src1_sel:WORD_1
	v_lshlrev_b16_e32 v61, 8, v66
	v_sub_i16 v60, v60, v65 clamp
	v_sub_i16 v39, v39, v61 clamp
	v_perm_b32 v39, v39, v60, s87
	v_lshl_or_b32 v39, v39, 16, v42
	v_dot4_i32_i8 v40, v40, v9, v41
	v_dot4_i32_i8 v39, v39, v2, v40
	v_lshrrev_b16_e32 v40, 7, v59
	v_lshrrev_b32_e32 v41, 18, v34
	v_cndmask_b32_e64 v42, 0, -1, s[74:75]
	v_cndmask_b32_e64 v60, 0, -1, s[24:25]
	v_bfe_i32 v40, v40, 0, 1
	v_lshlrev_b16_e32 v42, 8, v42
	v_lshlrev_b16_e32 v60, 8, v60
	v_bfe_i32 v41, v41, 0, 1
	v_or_b32_sdwa v59, v40, v42 dst_sel:DWORD dst_unused:UNUSED_PAD src0_sel:BYTE_0 src1_sel:DWORD
	v_or_b32_sdwa v61, v41, v60 dst_sel:WORD_1 dst_unused:UNUSED_PAD src0_sel:BYTE_0 src1_sel:DWORD
	v_or_b32_sdwa v59, v59, v61 dst_sel:DWORD dst_unused:UNUSED_PAD src0_sel:WORD_0 src1_sel:DWORD
	v_xor_b32_e32 v38, v38, v59
	v_and_b32_e32 v59, 0xffffff00, v38
	v_lshrrev_b16_e32 v58, 7, v58
	v_lshrrev_b32_e32 v61, 22, v34
	v_cndmask_b32_e64 v62, 0, -1, s[72:73]
	v_cndmask_b32_e64 v64, 0, -1, s[22:23]
	v_sub_i16 v42, v59, v42 clamp
	v_lshlrev_b16_e32 v59, 8, v38
	v_lshlrev_b16_e32 v40, 8, v40
	v_bfe_i32 v58, v58, 0, 1
	v_lshlrev_b16_e32 v62, 8, v62
	v_lshlrev_b16_e32 v64, 8, v64
	v_bfe_i32 v61, v61, 0, 1
	v_sub_i16 v40, v59, v40 clamp
	v_or_b32_sdwa v63, v58, v62 dst_sel:DWORD dst_unused:UNUSED_PAD src0_sel:BYTE_0 src1_sel:DWORD
	v_or_b32_sdwa v65, v61, v64 dst_sel:WORD_1 dst_unused:UNUSED_PAD src0_sel:BYTE_0 src1_sel:DWORD
	v_perm_b32 v40, v40, v42, s87
	v_and_b32_sdwa v42, v38, s86 dst_sel:DWORD dst_unused:UNUSED_PAD src0_sel:WORD_1 src1_sel:DWORD
	v_lshlrev_b16_sdwa v38, v30, v38 dst_sel:DWORD dst_unused:UNUSED_PAD src0_sel:DWORD src1_sel:WORD_1
	v_lshlrev_b16_e32 v41, 8, v41
	v_or_b32_sdwa v63, v63, v65 dst_sel:DWORD dst_unused:UNUSED_PAD src0_sel:WORD_0 src1_sel:DWORD
	v_sub_i16 v42, v42, v60 clamp
	v_sub_i16 v38, v38, v41 clamp
	v_perm_b32 v38, v38, v42, s87
	v_xor_b32_e32 v37, v37, v63
	v_lshl_or_b32 v38, v38, 16, v40
	v_and_b32_e32 v40, 0xffffff00, v37
	v_lshlrev_b16_e32 v41, 8, v37
	v_lshlrev_b16_e32 v42, 8, v58
	v_sub_i16 v40, v40, v62 clamp
	v_sub_i16 v41, v41, v42 clamp
	v_perm_b32 v40, v41, v40, s87
	v_and_b32_sdwa v41, v37, s86 dst_sel:DWORD dst_unused:UNUSED_PAD src0_sel:WORD_1 src1_sel:DWORD
	v_lshlrev_b16_sdwa v37, v30, v37 dst_sel:DWORD dst_unused:UNUSED_PAD src0_sel:DWORD src1_sel:WORD_1
	v_lshlrev_b16_e32 v42, 8, v61
	v_sub_i16 v41, v41, v64 clamp
	v_sub_i16 v37, v37, v42 clamp
	v_perm_b32 v37, v37, v41, s87
	v_lshl_or_b32 v37, v37, 16, v40
	v_dot4_i32_i8 v38, v38, v3, v39
	v_dot4_i32_i8 v37, v37, v4, v38
	v_lshrrev_b16_e32 v38, 7, v57
	v_lshrrev_b32_e32 v39, 26, v34
	v_cndmask_b32_e64 v40, 0, -1, s[70:71]
	v_cndmask_b32_e64 v42, 0, -1, s[20:21]
	v_bfe_i32 v38, v38, 0, 1
	v_lshlrev_b16_e32 v40, 8, v40
	v_lshlrev_b16_e32 v42, 8, v42
	v_bfe_i32 v39, v39, 0, 1
	v_or_b32_sdwa v41, v38, v40 dst_sel:DWORD dst_unused:UNUSED_PAD src0_sel:BYTE_0 src1_sel:DWORD
	v_or_b32_sdwa v57, v39, v42 dst_sel:WORD_1 dst_unused:UNUSED_PAD src0_sel:BYTE_0 src1_sel:DWORD
	v_or_b32_sdwa v41, v41, v57 dst_sel:DWORD dst_unused:UNUSED_PAD src0_sel:WORD_0 src1_sel:DWORD
	v_lshrrev_b32_e32 v57, 21, v34
	v_xor_b32_e32 v36, v36, v41
	v_lshrrev_b16_e32 v58, 8, v57
	v_and_b32_e32 v41, 0xffffff00, v36
	v_lshrrev_b32_e32 v34, 30, v34
	v_lshrrev_b16_e32 v57, 7, v57
	v_bfe_i32 v58, v58, 0, 1
	v_cndmask_b32_e64 v60, 0, -1, s[18:19]
	v_sub_i16 v40, v41, v40 clamp
	v_lshlrev_b16_e32 v41, 8, v36
	v_lshlrev_b16_e32 v38, 8, v38
	;; [unrolled: 1-line block ×3, first 2 shown]
	v_bfe_i32 v57, v57, 0, 1
	v_bfe_i32 v34, v34, 0, 1
	v_lshlrev_b16_e32 v60, 8, v60
	v_sub_i16 v38, v41, v38 clamp
	v_or_b32_sdwa v59, v57, v58 dst_sel:DWORD dst_unused:UNUSED_PAD src0_sel:BYTE_0 src1_sel:DWORD
	v_or_b32_sdwa v61, v34, v60 dst_sel:WORD_1 dst_unused:UNUSED_PAD src0_sel:BYTE_0 src1_sel:DWORD
	v_perm_b32 v38, v38, v40, s87
	v_and_b32_sdwa v40, v36, s86 dst_sel:DWORD dst_unused:UNUSED_PAD src0_sel:WORD_1 src1_sel:DWORD
	v_lshlrev_b16_sdwa v36, v30, v36 dst_sel:DWORD dst_unused:UNUSED_PAD src0_sel:DWORD src1_sel:WORD_1
	v_lshlrev_b16_e32 v39, 8, v39
	v_or_b32_sdwa v59, v59, v61 dst_sel:DWORD dst_unused:UNUSED_PAD src0_sel:WORD_0 src1_sel:DWORD
	v_sub_i16 v40, v40, v42 clamp
	v_sub_i16 v36, v36, v39 clamp
	v_perm_b32 v36, v36, v40, s87
	v_xor_b32_e32 v35, v35, v59
	v_lshl_or_b32 v36, v36, 16, v38
	v_and_b32_e32 v38, 0xffffff00, v35
	v_lshlrev_b16_e32 v39, 8, v35
	v_lshlrev_b16_e32 v40, 8, v57
	v_sub_i16 v38, v38, v58 clamp
	v_sub_i16 v39, v39, v40 clamp
	v_perm_b32 v38, v39, v38, s87
	v_and_b32_sdwa v39, v35, s86 dst_sel:DWORD dst_unused:UNUSED_PAD src0_sel:WORD_1 src1_sel:DWORD
	v_lshlrev_b16_sdwa v35, v30, v35 dst_sel:DWORD dst_unused:UNUSED_PAD src0_sel:DWORD src1_sel:WORD_1
	v_lshlrev_b16_e32 v34, 8, v34
	v_sub_i16 v39, v39, v60 clamp
	v_sub_i16 v34, v35, v34 clamp
	v_perm_b32 v34, v34, v39, s87
	v_lshrrev_b32_sdwa v33, v27, v33 dst_sel:DWORD dst_unused:UNUSED_PAD src0_sel:DWORD src1_sel:BYTE_0
	v_lshl_or_b32 v34, v34, 16, v38
	v_dot4_i32_i8 v35, v36, v5, v37
	v_lshlrev_b32_e32 v33, 1, v33
	v_dot4_i32_i8 v34, v34, v31, v35
	v_and_or_b32 v33, v33, 30, 1
	v_mul_lo_u32 v33, v34, v33
	v_lshrrev_b16_e32 v34, 7, v56
	v_lshrrev_b32_e32 v35, 2, v19
	v_cndmask_b32_e64 v36, 0, -1, s[68:69]
	v_cndmask_b32_e64 v38, 0, -1, s[16:17]
	v_bfe_i32 v34, v34, 0, 1
	v_lshlrev_b16_e32 v36, 8, v36
	v_lshlrev_b16_e32 v38, 8, v38
	v_bfe_i32 v35, v35, 0, 1
	v_or_b32_sdwa v37, v34, v36 dst_sel:DWORD dst_unused:UNUSED_PAD src0_sel:BYTE_0 src1_sel:DWORD
	v_or_b32_sdwa v39, v35, v38 dst_sel:WORD_1 dst_unused:UNUSED_PAD src0_sel:BYTE_0 src1_sel:DWORD
	v_or_b32_sdwa v37, v37, v39 dst_sel:DWORD dst_unused:UNUSED_PAD src0_sel:WORD_0 src1_sel:DWORD
	s_waitcnt vmcnt(7)
	v_xor_b32_e32 v37, v52, v37
	v_and_b32_e32 v52, 0xffffff00, v37
	v_sub_i16 v36, v52, v36 clamp
	v_lshlrev_b16_e32 v52, 8, v37
	v_lshlrev_b16_e32 v34, 8, v34
	v_lshrrev_b16_e32 v39, 7, v55
	v_lshrrev_b32_e32 v40, 6, v19
	v_cndmask_b32_e64 v41, 0, -1, s[66:67]
	v_cndmask_b32_e64 v55, 0, -1, s[14:15]
	v_sub_i16 v34, v52, v34 clamp
	v_bfe_i32 v39, v39, 0, 1
	v_lshlrev_b16_e32 v41, 8, v41
	v_lshlrev_b16_e32 v55, 8, v55
	v_bfe_i32 v40, v40, 0, 1
	v_perm_b32 v34, v34, v36, s87
	v_and_b32_sdwa v36, v37, s86 dst_sel:DWORD dst_unused:UNUSED_PAD src0_sel:WORD_1 src1_sel:DWORD
	v_lshlrev_b16_sdwa v37, v30, v37 dst_sel:DWORD dst_unused:UNUSED_PAD src0_sel:DWORD src1_sel:WORD_1
	v_lshlrev_b16_e32 v35, 8, v35
	v_or_b32_sdwa v42, v39, v41 dst_sel:DWORD dst_unused:UNUSED_PAD src0_sel:BYTE_0 src1_sel:DWORD
	v_or_b32_sdwa v56, v40, v55 dst_sel:WORD_1 dst_unused:UNUSED_PAD src0_sel:BYTE_0 src1_sel:DWORD
	v_sub_i16 v36, v36, v38 clamp
	v_sub_i16 v35, v37, v35 clamp
	v_or_b32_sdwa v42, v42, v56 dst_sel:DWORD dst_unused:UNUSED_PAD src0_sel:WORD_0 src1_sel:DWORD
	v_perm_b32 v35, v35, v36, s87
	v_lshl_or_b32 v34, v35, 16, v34
	s_waitcnt vmcnt(6)
	v_xor_b32_e32 v35, v49, v42
	v_and_b32_e32 v36, 0xffffff00, v35
	v_lshlrev_b16_e32 v37, 8, v35
	v_lshlrev_b16_e32 v38, 8, v39
	v_sub_i16 v36, v36, v41 clamp
	v_sub_i16 v37, v37, v38 clamp
	v_perm_b32 v36, v37, v36, s87
	v_and_b32_sdwa v37, v35, s86 dst_sel:DWORD dst_unused:UNUSED_PAD src0_sel:WORD_1 src1_sel:DWORD
	v_lshlrev_b16_sdwa v35, v30, v35 dst_sel:DWORD dst_unused:UNUSED_PAD src0_sel:DWORD src1_sel:WORD_1
	v_lshlrev_b16_e32 v38, 8, v40
	v_sub_i16 v37, v37, v55 clamp
	v_sub_i16 v35, v35, v38 clamp
	v_perm_b32 v35, v35, v37, s87
	v_lshl_or_b32 v35, v35, 16, v36
	v_dot4_i32_i8 v7, v34, v7, 0
	v_dot4_i32_i8 v7, v35, v8, v7
	v_lshrrev_b32_e32 v8, 11, v19
	v_lshrrev_b32_e32 v34, 10, v19
	v_lshrrev_b16_e32 v35, 7, v54
	v_cndmask_b32_e64 v36, 0, -1, s[64:65]
	v_bfe_i32 v8, v8, 0, 1
	v_bfe_i32 v35, v35, 0, 1
	v_lshlrev_b16_e32 v36, 8, v36
	v_lshlrev_b16_e32 v8, 8, v8
	v_bfe_i32 v34, v34, 0, 1
	v_or_b32_sdwa v37, v35, v36 dst_sel:DWORD dst_unused:UNUSED_PAD src0_sel:BYTE_0 src1_sel:DWORD
	v_or_b32_sdwa v38, v34, v8 dst_sel:WORD_1 dst_unused:UNUSED_PAD src0_sel:BYTE_0 src1_sel:DWORD
	v_or_b32_sdwa v37, v37, v38 dst_sel:DWORD dst_unused:UNUSED_PAD src0_sel:WORD_0 src1_sel:DWORD
	s_waitcnt vmcnt(5)
	v_xor_b32_e32 v37, v47, v37
	v_and_b32_e32 v47, 0xffffff00, v37
	v_lshrrev_b32_e32 v38, 15, v19
	v_sub_i16 v36, v47, v36 clamp
	v_lshlrev_b16_e32 v47, 8, v37
	v_lshlrev_b16_e32 v35, 8, v35
	v_lshrrev_b32_e32 v39, 14, v19
	v_lshrrev_b16_e32 v40, 7, v53
	v_cndmask_b32_e64 v41, 0, -1, s[62:63]
	v_bfe_i32 v38, v38, 0, 1
	v_sub_i16 v35, v47, v35 clamp
	v_bfe_i32 v40, v40, 0, 1
	v_lshlrev_b16_e32 v41, 8, v41
	v_lshlrev_b16_e32 v38, 8, v38
	v_bfe_i32 v39, v39, 0, 1
	v_perm_b32 v35, v35, v36, s87
	v_and_b32_sdwa v36, v37, s86 dst_sel:DWORD dst_unused:UNUSED_PAD src0_sel:WORD_1 src1_sel:DWORD
	v_or_b32_sdwa v42, v40, v41 dst_sel:DWORD dst_unused:UNUSED_PAD src0_sel:BYTE_0 src1_sel:DWORD
	v_or_b32_sdwa v49, v39, v38 dst_sel:WORD_1 dst_unused:UNUSED_PAD src0_sel:BYTE_0 src1_sel:DWORD
	v_sub_i16 v8, v36, v8 clamp
	v_lshlrev_b16_sdwa v36, v30, v37 dst_sel:DWORD dst_unused:UNUSED_PAD src0_sel:DWORD src1_sel:WORD_1
	v_lshlrev_b16_e32 v34, 8, v34
	v_or_b32_sdwa v42, v42, v49 dst_sel:DWORD dst_unused:UNUSED_PAD src0_sel:WORD_0 src1_sel:DWORD
	v_sub_i16 v34, v36, v34 clamp
	v_perm_b32 v8, v34, v8, s87
	s_waitcnt vmcnt(4)
	v_xor_b32_e32 v34, v46, v42
	v_lshl_or_b32 v8, v8, 16, v35
	v_and_b32_e32 v35, 0xffffff00, v34
	v_lshlrev_b16_e32 v36, 8, v34
	v_lshlrev_b16_e32 v37, 8, v40
	v_sub_i16 v35, v35, v41 clamp
	v_sub_i16 v36, v36, v37 clamp
	v_perm_b32 v35, v36, v35, s87
	v_and_b32_sdwa v36, v34, s86 dst_sel:DWORD dst_unused:UNUSED_PAD src0_sel:WORD_1 src1_sel:DWORD
	v_lshlrev_b16_sdwa v34, v30, v34 dst_sel:DWORD dst_unused:UNUSED_PAD src0_sel:DWORD src1_sel:WORD_1
	v_lshlrev_b16_e32 v37, 8, v39
	v_sub_i16 v36, v36, v38 clamp
	v_sub_i16 v34, v34, v37 clamp
	v_perm_b32 v34, v34, v36, s87
	v_lshl_or_b32 v34, v34, 16, v35
	v_dot4_i32_i8 v7, v8, v9, v7
	v_dot4_i32_i8 v2, v34, v2, v7
	v_lshrrev_b16_e32 v7, 7, v51
	v_lshrrev_b32_e32 v8, 18, v19
	v_cndmask_b32_e64 v9, 0, -1, s[60:61]
	v_cndmask_b32_e64 v35, 0, -1, s[12:13]
	v_bfe_i32 v7, v7, 0, 1
	v_lshlrev_b16_e32 v9, 8, v9
	v_lshlrev_b16_e32 v35, 8, v35
	v_bfe_i32 v8, v8, 0, 1
	v_or_b32_sdwa v34, v7, v9 dst_sel:DWORD dst_unused:UNUSED_PAD src0_sel:BYTE_0 src1_sel:DWORD
	v_or_b32_sdwa v36, v8, v35 dst_sel:WORD_1 dst_unused:UNUSED_PAD src0_sel:BYTE_0 src1_sel:DWORD
	v_or_b32_sdwa v34, v34, v36 dst_sel:DWORD dst_unused:UNUSED_PAD src0_sel:WORD_0 src1_sel:DWORD
	v_lshrrev_b16_e32 v36, 7, v50
	v_lshrrev_b32_e32 v37, 22, v19
	v_cndmask_b32_e64 v38, 0, -1, s[48:49]
	v_cndmask_b32_e64 v40, 0, -1, s[10:11]
	v_bfe_i32 v36, v36, 0, 1
	v_lshlrev_b16_e32 v38, 8, v38
	v_lshlrev_b16_e32 v40, 8, v40
	v_bfe_i32 v37, v37, 0, 1
	v_or_b32_sdwa v39, v36, v38 dst_sel:DWORD dst_unused:UNUSED_PAD src0_sel:BYTE_0 src1_sel:DWORD
	v_or_b32_sdwa v41, v37, v40 dst_sel:WORD_1 dst_unused:UNUSED_PAD src0_sel:BYTE_0 src1_sel:DWORD
	s_waitcnt vmcnt(3)
	v_xor_b32_e32 v34, v45, v34
	v_or_b32_sdwa v39, v39, v41 dst_sel:DWORD dst_unused:UNUSED_PAD src0_sel:WORD_0 src1_sel:DWORD
	v_and_b32_e32 v41, 0xffffff00, v34
	v_sub_i16 v9, v41, v9 clamp
	v_lshlrev_b16_e32 v41, 8, v34
	v_lshlrev_b16_e32 v7, 8, v7
	v_sub_i16 v7, v41, v7 clamp
	v_perm_b32 v7, v7, v9, s87
	v_and_b32_sdwa v9, v34, s86 dst_sel:DWORD dst_unused:UNUSED_PAD src0_sel:WORD_1 src1_sel:DWORD
	v_lshlrev_b16_sdwa v34, v30, v34 dst_sel:DWORD dst_unused:UNUSED_PAD src0_sel:DWORD src1_sel:WORD_1
	v_lshlrev_b16_e32 v8, 8, v8
	v_sub_i16 v9, v9, v35 clamp
	v_sub_i16 v8, v34, v8 clamp
	v_perm_b32 v8, v8, v9, s87
	v_lshl_or_b32 v7, v8, 16, v7
	s_waitcnt vmcnt(2)
	v_xor_b32_e32 v8, v44, v39
	v_and_b32_e32 v9, 0xffffff00, v8
	v_lshlrev_b16_e32 v34, 8, v8
	v_lshlrev_b16_e32 v35, 8, v36
	v_sub_i16 v9, v9, v38 clamp
	v_sub_i16 v34, v34, v35 clamp
	v_perm_b32 v9, v34, v9, s87
	v_and_b32_sdwa v34, v8, s86 dst_sel:DWORD dst_unused:UNUSED_PAD src0_sel:WORD_1 src1_sel:DWORD
	v_lshlrev_b16_sdwa v8, v30, v8 dst_sel:DWORD dst_unused:UNUSED_PAD src0_sel:DWORD src1_sel:WORD_1
	v_lshlrev_b16_e32 v35, 8, v37
	v_sub_i16 v34, v34, v40 clamp
	v_sub_i16 v8, v8, v35 clamp
	v_perm_b32 v8, v8, v34, s87
	v_lshl_or_b32 v8, v8, 16, v9
	v_dot4_i32_i8 v2, v7, v3, v2
	v_dot4_i32_i8 v2, v8, v4, v2
	v_lshrrev_b16_e32 v3, 7, v48
	v_lshrrev_b32_e32 v4, 26, v19
	v_cndmask_b32_e64 v7, 0, -1, s[44:45]
	v_cndmask_b32_e64 v9, 0, -1, s[30:31]
	v_bfe_i32 v3, v3, 0, 1
	v_lshlrev_b16_e32 v7, 8, v7
	v_lshlrev_b16_e32 v9, 8, v9
	v_bfe_i32 v4, v4, 0, 1
	v_or_b32_sdwa v8, v3, v7 dst_sel:DWORD dst_unused:UNUSED_PAD src0_sel:BYTE_0 src1_sel:DWORD
	v_or_b32_sdwa v34, v4, v9 dst_sel:WORD_1 dst_unused:UNUSED_PAD src0_sel:BYTE_0 src1_sel:DWORD
	v_or_b32_sdwa v8, v8, v34 dst_sel:DWORD dst_unused:UNUSED_PAD src0_sel:WORD_0 src1_sel:DWORD
	v_lshrrev_b32_e32 v34, 21, v19
	v_lshrrev_b16_e32 v35, 8, v34
	v_lshrrev_b32_e32 v19, 30, v19
	v_lshrrev_b16_e32 v34, 7, v34
	v_bfe_i32 v35, v35, 0, 1
	v_cndmask_b32_e64 v37, 0, -1, s[6:7]
	v_lshlrev_b16_e32 v35, 8, v35
	v_bfe_i32 v34, v34, 0, 1
	v_bfe_i32 v19, v19, 0, 1
	v_lshlrev_b16_e32 v37, 8, v37
	v_or_b32_sdwa v36, v34, v35 dst_sel:DWORD dst_unused:UNUSED_PAD src0_sel:BYTE_0 src1_sel:DWORD
	v_or_b32_sdwa v38, v19, v37 dst_sel:WORD_1 dst_unused:UNUSED_PAD src0_sel:BYTE_0 src1_sel:DWORD
	s_waitcnt vmcnt(1)
	v_xor_b32_e32 v8, v43, v8
	v_or_b32_sdwa v36, v36, v38 dst_sel:DWORD dst_unused:UNUSED_PAD src0_sel:WORD_0 src1_sel:DWORD
	v_and_b32_e32 v38, 0xffffff00, v8
	v_sub_i16 v7, v38, v7 clamp
	v_lshlrev_b16_e32 v38, 8, v8
	v_lshlrev_b16_e32 v3, 8, v3
	v_sub_i16 v3, v38, v3 clamp
	v_perm_b32 v3, v3, v7, s87
	v_and_b32_sdwa v7, v8, s86 dst_sel:DWORD dst_unused:UNUSED_PAD src0_sel:WORD_1 src1_sel:DWORD
	v_lshlrev_b16_sdwa v8, v30, v8 dst_sel:DWORD dst_unused:UNUSED_PAD src0_sel:DWORD src1_sel:WORD_1
	v_lshlrev_b16_e32 v4, 8, v4
	v_sub_i16 v7, v7, v9 clamp
	v_sub_i16 v4, v8, v4 clamp
	v_perm_b32 v4, v4, v7, s87
	v_lshl_or_b32 v3, v4, 16, v3
	s_waitcnt vmcnt(0)
	v_xor_b32_e32 v4, v20, v36
	v_and_b32_e32 v7, 0xffffff00, v4
	v_lshlrev_b16_e32 v8, 8, v4
	v_lshlrev_b16_e32 v9, 8, v34
	v_sub_i16 v7, v7, v35 clamp
	v_sub_i16 v8, v8, v9 clamp
	v_perm_b32 v7, v8, v7, s87
	v_and_b32_sdwa v8, v4, s86 dst_sel:DWORD dst_unused:UNUSED_PAD src0_sel:WORD_1 src1_sel:DWORD
	v_lshlrev_b16_sdwa v4, v30, v4 dst_sel:DWORD dst_unused:UNUSED_PAD src0_sel:DWORD src1_sel:WORD_1
	v_lshlrev_b16_e32 v9, 8, v19
	v_sub_i16 v8, v8, v37 clamp
	v_sub_i16 v4, v4, v9 clamp
	v_perm_b32 v4, v4, v8, s87
	v_dot4_i32_i8 v2, v3, v5, v2
	v_lshrrev_b32_e32 v3, v27, v18
	v_lshl_or_b32 v4, v4, 16, v7
	v_lshlrev_b32_e32 v3, 1, v3
	v_dot4_i32_i8 v2, v4, v31, v2
	v_and_or_b32 v3, v3, 30, 1
	v_mul_lo_u32 v2, v2, v3
	v_cvt_f32_f16_e32 v3, v32
	v_cvt_f32_i32_e32 v4, v33
	v_cvt_f32_f16_e32 v5, v17
	v_cvt_f32_i32_e32 v2, v2
	v_mul_f32_e32 v3, v3, v6
	v_add_u32_e32 v24, 16, v24
	v_fmac_f32_e32 v14, v3, v4
	v_mul_f32_e32 v3, v5, v6
	v_add_co_u32_e32 v15, vcc, 0x1200, v15
	v_cmp_le_u32_e64 s[6:7], s33, v24
	v_fmac_f32_e32 v12, v3, v2
	s_or_b64 s[38:39], s[6:7], s[38:39]
	v_addc_co_u32_e32 v16, vcc, 0, v16, vcc
	s_andn2_b64 exec, exec, s[38:39]
	s_cbranch_execz .LBB253_22
.LBB253_18:                             ; =>This Inner Loop Header: Depth=1
	v_mov_b32_e32 v2, s36
	v_add_u32_e32 v17, s41, v24
	v_mov_b32_e32 v3, s37
	v_mad_i64_i32 v[2:3], s[6:7], v17, s51, v[2:3]
	s_getpc_b64 s[10:11]
	s_add_u32 s10, s10, _ZL9iq3s_grid@rel32@lo+4
	s_addc_u32 s11, s11, _ZL9iq3s_grid@rel32@hi+12
	v_add_co_u32_e32 v4, vcc, v2, v29
	v_addc_co_u32_e32 v5, vcc, 0, v3, vcc
	v_add_co_u32_e32 v6, vcc, v2, v25
	global_load_dwordx2 v[4:5], v[4:5], off offset:2
	v_addc_co_u32_e32 v7, vcc, 0, v3, vcc
	global_load_ubyte v20, v[6:7], off offset:66
	global_load_dword v31, v[15:16], off
	v_add_co_u32_e32 v18, vcc, v2, v28
	v_addc_co_u32_e32 v19, vcc, 0, v3, vcc
	v_add_co_u32_e32 v35, vcc, v2, v26
	global_load_dwordx4 v[6:9], v[15:16], off offset:-32
	v_addc_co_u32_e32 v36, vcc, 0, v3, vcc
	global_load_dword v34, v[18:19], off offset:74
	global_load_ubyte v33, v[35:36], off offset:106
	global_load_ushort v32, v[2:3], off
	s_andn2_b64 vcc, exec, s[42:43]
	s_waitcnt vmcnt(6)
	v_and_b32_e32 v2, 0xff, v4
	v_bfe_u32 v3, v4, 8, 8
	s_waitcnt vmcnt(5)
	v_lshlrev_b32_e32 v37, 8, v20
	v_bfe_u32 v18, v4, 16, 8
	v_lshrrev_b32_e32 v4, 24, v4
	v_and_b32_e32 v19, 0xff, v5
	v_bfe_u32 v35, v5, 8, 8
	v_bfe_u32 v36, v5, 16, 8
	v_lshrrev_b32_e32 v5, 24, v5
	v_lshlrev_b32_e32 v38, 7, v20
	v_lshlrev_b32_e32 v39, 6, v20
	;; [unrolled: 1-line block ×7, first 2 shown]
	v_and_or_b32 v2, v37, s57, v2
	v_and_or_b32 v3, v38, s57, v3
	;; [unrolled: 1-line block ×8, first 2 shown]
	v_lshlrev_b32_e32 v20, 2, v2
	v_lshlrev_b32_e32 v43, 2, v3
	;; [unrolled: 1-line block ×8, first 2 shown]
	global_load_dword v42, v20, s[10:11]
	global_load_dword v41, v43, s[10:11]
	;; [unrolled: 1-line block ×8, first 2 shown]
	global_load_dwordx4 v[2:5], v[15:16], off offset:-16
	s_waitcnt vmcnt(12)
	v_cvt_f32_f16_e32 v6, v6
	v_cndmask_b32_e64 v18, 0, 1, s[42:43]
	v_cmp_ne_u32_e64 s[6:7], 1, v18
	s_cbranch_vccnz .LBB253_20
; %bb.19:                               ;   in Loop: Header=BB253_18 Depth=1
	v_mov_b32_e32 v18, s52
	v_mov_b32_e32 v19, s53
	v_mad_i64_i32 v[19:20], s[12:13], v17, s51, v[18:19]
	v_add_co_u32_e32 v45, vcc, v19, v29
	v_addc_co_u32_e32 v46, vcc, 0, v20, vcc
	v_add_co_u32_e32 v47, vcc, v19, v25
	v_addc_co_u32_e32 v48, vcc, 0, v20, vcc
	;; [unrolled: 2-line block ×3, first 2 shown]
	global_load_dword v43, v[49:50], off offset:74
	global_load_dwordx2 v[17:18], v[45:46], off offset:2
	global_load_ubyte v44, v[47:48], off offset:66
	v_add_co_u32_e32 v46, vcc, v19, v26
	v_addc_co_u32_e32 v47, vcc, 0, v20, vcc
	global_load_ubyte v48, v[46:47], off offset:106
	global_load_ushort v45, v[19:20], off
	s_waitcnt vmcnt(4)
	v_lshrrev_b32_e32 v52, 2, v43
	s_waitcnt vmcnt(3)
	v_and_b32_e32 v20, 0xff, v17
	s_waitcnt vmcnt(2)
	v_lshlrev_b32_e32 v46, 8, v44
	v_bfe_u32 v47, v17, 8, 8
	v_lshlrev_b32_e32 v49, 7, v44
	v_bfe_u32 v55, v17, 16, 8
	v_lshlrev_b32_e32 v56, 6, v44
	v_lshrrev_b32_e32 v17, 24, v17
	v_lshlrev_b32_e32 v57, 5, v44
	v_and_or_b32 v20, v46, s57, v20
	v_and_or_b32 v46, v49, s57, v47
	;; [unrolled: 1-line block ×4, first 2 shown]
	v_lshlrev_b32_e32 v20, 2, v20
	v_lshlrev_b32_e32 v46, 2, v46
	;; [unrolled: 1-line block ×4, first 2 shown]
	global_load_dword v49, v20, s[10:11]
	global_load_dword v55, v46, s[10:11]
	;; [unrolled: 1-line block ×4, first 2 shown]
	v_lshrrev_b32_e32 v58, 1, v43
	v_lshrrev_b32_e32 v61, 5, v43
	v_and_b32_e32 v64, 0xff, v18
	v_lshlrev_b32_e32 v65, 4, v44
	v_and_b32_e32 v50, 0xff, v43
	v_lshlrev_b32_e32 v51, 21, v43
	v_lshlrev_b32_e32 v53, 17, v43
	v_lshrrev_b32_e32 v59, 11, v43
	v_lshrrev_b32_e32 v62, 15, v43
	v_bfe_u32 v66, v18, 8, 8
	v_lshlrev_b32_e32 v67, 3, v44
	v_bfe_u32 v17, v18, 16, 8
	v_lshlrev_b32_e32 v20, 2, v44
	v_lshrrev_b32_e32 v18, 24, v18
	v_lshlrev_b32_e32 v44, 1, v44
	v_bfe_i32 v47, v52, 0, 1
	v_and_b32_e32 v52, 0x180, v58
	v_and_b32_e32 v58, 0x180, v61
	v_and_or_b32 v61, v65, s57, v64
	v_lshl_or_b32 v46, v50, 7, v51
	v_lshl_or_b32 v50, v50, 3, v53
	v_bfe_i32 v53, v59, 0, 1
	v_bfe_i32 v59, v62, 0, 1
	v_and_or_b32 v62, v67, s57, v66
	v_and_or_b32 v17, v20, s57, v17
	;; [unrolled: 1-line block ×3, first 2 shown]
	v_lshlrev_b32_e32 v61, 2, v61
	v_lshlrev_b32_e32 v62, 2, v62
	;; [unrolled: 1-line block ×4, first 2 shown]
	global_load_dword v71, v61, s[10:11]
	global_load_dword v72, v62, s[10:11]
	;; [unrolled: 1-line block ×4, first 2 shown]
	v_cmp_ne_u16_sdwa s[12:13], v52, v13 src0_sel:BYTE_1 src1_sel:DWORD
	v_and_b32_e32 v20, 0x1800180, v46
	v_bfe_u32 v44, v46, 24, 1
	v_lshrrev_b16_e32 v65, 7, v52
	v_cndmask_b32_e64 v52, 0, -1, s[12:13]
	v_cmp_ne_u16_sdwa s[12:13], v58, v13 src0_sel:BYTE_1 src1_sel:DWORD
	v_and_b32_e32 v46, 0x1800180, v50
	v_bfe_u32 v50, v50, 24, 1
	v_lshrrev_b16_e32 v66, 7, v58
	v_cndmask_b32_e64 v58, 0, -1, s[12:13]
	v_cmp_ne_u16_sdwa s[12:13], v20, v13 src0_sel:BYTE_1 src1_sel:DWORD
	v_cmp_ne_u16_e32 vcc, 0, v44
	v_lshrrev_b16_e32 v68, 7, v20
	v_cndmask_b32_e64 v20, 0, -1, s[12:13]
	v_cndmask_b32_e64 v44, 0, -1, vcc
	v_cmp_ne_u16_sdwa s[12:13], v46, v13 src0_sel:BYTE_1 src1_sel:DWORD
	v_cmp_ne_u16_e32 vcc, 0, v50
	v_lshrrev_b32_e32 v54, 6, v43
	v_lshrrev_b32_e32 v60, 10, v43
	v_lshrrev_b32_e32 v63, 14, v43
	v_lshrrev_b16_e32 v69, 7, v46
	v_cndmask_b32_e64 v46, 0, -1, s[12:13]
	v_cndmask_b32_e64 v50, 0, -1, vcc
	v_bfe_i32 v17, v68, 0, 1
	v_lshlrev_b16_e32 v18, 8, v20
	v_lshlrev_b16_e32 v20, 8, v44
	v_bfe_i32 v51, v54, 0, 1
	v_bfe_i32 v54, v60, 0, 1
	;; [unrolled: 1-line block ×3, first 2 shown]
	v_lshlrev_b16_e32 v63, 8, v47
	v_lshlrev_b16_e32 v53, 8, v53
	;; [unrolled: 1-line block ×3, first 2 shown]
	v_bfe_i32 v65, v65, 0, 1
	v_lshlrev_b16_e32 v52, 8, v52
	v_bfe_i32 v66, v66, 0, 1
	v_lshlrev_b16_e32 v58, 8, v58
	;; [unrolled: 2-line block ×3, first 2 shown]
	v_lshlrev_b16_e32 v50, 8, v50
	v_or_b32_sdwa v68, v17, v18 dst_sel:DWORD dst_unused:UNUSED_PAD src0_sel:BYTE_0 src1_sel:DWORD
	v_or_b32_sdwa v47, v47, v20 dst_sel:WORD_1 dst_unused:UNUSED_PAD src0_sel:BYTE_0 src1_sel:DWORD
	v_lshlrev_b16_e32 v64, 8, v51
	v_lshlrev_b16_e32 v67, 8, v54
	v_or_b32_sdwa v54, v54, v53 dst_sel:WORD_1 dst_unused:UNUSED_PAD src0_sel:BYTE_0 src1_sel:DWORD
	v_or_b32_sdwa v70, v60, v59 dst_sel:WORD_1 dst_unused:UNUSED_PAD src0_sel:BYTE_0 src1_sel:DWORD
	v_or_b32_sdwa v61, v65, v52 dst_sel:DWORD dst_unused:UNUSED_PAD src0_sel:BYTE_0 src1_sel:DWORD
	v_or_b32_sdwa v62, v66, v58 dst_sel:DWORD dst_unused:UNUSED_PAD src0_sel:BYTE_0 src1_sel:DWORD
	;; [unrolled: 1-line block ×3, first 2 shown]
	v_or_b32_sdwa v51, v51, v50 dst_sel:WORD_1 dst_unused:UNUSED_PAD src0_sel:BYTE_0 src1_sel:DWORD
	v_or_b32_sdwa v47, v68, v47 dst_sel:DWORD dst_unused:UNUSED_PAD src0_sel:WORD_0 src1_sel:DWORD
	v_or_b32_sdwa v54, v61, v54 dst_sel:DWORD dst_unused:UNUSED_PAD src0_sel:WORD_0 src1_sel:DWORD
	;; [unrolled: 1-line block ×4, first 2 shown]
	s_waitcnt vmcnt(7)
	v_xor_b32_e32 v47, v49, v47
	v_lshlrev_b16_e32 v17, 8, v17
	s_waitcnt vmcnt(6)
	v_xor_b32_e32 v49, v55, v51
	s_waitcnt vmcnt(5)
	v_xor_b32_e32 v51, v56, v54
	;; [unrolled: 2-line block ×3, first 2 shown]
	v_and_b32_e32 v55, 0xffffff00, v47
	v_lshlrev_b16_e32 v56, 8, v47
	v_and_b32_sdwa v57, v47, s86 dst_sel:DWORD dst_unused:UNUSED_PAD src0_sel:WORD_1 src1_sel:DWORD
	v_lshlrev_b16_sdwa v47, v30, v47 dst_sel:DWORD dst_unused:UNUSED_PAD src0_sel:DWORD src1_sel:WORD_1
	v_lshlrev_b16_e32 v65, 8, v65
	v_lshlrev_b16_e32 v44, 8, v44
	v_and_b32_e32 v61, 0xffffff00, v49
	v_lshlrev_b16_e32 v62, 8, v49
	v_and_b32_sdwa v68, v49, s86 dst_sel:DWORD dst_unused:UNUSED_PAD src0_sel:WORD_1 src1_sel:DWORD
	v_lshlrev_b16_sdwa v49, v30, v49 dst_sel:DWORD dst_unused:UNUSED_PAD src0_sel:DWORD src1_sel:WORD_1
	v_and_b32_e32 v69, 0xffffff00, v51
	v_lshlrev_b16_e32 v70, 8, v51
	v_and_b32_sdwa v75, v51, s86 dst_sel:DWORD dst_unused:UNUSED_PAD src0_sel:WORD_1 src1_sel:DWORD
	v_lshlrev_b16_sdwa v51, v30, v51 dst_sel:DWORD dst_unused:UNUSED_PAD src0_sel:DWORD src1_sel:WORD_1
	v_sub_i16 v18, v55, v18 clamp
	v_sub_i16 v17, v56, v17 clamp
	;; [unrolled: 1-line block ×12, first 2 shown]
	v_perm_b32 v17, v17, v18, s87
	v_perm_b32 v18, v47, v20, s87
	;; [unrolled: 1-line block ×6, first 2 shown]
	v_lshl_or_b32 v17, v18, 16, v17
	v_and_b32_e32 v76, 0xffffff00, v54
	v_lshl_or_b32 v18, v44, 16, v20
	v_lshl_or_b32 v20, v47, 16, v46
	v_dot4_i32_i8 v17, v17, v7, 0
	v_lshlrev_b16_e32 v44, 8, v54
	v_lshlrev_b16_e32 v46, 8, v66
	v_dot4_i32_i8 v17, v18, v8, v17
	v_sub_i16 v18, v76, v58 clamp
	v_sub_i16 v44, v44, v46 clamp
	v_perm_b32 v18, v44, v18, s87
	v_and_b32_sdwa v44, v54, s86 dst_sel:DWORD dst_unused:UNUSED_PAD src0_sel:WORD_1 src1_sel:DWORD
	v_lshlrev_b16_sdwa v46, v30, v54 dst_sel:DWORD dst_unused:UNUSED_PAD src0_sel:DWORD src1_sel:WORD_1
	v_lshlrev_b16_e32 v47, 8, v60
	v_sub_i16 v44, v44, v59 clamp
	v_sub_i16 v46, v46, v47 clamp
	v_perm_b32 v44, v46, v44, s87
	v_lshl_or_b32 v18, v44, 16, v18
	v_dot4_i32_i8 v17, v20, v9, v17
	v_lshrrev_b32_e32 v19, 16, v43
	v_dot4_i32_i8 v17, v18, v2, v17
	v_lshrrev_b32_e32 v18, 9, v43
	v_lshl_or_b32 v18, v19, 21, v18
	v_and_b32_e32 v20, 0x1800180, v18
	v_bfe_u32 v18, v18, 24, 1
	v_cmp_ne_u16_sdwa s[12:13], v20, v13 src0_sel:BYTE_1 src1_sel:DWORD
	v_cmp_ne_u16_e32 vcc, 0, v18
	v_lshrrev_b16_e32 v44, 7, v20
	v_lshrrev_b32_e32 v46, 18, v43
	v_cndmask_b32_e64 v20, 0, -1, s[12:13]
	v_cndmask_b32_e64 v18, 0, -1, vcc
	v_bfe_i32 v44, v44, 0, 1
	v_lshlrev_b16_e32 v20, 8, v20
	v_lshlrev_b16_e32 v18, 8, v18
	v_bfe_i32 v46, v46, 0, 1
	v_or_b32_sdwa v47, v44, v20 dst_sel:DWORD dst_unused:UNUSED_PAD src0_sel:BYTE_0 src1_sel:DWORD
	v_or_b32_sdwa v49, v46, v18 dst_sel:WORD_1 dst_unused:UNUSED_PAD src0_sel:BYTE_0 src1_sel:DWORD
	v_or_b32_sdwa v47, v47, v49 dst_sel:DWORD dst_unused:UNUSED_PAD src0_sel:WORD_0 src1_sel:DWORD
	v_lshrrev_b32_e32 v49, 13, v43
	v_lshl_or_b32 v19, v19, 17, v49
	v_and_b32_e32 v49, 0x1800180, v19
	v_bfe_u32 v19, v19, 24, 1
	v_cmp_ne_u16_sdwa s[12:13], v49, v13 src0_sel:BYTE_1 src1_sel:DWORD
	v_cmp_ne_u16_e32 vcc, 0, v19
	v_lshrrev_b16_e32 v50, 7, v49
	v_lshrrev_b32_e32 v51, 22, v43
	v_cndmask_b32_e64 v49, 0, -1, s[12:13]
	v_cndmask_b32_e64 v19, 0, -1, vcc
	v_bfe_i32 v50, v50, 0, 1
	v_lshlrev_b16_e32 v49, 8, v49
	v_lshlrev_b16_e32 v19, 8, v19
	v_bfe_i32 v51, v51, 0, 1
	v_or_b32_sdwa v52, v50, v49 dst_sel:DWORD dst_unused:UNUSED_PAD src0_sel:BYTE_0 src1_sel:DWORD
	v_or_b32_sdwa v53, v51, v19 dst_sel:WORD_1 dst_unused:UNUSED_PAD src0_sel:BYTE_0 src1_sel:DWORD
	s_waitcnt vmcnt(3)
	v_xor_b32_e32 v47, v71, v47
	v_or_b32_sdwa v52, v52, v53 dst_sel:DWORD dst_unused:UNUSED_PAD src0_sel:WORD_0 src1_sel:DWORD
	v_and_b32_e32 v53, 0xffffff00, v47
	v_sub_i16 v20, v53, v20 clamp
	v_lshlrev_b16_e32 v53, 8, v47
	v_lshlrev_b16_e32 v44, 8, v44
	v_sub_i16 v44, v53, v44 clamp
	v_perm_b32 v20, v44, v20, s87
	v_and_b32_sdwa v44, v47, s86 dst_sel:DWORD dst_unused:UNUSED_PAD src0_sel:WORD_1 src1_sel:DWORD
	v_sub_i16 v18, v44, v18 clamp
	v_lshlrev_b16_sdwa v44, v30, v47 dst_sel:DWORD dst_unused:UNUSED_PAD src0_sel:DWORD src1_sel:WORD_1
	v_lshlrev_b16_e32 v46, 8, v46
	v_sub_i16 v44, v44, v46 clamp
	v_perm_b32 v18, v44, v18, s87
	v_lshl_or_b32 v18, v18, 16, v20
	s_waitcnt vmcnt(2)
	v_xor_b32_e32 v20, v72, v52
	v_and_b32_e32 v44, 0xffffff00, v20
	v_lshlrev_b16_e32 v46, 8, v20
	v_lshlrev_b16_e32 v47, 8, v50
	v_sub_i16 v44, v44, v49 clamp
	v_sub_i16 v46, v46, v47 clamp
	v_perm_b32 v44, v46, v44, s87
	v_and_b32_sdwa v46, v20, s86 dst_sel:DWORD dst_unused:UNUSED_PAD src0_sel:WORD_1 src1_sel:DWORD
	v_sub_i16 v19, v46, v19 clamp
	v_lshlrev_b16_sdwa v20, v30, v20 dst_sel:DWORD dst_unused:UNUSED_PAD src0_sel:DWORD src1_sel:WORD_1
	v_lshlrev_b16_e32 v46, 8, v51
	v_sub_i16 v20, v20, v46 clamp
	v_perm_b32 v19, v20, v19, s87
	v_lshl_or_b32 v19, v19, 16, v44
	v_dot4_i32_i8 v17, v18, v3, v17
	v_dot4_i32_i8 v17, v19, v4, v17
	v_lshrrev_b32_e32 v18, 17, v43
	v_lshrrev_b32_e32 v19, 24, v43
	v_lshl_or_b32 v18, v19, 21, v18
	v_and_b32_e32 v19, 0x1800180, v18
	v_bfe_u32 v18, v18, 24, 1
	v_cmp_ne_u16_sdwa s[12:13], v19, v13 src0_sel:BYTE_1 src1_sel:DWORD
	v_cmp_ne_u16_e32 vcc, 0, v18
	v_lshrrev_b16_e32 v20, 7, v19
	v_lshrrev_b32_e32 v44, 26, v43
	v_cndmask_b32_e64 v19, 0, -1, s[12:13]
	v_cndmask_b32_e64 v18, 0, -1, vcc
	v_bfe_i32 v20, v20, 0, 1
	v_lshlrev_b16_e32 v19, 8, v19
	v_lshlrev_b16_e32 v18, 8, v18
	v_bfe_i32 v44, v44, 0, 1
	v_or_b32_sdwa v46, v20, v19 dst_sel:DWORD dst_unused:UNUSED_PAD src0_sel:BYTE_0 src1_sel:DWORD
	v_or_b32_sdwa v47, v44, v18 dst_sel:WORD_1 dst_unused:UNUSED_PAD src0_sel:BYTE_0 src1_sel:DWORD
	v_or_b32_sdwa v46, v46, v47 dst_sel:DWORD dst_unused:UNUSED_PAD src0_sel:WORD_0 src1_sel:DWORD
	v_lshrrev_b32_e32 v47, 21, v43
	v_lshrrev_b32_e32 v50, 31, v43
	v_lshrrev_b16_e32 v49, 8, v47
	v_cmp_ne_u16_e32 vcc, 0, v50
	v_lshrrev_b32_e32 v43, 30, v43
	v_lshrrev_b16_e32 v47, 7, v47
	v_bfe_i32 v49, v49, 0, 1
	v_cndmask_b32_e64 v50, 0, -1, vcc
	v_lshlrev_b16_e32 v49, 8, v49
	v_bfe_i32 v47, v47, 0, 1
	v_bfe_i32 v43, v43, 0, 1
	v_lshlrev_b16_e32 v50, 8, v50
	v_or_b32_sdwa v51, v47, v49 dst_sel:DWORD dst_unused:UNUSED_PAD src0_sel:BYTE_0 src1_sel:DWORD
	v_or_b32_sdwa v52, v43, v50 dst_sel:WORD_1 dst_unused:UNUSED_PAD src0_sel:BYTE_0 src1_sel:DWORD
	s_waitcnt vmcnt(1)
	v_xor_b32_e32 v46, v73, v46
	v_or_b32_sdwa v51, v51, v52 dst_sel:DWORD dst_unused:UNUSED_PAD src0_sel:WORD_0 src1_sel:DWORD
	v_and_b32_e32 v52, 0xffffff00, v46
	v_sub_i16 v19, v52, v19 clamp
	v_lshlrev_b16_e32 v52, 8, v46
	v_lshlrev_b16_e32 v20, 8, v20
	v_sub_i16 v20, v52, v20 clamp
	v_perm_b32 v19, v20, v19, s87
	v_and_b32_sdwa v20, v46, s86 dst_sel:DWORD dst_unused:UNUSED_PAD src0_sel:WORD_1 src1_sel:DWORD
	v_sub_i16 v18, v20, v18 clamp
	v_lshlrev_b16_sdwa v20, v30, v46 dst_sel:DWORD dst_unused:UNUSED_PAD src0_sel:DWORD src1_sel:WORD_1
	v_lshlrev_b16_e32 v44, 8, v44
	v_sub_i16 v20, v20, v44 clamp
	v_perm_b32 v18, v20, v18, s87
	v_lshl_or_b32 v18, v18, 16, v19
	s_waitcnt vmcnt(0)
	v_xor_b32_e32 v19, v74, v51
	v_and_b32_e32 v20, 0xffffff00, v19
	v_lshlrev_b16_e32 v44, 8, v19
	v_lshlrev_b16_e32 v46, 8, v47
	v_sub_i16 v20, v20, v49 clamp
	v_sub_i16 v44, v44, v46 clamp
	v_perm_b32 v20, v44, v20, s87
	v_and_b32_sdwa v44, v19, s86 dst_sel:DWORD dst_unused:UNUSED_PAD src0_sel:WORD_1 src1_sel:DWORD
	v_lshlrev_b16_sdwa v19, v30, v19 dst_sel:DWORD dst_unused:UNUSED_PAD src0_sel:DWORD src1_sel:WORD_1
	v_lshlrev_b16_e32 v43, 8, v43
	v_sub_i16 v44, v44, v50 clamp
	v_sub_i16 v19, v19, v43 clamp
	v_perm_b32 v19, v19, v44, s87
	v_dot4_i32_i8 v17, v18, v5, v17
	v_lshrrev_b32_e32 v18, v27, v48
	v_lshl_or_b32 v19, v19, 16, v20
	v_lshlrev_b32_e32 v18, 1, v18
	v_dot4_i32_i8 v17, v19, v31, v17
	v_and_or_b32 v18, v18, 30, 1
	v_mul_lo_u32 v17, v17, v18
	v_cvt_f32_f16_e32 v18, v45
	v_cvt_f32_i32_e32 v17, v17
	v_mul_f32_e32 v18, v6, v18
	v_fma_f32 v10, v18, v17, v10
.LBB253_20:                             ;   in Loop: Header=BB253_18 Depth=1
	v_mov_b32_e32 v17, s36
	v_add_u32_e32 v64, s47, v24
	v_mov_b32_e32 v18, s37
	v_mad_i64_i32 v[43:44], s[12:13], v64, s51, v[17:18]
	s_waitcnt vmcnt(11)
	v_and_b32_e32 v54, 0xff, v34
	v_lshrrev_b32_e32 v53, 16, v34
	v_add_co_u32_e32 v17, vcc, v43, v29
	v_addc_co_u32_e32 v18, vcc, 0, v44, vcc
	v_add_co_u32_e32 v19, vcc, v43, v25
	v_addc_co_u32_e32 v20, vcc, 0, v44, vcc
	global_load_dwordx2 v[45:46], v[17:18], off offset:2
	global_load_ubyte v51, v[19:20], off offset:66
	v_add_co_u32_e32 v47, vcc, v43, v28
	v_addc_co_u32_e32 v48, vcc, 0, v44, vcc
	v_lshlrev_b32_e32 v17, 21, v34
	v_add_co_u32_e32 v49, vcc, v43, v26
	v_lshl_or_b32 v55, v54, 7, v17
	v_addc_co_u32_e32 v50, vcc, 0, v44, vcc
	global_load_dword v19, v[47:48], off offset:74
	global_load_ubyte v18, v[49:50], off offset:106
	global_load_ushort v17, v[43:44], off
	v_and_b32_e32 v63, 0x1800180, v55
	v_cmp_ne_u16_sdwa s[82:83], v63, v13 src0_sel:BYTE_1 src1_sel:DWORD
	s_and_b64 vcc, exec, s[6:7]
	s_waitcnt vmcnt(4)
	v_and_b32_e32 v20, 0xff, v45
	s_waitcnt vmcnt(3)
	v_lshlrev_b32_e32 v43, 8, v51
	v_bfe_u32 v44, v45, 8, 8
	v_lshlrev_b32_e32 v47, 7, v51
	v_bfe_u32 v48, v45, 16, 8
	v_lshlrev_b32_e32 v49, 6, v51
	v_lshrrev_b32_e32 v45, 24, v45
	v_lshlrev_b32_e32 v50, 5, v51
	v_and_b32_e32 v52, 0xff, v46
	v_lshlrev_b32_e32 v56, 4, v51
	v_bfe_u32 v57, v46, 8, 8
	v_lshlrev_b32_e32 v58, 3, v51
	v_bfe_u32 v59, v46, 16, 8
	v_lshlrev_b32_e32 v60, 2, v51
	v_lshrrev_b32_e32 v46, 24, v46
	v_lshlrev_b32_e32 v51, 1, v51
	v_and_or_b32 v20, v43, s57, v20
	v_and_or_b32 v43, v47, s57, v44
	;; [unrolled: 1-line block ×8, first 2 shown]
	v_lshlrev_b32_e32 v50, 2, v20
	v_lshlrev_b32_e32 v51, 2, v43
	;; [unrolled: 1-line block ×8, first 2 shown]
	global_load_dword v52, v50, s[10:11]
	global_load_dword v49, v51, s[10:11]
	;; [unrolled: 1-line block ×8, first 2 shown]
	v_bfe_u32 v48, v55, 24, 1
	v_cmp_ne_u16_e64 s[28:29], 0, v48
	v_lshlrev_b32_e32 v48, 17, v34
	v_lshl_or_b32 v48, v54, 3, v48
	v_and_b32_e32 v62, 0x1800180, v48
	v_bfe_u32 v48, v48, 24, 1
	v_cmp_ne_u16_e64 s[26:27], 0, v48
	v_lshrrev_b32_e32 v48, 1, v34
	v_and_b32_e32 v61, 0x180, v48
	v_lshrrev_b32_e32 v48, 5, v34
	v_and_b32_e32 v60, 0x180, v48
	v_lshrrev_b32_e32 v48, 9, v34
	v_lshl_or_b32 v48, v53, 21, v48
	v_and_b32_e32 v59, 0x1800180, v48
	v_bfe_u32 v48, v48, 24, 1
	v_cmp_ne_u16_e64 s[24:25], 0, v48
	v_lshrrev_b32_e32 v48, 13, v34
	v_lshl_or_b32 v48, v53, 17, v48
	v_and_b32_e32 v58, 0x1800180, v48
	v_bfe_u32 v48, v48, 24, 1
	v_cmp_ne_u16_e64 s[22:23], 0, v48
	v_lshrrev_b32_e32 v48, 17, v34
	v_lshrrev_b32_e32 v50, 24, v34
	v_lshl_or_b32 v48, v50, 21, v48
	s_waitcnt vmcnt(10)
	v_and_b32_e32 v50, 0xff, v19
	v_lshlrev_b32_e32 v51, 21, v19
	v_lshl_or_b32 v51, v50, 7, v51
	v_and_b32_e32 v56, 0x1800180, v51
	v_bfe_u32 v51, v51, 24, 1
	v_cmp_ne_u16_e64 s[16:17], 0, v51
	v_lshlrev_b32_e32 v51, 17, v19
	v_lshl_or_b32 v50, v50, 3, v51
	v_and_b32_e32 v55, 0x1800180, v50
	v_bfe_u32 v50, v50, 24, 1
	v_and_b32_e32 v57, 0x1800180, v48
	v_bfe_u32 v48, v48, 24, 1
	v_cmp_ne_u16_e64 s[14:15], 0, v50
	v_lshrrev_b32_e32 v50, 1, v19
	v_cmp_ne_u16_e64 s[20:21], 0, v48
	v_lshrrev_b32_e32 v48, 31, v34
	v_and_b32_e32 v54, 0x180, v50
	v_lshrrev_b32_e32 v50, 5, v19
	v_cmp_ne_u16_e64 s[18:19], 0, v48
	v_lshrrev_b32_e32 v48, 16, v19
	v_and_b32_e32 v53, 0x180, v50
	v_lshrrev_b32_e32 v50, 9, v19
	v_lshl_or_b32 v50, v48, 21, v50
	v_and_b32_e32 v51, 0x1800180, v50
	v_bfe_u32 v50, v50, 24, 1
	v_cmp_ne_u16_e64 s[12:13], 0, v50
	v_lshrrev_b32_e32 v50, 13, v19
	v_lshl_or_b32 v48, v48, 17, v50
	v_and_b32_e32 v50, 0x1800180, v48
	v_bfe_u32 v48, v48, 24, 1
	v_cmp_ne_u16_e64 s[10:11], 0, v48
	v_lshrrev_b32_e32 v48, 17, v19
	v_lshrrev_b32_e32 v65, 24, v19
	v_lshl_or_b32 v65, v65, 21, v48
	v_and_b32_e32 v48, 0x1800180, v65
	v_bfe_u32 v65, v65, 24, 1
	v_cmp_ne_u16_e64 s[30:31], 0, v65
	v_lshrrev_b32_e32 v65, 31, v19
	v_cmp_ne_u16_sdwa s[80:81], v62, v13 src0_sel:BYTE_1 src1_sel:DWORD
	v_cmp_ne_u16_sdwa s[78:79], v61, v13 src0_sel:BYTE_1 src1_sel:DWORD
	;; [unrolled: 1-line block ×13, first 2 shown]
	v_cmp_ne_u16_e64 s[6:7], 0, v65
	s_cbranch_vccnz .LBB253_17
; %bb.21:                               ;   in Loop: Header=BB253_18 Depth=1
	v_mov_b32_e32 v66, s53
	v_mov_b32_e32 v65, s52
	v_mad_i64_i32 v[65:66], s[34:35], v64, s51, v[65:66]
	s_getpc_b64 s[84:85]
	s_add_u32 s84, s84, _ZL9iq3s_grid@rel32@lo+4
	s_addc_u32 s85, s85, _ZL9iq3s_grid@rel32@hi+12
	v_add_co_u32_e32 v67, vcc, v65, v29
	v_addc_co_u32_e32 v68, vcc, 0, v66, vcc
	v_add_co_u32_e32 v69, vcc, v65, v25
	v_addc_co_u32_e32 v70, vcc, 0, v66, vcc
	;; [unrolled: 2-line block ×3, first 2 shown]
	global_load_dword v64, v[71:72], off offset:74
	s_nop 0
	global_load_dwordx2 v[67:68], v[67:68], off offset:2
	s_nop 0
	global_load_ubyte v71, v[69:70], off offset:66
	v_add_co_u32_e32 v69, vcc, v65, v26
	v_addc_co_u32_e32 v70, vcc, 0, v66, vcc
	global_load_ushort v65, v[65:66], off
	s_waitcnt vmcnt(3)
	v_and_b32_e32 v75, 0xff, v64
	global_load_ubyte v66, v[69:70], off offset:106
	s_waitcnt vmcnt(3)
	v_and_b32_e32 v70, 0xff, v67
	s_waitcnt vmcnt(2)
	v_lshlrev_b32_e32 v72, 8, v71
	v_bfe_u32 v73, v67, 8, 8
	v_lshlrev_b32_e32 v74, 7, v71
	v_bfe_u32 v80, v67, 16, 8
	v_lshlrev_b32_e32 v81, 6, v71
	v_lshrrev_b32_e32 v67, 24, v67
	v_lshlrev_b32_e32 v82, 5, v71
	v_and_or_b32 v70, v72, s57, v70
	v_and_or_b32 v72, v74, s57, v73
	;; [unrolled: 1-line block ×4, first 2 shown]
	v_lshlrev_b32_e32 v70, 2, v70
	v_lshlrev_b32_e32 v72, 2, v72
	;; [unrolled: 1-line block ×4, first 2 shown]
	global_load_dword v70, v70, s[84:85]
	s_nop 0
	global_load_dword v72, v72, s[84:85]
	s_nop 0
	global_load_dword v73, v73, s[84:85]
	s_nop 0
	global_load_dword v67, v67, s[84:85]
	v_lshlrev_b32_e32 v76, 21, v64
	v_lshlrev_b32_e32 v78, 17, v64
	v_lshrrev_b32_e32 v79, 6, v64
	v_lshrrev_b32_e32 v83, 1, v64
	;; [unrolled: 1-line block ×4, first 2 shown]
	v_and_b32_e32 v89, 0xff, v68
	v_lshlrev_b32_e32 v90, 4, v71
	v_bfe_u32 v91, v68, 8, 8
	v_lshlrev_b32_e32 v92, 3, v71
	v_bfe_u32 v74, v68, 16, 8
	v_lshlrev_b32_e32 v80, 2, v71
	v_lshrrev_b32_e32 v68, 24, v68
	v_lshlrev_b32_e32 v71, 1, v71
	v_lshrrev_b32_e32 v85, 10, v64
	v_lshrrev_b32_e32 v87, 15, v64
	v_lshl_or_b32 v76, v75, 7, v76
	v_lshl_or_b32 v75, v75, 3, v78
	v_bfe_i32 v78, v79, 0, 1
	v_and_b32_e32 v79, 0x180, v83
	v_bfe_i32 v81, v84, 0, 1
	v_and_b32_e32 v83, 0x180, v86
	v_and_or_b32 v86, v90, s57, v89
	v_and_or_b32 v74, v80, s57, v74
	v_and_or_b32 v68, v71, s57, v68
	v_bfe_i32 v82, v85, 0, 1
	v_bfe_i32 v84, v87, 0, 1
	v_and_or_b32 v87, v92, s57, v91
	v_and_b32_e32 v71, 0x1800180, v76
	v_bfe_u32 v76, v76, 24, 1
	v_lshrrev_b16_e32 v90, 7, v79
	v_cmp_ne_u16_sdwa s[34:35], v79, v13 src0_sel:BYTE_1 src1_sel:DWORD
	v_lshlrev_b16_e32 v79, 8, v81
	v_lshlrev_b32_e32 v86, 2, v86
	v_lshlrev_b32_e32 v74, 2, v74
	;; [unrolled: 1-line block ×3, first 2 shown]
	v_lshrrev_b16_e32 v81, 7, v83
	v_cmp_ne_u16_sdwa s[88:89], v83, v13 src0_sel:BYTE_1 src1_sel:DWORD
	v_lshlrev_b16_e32 v83, 8, v84
	v_lshlrev_b16_e32 v84, 8, v82
	v_lshlrev_b32_e32 v87, 2, v87
	v_cmp_ne_u16_e32 vcc, 0, v76
	v_or_b32_sdwa v76, v82, v79 dst_sel:WORD_1 dst_unused:UNUSED_PAD src0_sel:BYTE_0 src1_sel:DWORD
	global_load_dword v82, v86, s[84:85]
	s_nop 0
	global_load_dword v86, v87, s[84:85]
	s_nop 0
	;; [unrolled: 2-line block ×3, first 2 shown]
	global_load_dword v68, v68, s[84:85]
	v_and_b32_e32 v80, 0x1800180, v75
	v_bfe_u32 v75, v75, 24, 1
	v_cndmask_b32_e64 v92, 0, -1, s[88:89]
	v_cmp_ne_u16_sdwa s[88:89], v71, v13 src0_sel:BYTE_1 src1_sel:DWORD
	v_lshrrev_b32_e32 v77, 2, v64
	v_cndmask_b32_e64 v91, 0, -1, s[34:35]
	v_lshrrev_b16_e32 v93, 7, v71
	v_cmp_ne_u16_sdwa s[90:91], v80, v13 src0_sel:BYTE_1 src1_sel:DWORD
	v_cmp_ne_u16_e64 s[34:35], 0, v75
	v_bfe_i32 v75, v90, 0, 1
	v_cndmask_b32_e64 v87, 0, -1, s[88:89]
	v_cndmask_b32_e64 v90, 0, -1, vcc
	v_lshrrev_b32_e32 v88, 14, v64
	v_bfe_i32 v77, v77, 0, 1
	v_lshrrev_b16_e32 v71, 7, v80
	v_cndmask_b32_e64 v94, 0, -1, s[90:91]
	v_cndmask_b32_e64 v95, 0, -1, s[34:35]
	v_bfe_i32 v93, v93, 0, 1
	v_lshlrev_b16_e32 v87, 8, v87
	v_lshlrev_b16_e32 v90, 8, v90
	v_bfe_i32 v85, v88, 0, 1
	v_lshlrev_b16_e32 v88, 8, v77
	v_bfe_i32 v80, v81, 0, 1
	v_lshlrev_b16_e32 v91, 8, v91
	v_lshlrev_b16_e32 v92, 8, v92
	v_bfe_i32 v71, v71, 0, 1
	v_lshlrev_b16_e32 v94, 8, v94
	v_lshlrev_b16_e32 v95, 8, v95
	;; [unrolled: 1-line block ×3, first 2 shown]
	v_or_b32_sdwa v93, v93, v87 dst_sel:DWORD dst_unused:UNUSED_PAD src0_sel:BYTE_0 src1_sel:DWORD
	v_or_b32_sdwa v77, v77, v90 dst_sel:WORD_1 dst_unused:UNUSED_PAD src0_sel:BYTE_0 src1_sel:DWORD
	v_lshlrev_b16_e32 v89, 8, v78
	v_or_b32_sdwa v81, v85, v83 dst_sel:WORD_1 dst_unused:UNUSED_PAD src0_sel:BYTE_0 src1_sel:DWORD
	v_lshlrev_b16_e32 v96, 8, v75
	v_or_b32_sdwa v75, v75, v91 dst_sel:DWORD dst_unused:UNUSED_PAD src0_sel:BYTE_0 src1_sel:DWORD
	v_or_b32_sdwa v97, v80, v92 dst_sel:DWORD dst_unused:UNUSED_PAD src0_sel:BYTE_0 src1_sel:DWORD
	v_lshlrev_b16_e32 v99, 8, v71
	v_or_b32_sdwa v71, v71, v94 dst_sel:DWORD dst_unused:UNUSED_PAD src0_sel:BYTE_0 src1_sel:DWORD
	v_or_b32_sdwa v78, v78, v95 dst_sel:WORD_1 dst_unused:UNUSED_PAD src0_sel:BYTE_0 src1_sel:DWORD
	v_or_b32_sdwa v77, v93, v77 dst_sel:DWORD dst_unused:UNUSED_PAD src0_sel:WORD_0 src1_sel:DWORD
	v_or_b32_sdwa v75, v75, v76 dst_sel:DWORD dst_unused:UNUSED_PAD src0_sel:WORD_0 src1_sel:DWORD
	;; [unrolled: 1-line block ×4, first 2 shown]
	s_waitcnt vmcnt(7)
	v_xor_b32_e32 v70, v70, v77
	s_waitcnt vmcnt(6)
	v_xor_b32_e32 v71, v72, v71
	;; [unrolled: 2-line block ×4, first 2 shown]
	v_and_b32_e32 v73, 0xffffff00, v70
	v_lshlrev_b16_e32 v75, 8, v70
	v_and_b32_sdwa v76, v70, s86 dst_sel:DWORD dst_unused:UNUSED_PAD src0_sel:WORD_1 src1_sel:DWORD
	v_lshlrev_b16_sdwa v70, v30, v70 dst_sel:DWORD dst_unused:UNUSED_PAD src0_sel:DWORD src1_sel:WORD_1
	v_and_b32_e32 v77, 0xffffff00, v71
	v_lshlrev_b16_e32 v78, 8, v71
	v_and_b32_sdwa v81, v71, s86 dst_sel:DWORD dst_unused:UNUSED_PAD src0_sel:WORD_1 src1_sel:DWORD
	v_lshlrev_b16_sdwa v71, v30, v71 dst_sel:DWORD dst_unused:UNUSED_PAD src0_sel:DWORD src1_sel:WORD_1
	v_sub_i16 v73, v73, v87 clamp
	v_sub_i16 v75, v75, v98 clamp
	v_sub_i16 v76, v76, v90 clamp
	v_sub_i16 v70, v70, v88 clamp
	v_sub_i16 v77, v77, v94 clamp
	v_sub_i16 v78, v78, v99 clamp
	v_sub_i16 v81, v81, v95 clamp
	v_sub_i16 v71, v71, v89 clamp
	v_perm_b32 v73, v75, v73, s87
	v_perm_b32 v70, v70, v76, s87
	v_perm_b32 v75, v78, v77, s87
	v_perm_b32 v71, v71, v81, s87
	v_lshl_or_b32 v70, v70, 16, v73
	v_and_b32_e32 v101, 0xffffff00, v67
	v_lshl_or_b32 v71, v71, 16, v75
	v_dot4_i32_i8 v70, v70, v7, 0
	v_lshlrev_b16_e32 v73, 8, v67
	v_lshlrev_b16_e32 v75, 8, v80
	v_and_b32_e32 v93, 0xffffff00, v72
	v_lshlrev_b16_e32 v97, 8, v72
	v_and_b32_sdwa v100, v72, s86 dst_sel:DWORD dst_unused:UNUSED_PAD src0_sel:WORD_1 src1_sel:DWORD
	v_lshlrev_b16_sdwa v72, v30, v72 dst_sel:DWORD dst_unused:UNUSED_PAD src0_sel:DWORD src1_sel:WORD_1
	v_dot4_i32_i8 v70, v71, v8, v70
	v_sub_i16 v71, v101, v92 clamp
	v_sub_i16 v73, v73, v75 clamp
	;; [unrolled: 1-line block ×6, first 2 shown]
	v_perm_b32 v71, v73, v71, s87
	v_and_b32_sdwa v73, v67, s86 dst_sel:DWORD dst_unused:UNUSED_PAD src0_sel:WORD_1 src1_sel:DWORD
	v_lshlrev_b16_sdwa v67, v30, v67 dst_sel:DWORD dst_unused:UNUSED_PAD src0_sel:DWORD src1_sel:WORD_1
	v_lshlrev_b16_e32 v75, 8, v85
	v_perm_b32 v76, v88, v87, s87
	v_perm_b32 v72, v72, v79, s87
	v_sub_i16 v73, v73, v83 clamp
	v_sub_i16 v67, v67, v75 clamp
	v_lshl_or_b32 v72, v72, 16, v76
	v_perm_b32 v67, v67, v73, s87
	v_lshl_or_b32 v67, v67, 16, v71
	v_dot4_i32_i8 v70, v72, v9, v70
	v_lshrrev_b32_e32 v69, 16, v64
	v_dot4_i32_i8 v67, v67, v2, v70
	v_lshrrev_b32_e32 v70, 9, v64
	v_lshl_or_b32 v70, v69, 21, v70
	v_and_b32_e32 v71, 0x1800180, v70
	v_bfe_u32 v70, v70, 24, 1
	v_cmp_ne_u16_sdwa s[34:35], v71, v13 src0_sel:BYTE_1 src1_sel:DWORD
	v_cmp_ne_u16_e32 vcc, 0, v70
	v_lshrrev_b16_e32 v72, 7, v71
	v_lshrrev_b32_e32 v73, 18, v64
	v_cndmask_b32_e64 v71, 0, -1, s[34:35]
	v_cndmask_b32_e64 v70, 0, -1, vcc
	v_bfe_i32 v72, v72, 0, 1
	v_lshlrev_b16_e32 v71, 8, v71
	v_lshlrev_b16_e32 v70, 8, v70
	v_bfe_i32 v73, v73, 0, 1
	v_or_b32_sdwa v75, v72, v71 dst_sel:DWORD dst_unused:UNUSED_PAD src0_sel:BYTE_0 src1_sel:DWORD
	v_or_b32_sdwa v76, v73, v70 dst_sel:WORD_1 dst_unused:UNUSED_PAD src0_sel:BYTE_0 src1_sel:DWORD
	v_or_b32_sdwa v75, v75, v76 dst_sel:DWORD dst_unused:UNUSED_PAD src0_sel:WORD_0 src1_sel:DWORD
	v_lshrrev_b32_e32 v76, 13, v64
	v_lshl_or_b32 v69, v69, 17, v76
	v_and_b32_e32 v76, 0x1800180, v69
	v_bfe_u32 v69, v69, 24, 1
	v_cmp_ne_u16_sdwa s[34:35], v76, v13 src0_sel:BYTE_1 src1_sel:DWORD
	v_cmp_ne_u16_e32 vcc, 0, v69
	v_lshrrev_b16_e32 v77, 7, v76
	v_lshrrev_b32_e32 v78, 22, v64
	v_cndmask_b32_e64 v76, 0, -1, s[34:35]
	v_cndmask_b32_e64 v69, 0, -1, vcc
	v_bfe_i32 v77, v77, 0, 1
	v_lshlrev_b16_e32 v76, 8, v76
	v_lshlrev_b16_e32 v69, 8, v69
	v_bfe_i32 v78, v78, 0, 1
	v_or_b32_sdwa v79, v77, v76 dst_sel:DWORD dst_unused:UNUSED_PAD src0_sel:BYTE_0 src1_sel:DWORD
	v_or_b32_sdwa v80, v78, v69 dst_sel:WORD_1 dst_unused:UNUSED_PAD src0_sel:BYTE_0 src1_sel:DWORD
	s_waitcnt vmcnt(3)
	v_xor_b32_e32 v75, v82, v75
	v_or_b32_sdwa v79, v79, v80 dst_sel:DWORD dst_unused:UNUSED_PAD src0_sel:WORD_0 src1_sel:DWORD
	v_and_b32_e32 v80, 0xffffff00, v75
	v_sub_i16 v71, v80, v71 clamp
	v_lshlrev_b16_e32 v80, 8, v75
	v_lshlrev_b16_e32 v72, 8, v72
	v_sub_i16 v72, v80, v72 clamp
	v_perm_b32 v71, v72, v71, s87
	v_and_b32_sdwa v72, v75, s86 dst_sel:DWORD dst_unused:UNUSED_PAD src0_sel:WORD_1 src1_sel:DWORD
	v_sub_i16 v70, v72, v70 clamp
	v_lshlrev_b16_sdwa v72, v30, v75 dst_sel:DWORD dst_unused:UNUSED_PAD src0_sel:DWORD src1_sel:WORD_1
	v_lshlrev_b16_e32 v73, 8, v73
	v_sub_i16 v72, v72, v73 clamp
	v_perm_b32 v70, v72, v70, s87
	v_lshl_or_b32 v70, v70, 16, v71
	s_waitcnt vmcnt(2)
	v_xor_b32_e32 v71, v86, v79
	v_and_b32_e32 v72, 0xffffff00, v71
	v_lshlrev_b16_e32 v73, 8, v71
	v_lshlrev_b16_e32 v75, 8, v77
	v_sub_i16 v72, v72, v76 clamp
	v_sub_i16 v73, v73, v75 clamp
	v_perm_b32 v72, v73, v72, s87
	v_and_b32_sdwa v73, v71, s86 dst_sel:DWORD dst_unused:UNUSED_PAD src0_sel:WORD_1 src1_sel:DWORD
	v_sub_i16 v69, v73, v69 clamp
	v_lshlrev_b16_sdwa v71, v30, v71 dst_sel:DWORD dst_unused:UNUSED_PAD src0_sel:DWORD src1_sel:WORD_1
	v_lshlrev_b16_e32 v73, 8, v78
	v_sub_i16 v71, v71, v73 clamp
	v_perm_b32 v69, v71, v69, s87
	v_lshl_or_b32 v69, v69, 16, v72
	v_dot4_i32_i8 v67, v70, v3, v67
	v_dot4_i32_i8 v67, v69, v4, v67
	v_lshrrev_b32_e32 v69, 17, v64
	v_lshrrev_b32_e32 v70, 24, v64
	v_lshl_or_b32 v69, v70, 21, v69
	v_and_b32_e32 v70, 0x1800180, v69
	v_bfe_u32 v69, v69, 24, 1
	v_cmp_ne_u16_sdwa s[34:35], v70, v13 src0_sel:BYTE_1 src1_sel:DWORD
	v_cmp_ne_u16_e32 vcc, 0, v69
	v_lshrrev_b16_e32 v71, 7, v70
	v_lshrrev_b32_e32 v72, 26, v64
	v_cndmask_b32_e64 v70, 0, -1, s[34:35]
	v_cndmask_b32_e64 v69, 0, -1, vcc
	v_bfe_i32 v71, v71, 0, 1
	v_lshlrev_b16_e32 v70, 8, v70
	v_lshlrev_b16_e32 v69, 8, v69
	v_bfe_i32 v72, v72, 0, 1
	v_or_b32_sdwa v73, v71, v70 dst_sel:DWORD dst_unused:UNUSED_PAD src0_sel:BYTE_0 src1_sel:DWORD
	v_or_b32_sdwa v75, v72, v69 dst_sel:WORD_1 dst_unused:UNUSED_PAD src0_sel:BYTE_0 src1_sel:DWORD
	v_or_b32_sdwa v73, v73, v75 dst_sel:DWORD dst_unused:UNUSED_PAD src0_sel:WORD_0 src1_sel:DWORD
	s_waitcnt vmcnt(1)
	v_xor_b32_e32 v73, v74, v73
	v_lshrrev_b32_e32 v75, 21, v64
	v_lshrrev_b32_e32 v77, 31, v64
	v_and_b32_e32 v74, 0xffffff00, v73
	v_lshrrev_b16_e32 v76, 8, v75
	v_cmp_ne_u16_e32 vcc, 0, v77
	v_sub_i16 v70, v74, v70 clamp
	v_lshlrev_b16_e32 v74, 8, v73
	v_lshlrev_b16_e32 v71, 8, v71
	v_lshrrev_b32_e32 v64, 30, v64
	v_lshrrev_b16_e32 v75, 7, v75
	v_bfe_i32 v76, v76, 0, 1
	v_cndmask_b32_e64 v77, 0, -1, vcc
	v_sub_i16 v71, v74, v71 clamp
	v_lshlrev_b16_e32 v76, 8, v76
	v_bfe_i32 v75, v75, 0, 1
	v_bfe_i32 v64, v64, 0, 1
	v_lshlrev_b16_e32 v77, 8, v77
	v_perm_b32 v70, v71, v70, s87
	v_and_b32_sdwa v71, v73, s86 dst_sel:DWORD dst_unused:UNUSED_PAD src0_sel:WORD_1 src1_sel:DWORD
	v_or_b32_sdwa v78, v75, v76 dst_sel:DWORD dst_unused:UNUSED_PAD src0_sel:BYTE_0 src1_sel:DWORD
	v_or_b32_sdwa v79, v64, v77 dst_sel:WORD_1 dst_unused:UNUSED_PAD src0_sel:BYTE_0 src1_sel:DWORD
	v_sub_i16 v69, v71, v69 clamp
	v_lshlrev_b16_sdwa v71, v30, v73 dst_sel:DWORD dst_unused:UNUSED_PAD src0_sel:DWORD src1_sel:WORD_1
	v_lshlrev_b16_e32 v72, 8, v72
	v_or_b32_sdwa v78, v78, v79 dst_sel:DWORD dst_unused:UNUSED_PAD src0_sel:WORD_0 src1_sel:DWORD
	v_sub_i16 v71, v71, v72 clamp
	v_perm_b32 v69, v71, v69, s87
	s_waitcnt vmcnt(0)
	v_xor_b32_e32 v68, v68, v78
	v_lshl_or_b32 v69, v69, 16, v70
	v_and_b32_e32 v70, 0xffffff00, v68
	v_lshlrev_b16_e32 v71, 8, v68
	v_lshlrev_b16_e32 v72, 8, v75
	v_sub_i16 v70, v70, v76 clamp
	v_sub_i16 v71, v71, v72 clamp
	v_perm_b32 v70, v71, v70, s87
	v_and_b32_sdwa v71, v68, s86 dst_sel:DWORD dst_unused:UNUSED_PAD src0_sel:WORD_1 src1_sel:DWORD
	v_lshlrev_b16_sdwa v68, v30, v68 dst_sel:DWORD dst_unused:UNUSED_PAD src0_sel:DWORD src1_sel:WORD_1
	v_lshlrev_b16_e32 v64, 8, v64
	v_sub_i16 v71, v71, v77 clamp
	v_sub_i16 v64, v68, v64 clamp
	v_perm_b32 v64, v64, v71, s87
	v_lshrrev_b32_e32 v66, v27, v66
	v_lshl_or_b32 v64, v64, 16, v70
	v_dot4_i32_i8 v67, v69, v5, v67
	v_lshlrev_b32_e32 v66, 1, v66
	v_dot4_i32_i8 v64, v64, v31, v67
	v_and_or_b32 v66, v66, 30, 1
	v_mul_lo_u32 v64, v64, v66
	v_cvt_f32_f16_e32 v65, v65
	v_cvt_f32_i32_e32 v64, v64
	v_mul_f32_e32 v65, v6, v65
	v_fma_f32 v11, v65, v64, v11
	s_branch .LBB253_17
.LBB253_22:
	s_or_b64 exec, exec, s[38:39]
.LBB253_23:
	s_or_b64 exec, exec, s[54:55]
	s_load_dword s14, s[4:5], 0x30
	v_cmp_eq_u32_e64 s[6:7], 0, v1
	v_cmp_ne_u32_e32 vcc, 0, v1
	v_lshlrev_b32_e32 v2, 2, v0
	s_and_saveexec_b64 s[10:11], vcc
	s_cbranch_execz .LBB253_28
; %bb.24:
	v_lshl_or_b32 v1, v1, 9, v2
	v_add_u32_e32 v3, 0xfffffe00, v1
	s_mov_b64 s[12:13], -1
	s_and_b64 vcc, exec, s[58:59]
	ds_write_b32 v3, v14
	s_cbranch_vccz .LBB253_26
; %bb.25:
	ds_write_b32 v3, v12 offset:256
	s_mov_b64 s[12:13], 0
.LBB253_26:
	s_andn2_b64 vcc, exec, s[12:13]
	s_cbranch_vccnz .LBB253_28
; %bb.27:
	ds_write_b32 v3, v12 offset:256
	ds_write2st64_b32 v1, v10, v11 offset1:1
.LBB253_28:
	s_or_b64 exec, exec, s[10:11]
	s_waitcnt vmcnt(0) lgkmcnt(0)
	s_barrier
	s_and_saveexec_b64 s[10:11], s[6:7]
	s_cbranch_execz .LBB253_61
; %bb.29:
	ds_read_b32 v4, v2
	v_cndmask_b32_e64 v1, 0, 1, s[42:43]
	v_cmp_ne_u32_e64 s[6:7], 1, v1
	s_andn2_b64 vcc, exec, s[42:43]
	v_or_b32_e32 v3, 0x200, v2
	s_cbranch_vccnz .LBB253_31
; %bb.30:
	ds_read_b32 v1, v3
	s_waitcnt lgkmcnt(0)
	v_add_f32_e32 v10, v10, v1
.LBB253_31:
	v_mbcnt_lo_u32_b32 v1, -1, 0
	v_mbcnt_hi_u32_b32 v5, -1, v1
	v_and_b32_e32 v1, 64, v5
	v_add_u32_e32 v13, 64, v1
	v_xor_b32_e32 v1, 32, v5
	v_cmp_lt_i32_e32 vcc, v1, v13
	v_cndmask_b32_e32 v1, v5, v1, vcc
	v_lshlrev_b32_e32 v1, 2, v1
	s_waitcnt lgkmcnt(0)
	v_add_f32_e32 v4, v14, v4
	ds_bpermute_b32 v7, v1, v4
	v_xor_b32_e32 v6, 16, v5
	v_cmp_lt_i32_e32 vcc, v6, v13
	v_cndmask_b32_e32 v6, v5, v6, vcc
	v_lshlrev_b32_e32 v6, 2, v6
	s_waitcnt lgkmcnt(0)
	v_add_f32_e32 v4, v4, v7
	ds_bpermute_b32 v8, v6, v4
	;; [unrolled: 7-line block ×6, first 2 shown]
	s_and_b64 vcc, exec, s[6:7]
	s_cbranch_vccnz .LBB253_33
; %bb.32:
	ds_bpermute_b32 v14, v1, v10
	s_waitcnt lgkmcnt(0)
	v_add_f32_e32 v10, v10, v14
	ds_bpermute_b32 v14, v6, v10
	s_waitcnt lgkmcnt(0)
	v_add_f32_e32 v10, v10, v14
	;; [unrolled: 3-line block ×6, first 2 shown]
.LBB253_33:
	ds_read_b32 v14, v2 offset:256
	s_and_b64 vcc, exec, s[6:7]
	s_cbranch_vccnz .LBB253_35
; %bb.34:
	ds_read_b32 v3, v3 offset:256
	s_waitcnt lgkmcnt(0)
	v_add_f32_e32 v11, v11, v3
.LBB253_35:
	s_waitcnt lgkmcnt(0)
	v_add_f32_e32 v3, v12, v14
	ds_bpermute_b32 v12, v1, v3
	s_and_b64 vcc, exec, s[6:7]
	s_waitcnt lgkmcnt(0)
	v_add_f32_e32 v3, v3, v12
	ds_bpermute_b32 v12, v6, v3
	s_waitcnt lgkmcnt(0)
	v_add_f32_e32 v3, v3, v12
	ds_bpermute_b32 v12, v7, v3
	;; [unrolled: 3-line block ×5, first 2 shown]
	s_cbranch_vccnz .LBB253_37
; %bb.36:
	ds_bpermute_b32 v1, v1, v11
	s_waitcnt lgkmcnt(0)
	v_add_f32_e32 v1, v11, v1
	ds_bpermute_b32 v6, v6, v1
	s_waitcnt lgkmcnt(0)
	v_add_f32_e32 v1, v1, v6
	;; [unrolled: 3-line block ×6, first 2 shown]
.LBB253_37:
	v_cmp_gt_u32_e32 vcc, s9, v21
	v_cmp_gt_u32_e64 s[10:11], 2, v0
	s_and_b64 s[10:11], s[10:11], vcc
	s_and_b64 exec, exec, s[10:11]
	s_cbranch_execz .LBB253_61
; %bb.38:
	v_add_f32_e32 v1, v4, v5
	s_waitcnt lgkmcnt(0)
	v_add_f32_e32 v3, v3, v12
	v_cmp_eq_u32_e64 s[10:11], 1, v0
	v_cndmask_b32_e64 v0, v1, v3, s[10:11]
	v_add_f32_e32 v1, v23, v0
	s_and_b64 vcc, exec, s[6:7]
	v_cndmask_b32_e64 v0, v1, v0, s[0:1]
	s_cbranch_vccnz .LBB253_60
; %bb.39:
	v_cndmask_b32_e64 v1, v10, v11, s[10:11]
	v_add_f32_e32 v3, v22, v1
	v_cndmask_b32_e64 v1, v1, v3, s[2:3]
	s_cmp_lt_i32 s14, 2
	s_mov_b64 s[0:1], 0
	s_cbranch_scc1 .LBB253_43
; %bb.40:
	s_cmp_gt_i32 s14, 2
	s_cbranch_scc0 .LBB253_44
; %bb.41:
	s_cmp_eq_u32 s14, 3
	s_cbranch_scc0 .LBB253_45
; %bb.42:
	v_max_f32_e32 v3, v1, v1
	v_min_f32_e32 v3, 0x40e00000, v3
	v_mul_f32_e32 v4, 0xbfd9db23, v3
	s_mov_b32 s2, 0x3fb8aa3b
	v_mul_f32_e32 v5, 0x3fb8aa3b, v4
	v_fma_f32 v6, v4, s2, -v5
	v_rndne_f32_e32 v7, v5
	v_fmac_f32_e32 v6, 0x32a5705f, v4
	v_sub_f32_e32 v5, v5, v7
	v_add_f32_e32 v5, v5, v6
	v_exp_f32_e32 v5, v5
	v_cvt_i32_f32_e32 v6, v7
	s_mov_b32 s2, 0xc2ce8ed0
	v_cmp_ngt_f32_e32 vcc, s2, v4
	s_mov_b32 s2, 0x42b17218
	v_ldexp_f32 v5, v5, v6
	v_cndmask_b32_e32 v5, 0, v5, vcc
	v_mov_b32_e32 v6, 0x7f800000
	v_cmp_nlt_f32_e32 vcc, s2, v4
	v_cndmask_b32_e32 v4, v6, v5, vcc
	v_add_f32_e32 v4, 1.0, v4
	v_div_scale_f32 v5, s[2:3], v4, v4, v3
	v_div_scale_f32 v6, vcc, v3, v4, v3
	s_mov_b64 s[2:3], 0
	v_rcp_f32_e32 v7, v5
	v_fma_f32 v8, -v5, v7, 1.0
	v_fmac_f32_e32 v7, v8, v7
	v_mul_f32_e32 v8, v6, v7
	v_fma_f32 v9, -v5, v8, v6
	v_fmac_f32_e32 v8, v9, v7
	v_fma_f32 v5, -v5, v8, v6
	v_div_fmas_f32 v5, v5, v7, v8
	v_max_f32_e32 v6, v0, v0
	v_min_f32_e32 v6, 0x40e00000, v6
	v_max_f32_e32 v6, 0xc0e00000, v6
	v_add_f32_e32 v6, 1.0, v6
	v_div_fixup_f32 v3, v5, v4, v3
	v_mul_f32_e32 v3, v6, v3
	s_branch .LBB253_46
.LBB253_43:
                                        ; implicit-def: $vgpr3
	s_mov_b64 s[2:3], 0
	s_cbranch_execnz .LBB253_50
	s_branch .LBB253_51
.LBB253_44:
	s_mov_b64 s[6:7], -1
	s_mov_b64 s[2:3], 0
                                        ; implicit-def: $vgpr3
	s_branch .LBB253_47
.LBB253_45:
	s_mov_b64 s[2:3], -1
                                        ; implicit-def: $vgpr3
.LBB253_46:
	s_mov_b64 s[6:7], 0
.LBB253_47:
	s_and_b64 vcc, exec, s[6:7]
	s_cbranch_vccz .LBB253_49
; %bb.48:
	v_mul_f32_e32 v3, 0xbfb8aa3b, v1
	s_mov_b32 s6, 0xbfb8aa3b
	v_rndne_f32_e32 v4, v3
	v_sub_f32_e32 v5, v3, v4
	v_fma_f32 v3, v1, s6, -v3
	v_fmac_f32_e32 v3, 0xb2a5705f, v1
	v_add_f32_e32 v3, v5, v3
	v_exp_f32_e32 v3, v3
	v_cvt_i32_f32_e32 v4, v4
	s_mov_b32 s6, 0x42ce8ed0
	v_cmp_nlt_f32_e32 vcc, s6, v1
	s_mov_b32 s6, 0xc2b17218
	v_ldexp_f32 v3, v3, v4
	v_cndmask_b32_e32 v3, 0, v3, vcc
	v_mov_b32_e32 v4, 0x7f800000
	v_cmp_ngt_f32_e32 vcc, s6, v1
	v_cndmask_b32_e32 v3, v4, v3, vcc
	v_add_f32_e32 v3, 1.0, v3
	v_div_scale_f32 v4, s[6:7], v3, v3, v1
	v_div_scale_f32 v5, vcc, v1, v3, v1
	v_rcp_f32_e32 v6, v4
	v_fma_f32 v7, -v4, v6, 1.0
	v_fmac_f32_e32 v6, v7, v6
	v_mul_f32_e32 v7, v5, v6
	v_fma_f32 v8, -v4, v7, v5
	v_fmac_f32_e32 v7, v8, v6
	v_fma_f32 v4, -v4, v7, v5
	v_div_fmas_f32 v4, v4, v6, v7
	v_div_fixup_f32 v3, v4, v3, v1
	v_mul_f32_e32 v3, v0, v3
.LBB253_49:
	s_branch .LBB253_51
.LBB253_50:
	s_cmp_lg_u32 s14, 1
	s_mov_b64 s[0:1], -1
	s_cselect_b64 s[2:3], -1, 0
.LBB253_51:
	s_andn2_b64 vcc, exec, s[2:3]
	s_cbranch_vccz .LBB253_53
; %bb.52:
	s_andn2_b64 vcc, exec, s[0:1]
	s_cbranch_vccz .LBB253_54
	s_branch .LBB253_59
.LBB253_53:
	v_mul_f32_e32 v3, v1, v0
	s_cbranch_execnz .LBB253_59
.LBB253_54:
	v_mul_f32_e32 v4, 0x3d372713, v1
	v_mul_f32_e32 v3, 0x3f4c422a, v1
	v_fma_f32 v4, v1, v4, 1.0
	v_mul_f32_e32 v3, v3, v4
	s_mov_b32 s0, 0x3f200000
	v_cmp_nlt_f32_e64 s[0:1], |v3|, s0
                                        ; implicit-def: $vgpr4
	s_and_saveexec_b64 s[2:3], s[0:1]
	s_xor_b64 s[0:1], exec, s[2:3]
	s_cbranch_execz .LBB253_56
; %bb.55:
	v_add_f32_e64 v4, |v3|, |v3|
	v_mul_f32_e32 v5, 0x3fb8aa3b, v4
	s_mov_b32 s2, 0x3fb8aa3b
	v_rndne_f32_e32 v6, v5
	v_sub_f32_e32 v7, v5, v6
	v_fma_f32 v5, v4, s2, -v5
	v_fmac_f32_e32 v5, 0x32a5705f, v4
	v_add_f32_e32 v5, v7, v5
	v_exp_f32_e32 v5, v5
	v_cvt_i32_f32_e32 v6, v6
	s_mov_b32 s2, 0xc2ce8ed0
	v_cmp_ngt_f32_e32 vcc, s2, v4
	s_mov_b32 s2, 0x42b17218
	v_ldexp_f32 v5, v5, v6
	v_cndmask_b32_e32 v5, 0, v5, vcc
	v_mov_b32_e32 v6, 0x7f800000
	v_cmp_nlt_f32_e32 vcc, s2, v4
	v_cndmask_b32_e32 v4, v6, v5, vcc
	v_add_f32_e32 v4, 1.0, v4
	v_rcp_f32_e32 v4, v4
	v_fma_f32 v4, v4, -2.0, 1.0
.LBB253_56:
	s_andn2_saveexec_b64 s[0:1], s[0:1]
	s_cbranch_execz .LBB253_58
; %bb.57:
	v_mul_f32_e32 v4, v3, v3
	v_mov_b32_e32 v5, 0x3ca908c9
	v_fmac_f32_e32 v5, 0xbbbac73d, v4
	v_mov_b32_e32 v6, 0xbd5c1c4e
	v_fmac_f32_e32 v6, v4, v5
	;; [unrolled: 2-line block ×4, first 2 shown]
	v_mul_f32_e64 v5, |v3|, v6
	v_fma_f32 v4, v4, v5, |v3|
.LBB253_58:
	s_or_b64 exec, exec, s[0:1]
	s_brev_b32 s0, -2
	v_bfi_b32 v3, s0, v4, v3
	v_mul_f32_e32 v1, 0.5, v1
	v_add_f32_e32 v3, 1.0, v3
	v_mul_f32_e32 v1, v1, v3
	v_mul_f32_e32 v3, v0, v1
.LBB253_59:
	v_mov_b32_e32 v0, v3
.LBB253_60:
	s_load_dwordx2 s[0:1], s[4:5], 0x38
	s_mul_i32 s3, s46, s56
	s_mul_i32 s2, s50, s8
	s_add_i32 s3, s3, s40
	s_add_i32 s2, s3, s2
	s_mov_b32 s3, 0
	s_lshl_b64 s[2:3], s[2:3], 2
	s_waitcnt lgkmcnt(0)
	s_add_u32 s0, s0, s2
	s_addc_u32 s1, s1, s3
	global_store_dword v2, v0, s[0:1]
.LBB253_61:
	s_endpgm
	.section	.rodata,"a",@progbits
	.p2align	6, 0x0
	.amdhsa_kernel _ZL13mul_mat_vec_qIL9ggml_type21ELi1ELb1ELb1EEvPKvS2_PKi31ggml_cuda_mm_fusion_args_devicePfj15HIP_vector_typeIjLj3EEjjjS8_jjjS8_jjjj
		.amdhsa_group_segment_fixed_size 1024
		.amdhsa_private_segment_fixed_size 0
		.amdhsa_kernarg_size 144
		.amdhsa_user_sgpr_count 6
		.amdhsa_user_sgpr_private_segment_buffer 1
		.amdhsa_user_sgpr_dispatch_ptr 0
		.amdhsa_user_sgpr_queue_ptr 0
		.amdhsa_user_sgpr_kernarg_segment_ptr 1
		.amdhsa_user_sgpr_dispatch_id 0
		.amdhsa_user_sgpr_flat_scratch_init 0
		.amdhsa_user_sgpr_private_segment_size 0
		.amdhsa_uses_dynamic_stack 0
		.amdhsa_system_sgpr_private_segment_wavefront_offset 0
		.amdhsa_system_sgpr_workgroup_id_x 1
		.amdhsa_system_sgpr_workgroup_id_y 1
		.amdhsa_system_sgpr_workgroup_id_z 1
		.amdhsa_system_sgpr_workgroup_info 0
		.amdhsa_system_vgpr_workitem_id 1
		.amdhsa_next_free_vgpr 102
		.amdhsa_next_free_sgpr 92
		.amdhsa_reserve_vcc 1
		.amdhsa_reserve_flat_scratch 0
		.amdhsa_float_round_mode_32 0
		.amdhsa_float_round_mode_16_64 0
		.amdhsa_float_denorm_mode_32 3
		.amdhsa_float_denorm_mode_16_64 3
		.amdhsa_dx10_clamp 1
		.amdhsa_ieee_mode 1
		.amdhsa_fp16_overflow 0
		.amdhsa_exception_fp_ieee_invalid_op 0
		.amdhsa_exception_fp_denorm_src 0
		.amdhsa_exception_fp_ieee_div_zero 0
		.amdhsa_exception_fp_ieee_overflow 0
		.amdhsa_exception_fp_ieee_underflow 0
		.amdhsa_exception_fp_ieee_inexact 0
		.amdhsa_exception_int_div_zero 0
	.end_amdhsa_kernel
	.section	.text._ZL13mul_mat_vec_qIL9ggml_type21ELi1ELb1ELb1EEvPKvS2_PKi31ggml_cuda_mm_fusion_args_devicePfj15HIP_vector_typeIjLj3EEjjjS8_jjjS8_jjjj,"axG",@progbits,_ZL13mul_mat_vec_qIL9ggml_type21ELi1ELb1ELb1EEvPKvS2_PKi31ggml_cuda_mm_fusion_args_devicePfj15HIP_vector_typeIjLj3EEjjjS8_jjjS8_jjjj,comdat
.Lfunc_end253:
	.size	_ZL13mul_mat_vec_qIL9ggml_type21ELi1ELb1ELb1EEvPKvS2_PKi31ggml_cuda_mm_fusion_args_devicePfj15HIP_vector_typeIjLj3EEjjjS8_jjjS8_jjjj, .Lfunc_end253-_ZL13mul_mat_vec_qIL9ggml_type21ELi1ELb1ELb1EEvPKvS2_PKi31ggml_cuda_mm_fusion_args_devicePfj15HIP_vector_typeIjLj3EEjjjS8_jjjS8_jjjj
                                        ; -- End function
	.set _ZL13mul_mat_vec_qIL9ggml_type21ELi1ELb1ELb1EEvPKvS2_PKi31ggml_cuda_mm_fusion_args_devicePfj15HIP_vector_typeIjLj3EEjjjS8_jjjS8_jjjj.num_vgpr, 102
	.set _ZL13mul_mat_vec_qIL9ggml_type21ELi1ELb1ELb1EEvPKvS2_PKi31ggml_cuda_mm_fusion_args_devicePfj15HIP_vector_typeIjLj3EEjjjS8_jjjS8_jjjj.num_agpr, 0
	.set _ZL13mul_mat_vec_qIL9ggml_type21ELi1ELb1ELb1EEvPKvS2_PKi31ggml_cuda_mm_fusion_args_devicePfj15HIP_vector_typeIjLj3EEjjjS8_jjjS8_jjjj.numbered_sgpr, 92
	.set _ZL13mul_mat_vec_qIL9ggml_type21ELi1ELb1ELb1EEvPKvS2_PKi31ggml_cuda_mm_fusion_args_devicePfj15HIP_vector_typeIjLj3EEjjjS8_jjjS8_jjjj.num_named_barrier, 0
	.set _ZL13mul_mat_vec_qIL9ggml_type21ELi1ELb1ELb1EEvPKvS2_PKi31ggml_cuda_mm_fusion_args_devicePfj15HIP_vector_typeIjLj3EEjjjS8_jjjS8_jjjj.private_seg_size, 0
	.set _ZL13mul_mat_vec_qIL9ggml_type21ELi1ELb1ELb1EEvPKvS2_PKi31ggml_cuda_mm_fusion_args_devicePfj15HIP_vector_typeIjLj3EEjjjS8_jjjS8_jjjj.uses_vcc, 1
	.set _ZL13mul_mat_vec_qIL9ggml_type21ELi1ELb1ELb1EEvPKvS2_PKi31ggml_cuda_mm_fusion_args_devicePfj15HIP_vector_typeIjLj3EEjjjS8_jjjS8_jjjj.uses_flat_scratch, 0
	.set _ZL13mul_mat_vec_qIL9ggml_type21ELi1ELb1ELb1EEvPKvS2_PKi31ggml_cuda_mm_fusion_args_devicePfj15HIP_vector_typeIjLj3EEjjjS8_jjjS8_jjjj.has_dyn_sized_stack, 0
	.set _ZL13mul_mat_vec_qIL9ggml_type21ELi1ELb1ELb1EEvPKvS2_PKi31ggml_cuda_mm_fusion_args_devicePfj15HIP_vector_typeIjLj3EEjjjS8_jjjS8_jjjj.has_recursion, 0
	.set _ZL13mul_mat_vec_qIL9ggml_type21ELi1ELb1ELb1EEvPKvS2_PKi31ggml_cuda_mm_fusion_args_devicePfj15HIP_vector_typeIjLj3EEjjjS8_jjjS8_jjjj.has_indirect_call, 0
	.section	.AMDGPU.csdata,"",@progbits
; Kernel info:
; codeLenInByte = 11124
; TotalNumSgprs: 96
; NumVgprs: 102
; ScratchSize: 0
; MemoryBound: 0
; FloatMode: 240
; IeeeMode: 1
; LDSByteSize: 1024 bytes/workgroup (compile time only)
; SGPRBlocks: 11
; VGPRBlocks: 25
; NumSGPRsForWavesPerEU: 96
; NumVGPRsForWavesPerEU: 102
; Occupancy: 2
; WaveLimiterHint : 0
; COMPUTE_PGM_RSRC2:SCRATCH_EN: 0
; COMPUTE_PGM_RSRC2:USER_SGPR: 6
; COMPUTE_PGM_RSRC2:TRAP_HANDLER: 0
; COMPUTE_PGM_RSRC2:TGID_X_EN: 1
; COMPUTE_PGM_RSRC2:TGID_Y_EN: 1
; COMPUTE_PGM_RSRC2:TGID_Z_EN: 1
; COMPUTE_PGM_RSRC2:TIDIG_COMP_CNT: 1
	.section	.text._ZL13mul_mat_vec_qIL9ggml_type21ELi1ELb0ELb1EEvPKvS2_PKi31ggml_cuda_mm_fusion_args_devicePfj15HIP_vector_typeIjLj3EEjjjS8_jjjS8_jjjj,"axG",@progbits,_ZL13mul_mat_vec_qIL9ggml_type21ELi1ELb0ELb1EEvPKvS2_PKi31ggml_cuda_mm_fusion_args_devicePfj15HIP_vector_typeIjLj3EEjjjS8_jjjS8_jjjj,comdat
	.globl	_ZL13mul_mat_vec_qIL9ggml_type21ELi1ELb0ELb1EEvPKvS2_PKi31ggml_cuda_mm_fusion_args_devicePfj15HIP_vector_typeIjLj3EEjjjS8_jjjS8_jjjj ; -- Begin function _ZL13mul_mat_vec_qIL9ggml_type21ELi1ELb0ELb1EEvPKvS2_PKi31ggml_cuda_mm_fusion_args_devicePfj15HIP_vector_typeIjLj3EEjjjS8_jjjS8_jjjj
	.p2align	8
	.type	_ZL13mul_mat_vec_qIL9ggml_type21ELi1ELb0ELb1EEvPKvS2_PKi31ggml_cuda_mm_fusion_args_devicePfj15HIP_vector_typeIjLj3EEjjjS8_jjjS8_jjjj,@function
_ZL13mul_mat_vec_qIL9ggml_type21ELi1ELb0ELb1EEvPKvS2_PKi31ggml_cuda_mm_fusion_args_devicePfj15HIP_vector_typeIjLj3EEjjjS8_jjjS8_jjjj: ; @_ZL13mul_mat_vec_qIL9ggml_type21ELi1ELb0ELb1EEvPKvS2_PKi31ggml_cuda_mm_fusion_args_devicePfj15HIP_vector_typeIjLj3EEjjjS8_jjjS8_jjjj
; %bb.0:
	s_load_dwordx2 s[0:1], s[4:5], 0x10
	s_load_dwordx4 s[16:19], s[4:5], 0x40
	s_mov_b32 s10, s7
	s_mov_b64 s[14:15], 0
	s_waitcnt lgkmcnt(0)
	s_cmp_lg_u64 s[0:1], 0
	s_cselect_b64 s[12:13], -1, 0
	s_cmp_eq_u64 s[0:1], 0
	s_cbranch_scc1 .LBB254_5
; %bb.1:
	s_mov_b32 s11, 0
	s_lshl_b64 s[2:3], s[10:11], 2
	s_add_u32 s0, s0, s2
	s_addc_u32 s1, s1, s3
	s_load_dword s21, s[0:1], 0x0
	s_nop 0
	s_load_dwordx4 s[0:3], s[4:5], 0x68
	s_load_dword s20, s[4:5], 0x50
	s_andn2_b64 vcc, exec, s[14:15]
	s_cbranch_vccnz .LBB254_3
.LBB254_2:
	s_load_dwordx2 s[14:15], s[4:5], 0x5c
	s_waitcnt lgkmcnt(0)
	s_mul_hi_u32 s7, s14, s10
	s_add_i32 s7, s10, s7
	s_lshr_b32 s21, s7, s15
.LBB254_3:
	s_load_dword s22, s[4:5], 0x78
	s_andn2_b64 vcc, exec, s[12:13]
	s_cbranch_vccnz .LBB254_6
; %bb.4:
	s_mul_hi_u32 s7, s17, s10
	s_add_i32 s7, s10, s7
	s_lshr_b32 s7, s7, s18
	s_mul_i32 s7, s7, s19
	s_sub_i32 s23, s10, s7
	s_branch .LBB254_7
.LBB254_5:
                                        ; implicit-def: $sgpr21
	s_load_dwordx4 s[0:3], s[4:5], 0x68
	s_load_dword s20, s[4:5], 0x50
	s_branch .LBB254_2
.LBB254_6:
	s_mov_b32 s23, s10
.LBB254_7:
	s_load_dwordx4 s[12:15], s[4:5], 0x80
	v_lshl_add_u32 v2, v1, 6, v0
	s_lshr_b32 s11, s16, 8
	v_lshrrev_b32_e32 v18, 3, v2
	s_lshl_b32 s9, s6, 1
	v_cmp_gt_u32_e32 vcc, s11, v18
	v_mov_b32_e32 v16, 0
	v_mov_b32_e32 v17, 0
	s_and_saveexec_b64 s[6:7], vcc
	s_cbranch_execz .LBB254_11
; %bb.8:
	s_waitcnt lgkmcnt(0)
	s_mul_hi_u32 s3, s3, s8
	s_add_i32 s3, s8, s3
	s_lshr_b32 s3, s3, s22
	s_mul_i32 s0, s21, s0
	s_mul_i32 s3, s3, s12
	;; [unrolled: 1-line block ×3, first 2 shown]
	v_lshlrev_b32_e32 v3, 1, v0
	s_add_i32 s15, s0, s3
	s_mul_hi_u32 s0, s1, 36
	s_mul_i32 s1, s1, 36
	v_and_b32_e32 v4, 14, v3
	v_bfe_u32 v21, v3, 2, 2
	v_lshrrev_b32_e32 v6, 3, v2
	v_mov_b32_e32 v2, s1
	v_mov_b32_e32 v3, s0
	s_movk_i32 s0, 0x120
	v_mad_u64_u32 v[2:3], s[0:1], v6, s0, v[2:3]
	s_mul_i32 s12, s13, s8
	s_mul_i32 s0, s9, s20
	s_add_i32 s3, s15, s0
	v_mad_u64_u32 v[2:3], s[0:1], s12, 36, v[2:3]
	s_load_dwordx4 s[16:19], s[4:5], 0x0
	v_and_b32_e32 v20, 7, v0
	s_add_i32 s0, s9, 1
	s_mul_i32 s20, s20, s0
	v_mad_u64_u32 v[2:3], s[0:1], v20, 36, v[2:3]
	s_waitcnt lgkmcnt(0)
	v_mov_b32_e32 v6, s19
	v_lshlrev_b32_e32 v5, 1, v4
	v_add_co_u32_e32 v2, vcc, s18, v2
	v_addc_co_u32_e32 v3, vcc, v6, v3, vcc
	v_add_co_u32_e32 v10, vcc, 32, v2
	v_mov_b32_e32 v12, s16
	v_mov_b32_e32 v19, 0
	v_and_b32_e32 v22, 4, v5
	s_add_i32 s15, s15, s20
	v_addc_co_u32_e32 v11, vcc, 0, v3, vcc
	s_mov_b64 s[0:1], 0
	s_movk_i32 s18, 0x6e
	v_lshlrev_b32_e32 v23, 1, v5
	v_lshlrev_b32_e32 v24, 1, v4
	s_movk_i32 s19, 0x100
	s_movk_i32 s20, 0xff00
	s_mov_b32 s21, 0xc0c0105
	v_mov_b32_e32 v13, s17
	v_mov_b32_e32 v25, 8
	;; [unrolled: 1-line block ×4, first 2 shown]
.LBB254_9:                              ; =>This Inner Loop Header: Depth=1
	v_add_u32_e32 v14, s3, v18
	v_mad_i64_i32 v[14:15], s[12:13], v14, s18, v[12:13]
	global_load_dword v26, v[10:11], off
	global_load_dwordx4 v[2:5], v[10:11], off offset:-16
	global_load_dwordx4 v[6:9], v[10:11], off offset:-32
	s_getpc_b64 s[12:13]
	s_add_u32 s12, s12, _ZL9iq3s_grid@rel32@lo+4
	s_addc_u32 s13, s13, _ZL9iq3s_grid@rel32@hi+12
	v_add_co_u32_e32 v27, vcc, v14, v23
	v_addc_co_u32_e32 v28, vcc, 0, v15, vcc
	v_add_co_u32_e32 v29, vcc, v14, v20
	v_addc_co_u32_e32 v30, vcc, 0, v15, vcc
	global_load_dwordx2 v[27:28], v[27:28], off offset:2
	s_waitcnt vmcnt(1)
	v_cvt_f32_f16_e32 v6, v6
	global_load_ubyte v31, v[29:30], off offset:66
	v_add_co_u32_e32 v29, vcc, v14, v24
	v_addc_co_u32_e32 v30, vcc, 0, v15, vcc
	global_load_dword v29, v[29:30], off offset:74
	s_waitcnt vmcnt(2)
	v_and_b32_e32 v32, 0xff, v27
	s_waitcnt vmcnt(1)
	v_lshlrev_b32_e32 v33, 8, v31
	v_and_or_b32 v32, v33, s19, v32
	v_lshlrev_b32_e32 v32, 2, v32
	global_load_dword v32, v32, s[12:13]
	v_bfe_u32 v33, v27, 8, 8
	v_lshlrev_b32_e32 v34, 7, v31
	v_and_or_b32 v33, v34, s19, v33
	v_lshlrev_b32_e32 v33, 2, v33
	global_load_dword v33, v33, s[12:13]
	s_waitcnt vmcnt(2)
	v_and_b32_e32 v34, 0xff, v29
	v_lshlrev_b32_e32 v35, 21, v29
	v_lshl_or_b32 v35, v34, 7, v35
	v_and_b32_e32 v36, 0x1800180, v35
	v_bfe_u32 v35, v35, 24, 1
	v_cmp_ne_u16_e32 vcc, 0, v35
	v_cmp_ne_u16_sdwa s[16:17], v36, v19 src0_sel:BYTE_1 src1_sel:DWORD
	v_lshrrev_b16_e32 v35, 7, v36
	v_lshrrev_b32_e32 v36, 2, v29
	v_cndmask_b32_e64 v37, 0, -1, s[16:17]
	v_cndmask_b32_e64 v39, 0, -1, vcc
	v_bfe_i32 v35, v35, 0, 1
	v_lshlrev_b16_e32 v37, 8, v37
	v_lshlrev_b16_e32 v39, 8, v39
	v_bfe_i32 v36, v36, 0, 1
	v_or_b32_sdwa v38, v35, v37 dst_sel:DWORD dst_unused:UNUSED_PAD src0_sel:BYTE_0 src1_sel:DWORD
	v_or_b32_sdwa v40, v36, v39 dst_sel:WORD_1 dst_unused:UNUSED_PAD src0_sel:BYTE_0 src1_sel:DWORD
	v_or_b32_sdwa v38, v38, v40 dst_sel:DWORD dst_unused:UNUSED_PAD src0_sel:WORD_0 src1_sel:DWORD
	v_lshlrev_b32_e32 v40, 17, v29
	v_lshl_or_b32 v34, v34, 3, v40
	v_and_b32_e32 v40, 0x1800180, v34
	v_bfe_u32 v34, v34, 24, 1
	v_cmp_ne_u16_e32 vcc, 0, v34
	v_cmp_ne_u16_sdwa s[16:17], v40, v19 src0_sel:BYTE_1 src1_sel:DWORD
	v_lshrrev_b16_e32 v34, 7, v40
	v_lshrrev_b32_e32 v40, 6, v29
	v_cndmask_b32_e64 v41, 0, -1, s[16:17]
	v_cndmask_b32_e64 v43, 0, -1, vcc
	v_lshlrev_b16_e32 v35, 8, v35
	v_bfe_i32 v34, v34, 0, 1
	v_lshlrev_b16_e32 v41, 8, v41
	v_lshlrev_b16_e32 v43, 8, v43
	v_bfe_i32 v40, v40, 0, 1
	v_or_b32_sdwa v42, v34, v41 dst_sel:DWORD dst_unused:UNUSED_PAD src0_sel:BYTE_0 src1_sel:DWORD
	v_or_b32_sdwa v44, v40, v43 dst_sel:WORD_1 dst_unused:UNUSED_PAD src0_sel:BYTE_0 src1_sel:DWORD
	v_lshlrev_b16_e32 v36, 8, v36
	v_or_b32_sdwa v42, v42, v44 dst_sel:DWORD dst_unused:UNUSED_PAD src0_sel:WORD_0 src1_sel:DWORD
	v_lshlrev_b16_e32 v34, 8, v34
	v_lshrrev_b32_e32 v30, 16, v29
	s_waitcnt vmcnt(1)
	v_xor_b32_e32 v32, v32, v38
	v_and_b32_e32 v38, 0xffffff00, v32
	v_sub_i16 v37, v38, v37 clamp
	v_lshlrev_b16_e32 v38, 8, v32
	v_sub_i16 v35, v38, v35 clamp
	v_perm_b32 v35, v35, v37, s21
	v_and_b32_sdwa v37, v32, s20 dst_sel:DWORD dst_unused:UNUSED_PAD src0_sel:WORD_1 src1_sel:DWORD
	v_lshlrev_b16_sdwa v32, v25, v32 dst_sel:DWORD dst_unused:UNUSED_PAD src0_sel:DWORD src1_sel:WORD_1
	v_sub_i16 v37, v37, v39 clamp
	v_sub_i16 v32, v32, v36 clamp
	v_perm_b32 v32, v32, v37, s21
	s_waitcnt vmcnt(0)
	v_xor_b32_e32 v33, v33, v42
	v_lshl_or_b32 v32, v32, 16, v35
	v_and_b32_e32 v35, 0xffffff00, v33
	v_lshlrev_b16_e32 v36, 8, v33
	v_sub_i16 v35, v35, v41 clamp
	v_sub_i16 v34, v36, v34 clamp
	v_perm_b32 v34, v34, v35, s21
	v_and_b32_sdwa v35, v33, s20 dst_sel:DWORD dst_unused:UNUSED_PAD src0_sel:WORD_1 src1_sel:DWORD
	v_lshlrev_b16_sdwa v33, v25, v33 dst_sel:DWORD dst_unused:UNUSED_PAD src0_sel:DWORD src1_sel:WORD_1
	v_lshlrev_b16_e32 v36, 8, v40
	v_sub_i16 v35, v35, v43 clamp
	v_sub_i16 v33, v33, v36 clamp
	v_perm_b32 v33, v33, v35, s21
	v_lshl_or_b32 v33, v33, 16, v34
	v_dot4_i32_i8 v32, v32, v7, 0
	v_dot4_i32_i8 v32, v33, v8, v32
	v_bfe_u32 v33, v27, 16, 8
	v_lshlrev_b32_e32 v34, 6, v31
	v_and_or_b32 v33, v34, s19, v33
	v_lshlrev_b32_e32 v33, 2, v33
	global_load_dword v33, v33, s[12:13]
	v_lshrrev_b32_e32 v27, 24, v27
	v_lshlrev_b32_e32 v34, 5, v31
	v_and_or_b32 v27, v34, s19, v27
	v_lshlrev_b32_e32 v27, 2, v27
	global_load_dword v27, v27, s[12:13]
	v_lshrrev_b32_e32 v34, 1, v29
	v_and_b32_e32 v34, 0x180, v34
	v_lshrrev_b32_e32 v35, 11, v29
	v_cmp_ne_u16_sdwa s[16:17], v34, v19 src0_sel:BYTE_1 src1_sel:DWORD
	v_lshrrev_b32_e32 v36, 10, v29
	v_lshrrev_b16_e32 v34, 7, v34
	v_cndmask_b32_e64 v37, 0, -1, s[16:17]
	v_bfe_i32 v35, v35, 0, 1
	v_bfe_i32 v34, v34, 0, 1
	v_lshlrev_b16_e32 v37, 8, v37
	v_lshlrev_b16_e32 v35, 8, v35
	v_bfe_i32 v36, v36, 0, 1
	v_or_b32_sdwa v38, v34, v37 dst_sel:DWORD dst_unused:UNUSED_PAD src0_sel:BYTE_0 src1_sel:DWORD
	v_or_b32_sdwa v39, v36, v35 dst_sel:WORD_1 dst_unused:UNUSED_PAD src0_sel:BYTE_0 src1_sel:DWORD
	v_or_b32_sdwa v38, v38, v39 dst_sel:DWORD dst_unused:UNUSED_PAD src0_sel:WORD_0 src1_sel:DWORD
	v_lshrrev_b32_e32 v39, 5, v29
	v_and_b32_e32 v39, 0x180, v39
	v_lshrrev_b32_e32 v40, 15, v29
	v_cmp_ne_u16_sdwa s[16:17], v39, v19 src0_sel:BYTE_1 src1_sel:DWORD
	v_lshrrev_b32_e32 v41, 14, v29
	v_lshrrev_b16_e32 v39, 7, v39
	v_cndmask_b32_e64 v42, 0, -1, s[16:17]
	v_bfe_i32 v40, v40, 0, 1
	v_lshlrev_b16_e32 v34, 8, v34
	v_bfe_i32 v39, v39, 0, 1
	v_lshlrev_b16_e32 v42, 8, v42
	v_lshlrev_b16_e32 v40, 8, v40
	v_bfe_i32 v41, v41, 0, 1
	v_or_b32_sdwa v43, v39, v42 dst_sel:DWORD dst_unused:UNUSED_PAD src0_sel:BYTE_0 src1_sel:DWORD
	v_or_b32_sdwa v44, v41, v40 dst_sel:WORD_1 dst_unused:UNUSED_PAD src0_sel:BYTE_0 src1_sel:DWORD
	v_lshlrev_b16_e32 v36, 8, v36
	v_or_b32_sdwa v43, v43, v44 dst_sel:DWORD dst_unused:UNUSED_PAD src0_sel:WORD_0 src1_sel:DWORD
	s_waitcnt vmcnt(1)
	v_xor_b32_e32 v33, v33, v38
	v_and_b32_e32 v38, 0xffffff00, v33
	v_sub_i16 v37, v38, v37 clamp
	v_lshlrev_b16_e32 v38, 8, v33
	v_sub_i16 v34, v38, v34 clamp
	v_perm_b32 v34, v34, v37, s21
	v_and_b32_sdwa v37, v33, s20 dst_sel:DWORD dst_unused:UNUSED_PAD src0_sel:WORD_1 src1_sel:DWORD
	v_lshlrev_b16_sdwa v33, v25, v33 dst_sel:DWORD dst_unused:UNUSED_PAD src0_sel:DWORD src1_sel:WORD_1
	v_sub_i16 v35, v37, v35 clamp
	v_sub_i16 v33, v33, v36 clamp
	v_perm_b32 v33, v33, v35, s21
	s_waitcnt vmcnt(0)
	v_xor_b32_e32 v27, v27, v43
	v_lshl_or_b32 v33, v33, 16, v34
	v_and_b32_e32 v34, 0xffffff00, v27
	v_lshlrev_b16_e32 v35, 8, v27
	v_lshlrev_b16_e32 v36, 8, v39
	v_sub_i16 v34, v34, v42 clamp
	v_sub_i16 v35, v35, v36 clamp
	v_perm_b32 v34, v35, v34, s21
	v_and_b32_sdwa v35, v27, s20 dst_sel:DWORD dst_unused:UNUSED_PAD src0_sel:WORD_1 src1_sel:DWORD
	v_lshlrev_b16_sdwa v27, v25, v27 dst_sel:DWORD dst_unused:UNUSED_PAD src0_sel:DWORD src1_sel:WORD_1
	v_lshlrev_b16_e32 v36, 8, v41
	v_sub_i16 v35, v35, v40 clamp
	v_sub_i16 v27, v27, v36 clamp
	v_perm_b32 v27, v27, v35, s21
	v_lshl_or_b32 v27, v27, 16, v34
	v_dot4_i32_i8 v32, v33, v9, v32
	v_dot4_i32_i8 v27, v27, v2, v32
	v_and_b32_e32 v32, 0xff, v28
	v_lshlrev_b32_e32 v33, 4, v31
	v_and_or_b32 v32, v33, s19, v32
	v_lshlrev_b32_e32 v32, 2, v32
	global_load_dword v32, v32, s[12:13]
	v_bfe_u32 v33, v28, 8, 8
	v_lshlrev_b32_e32 v34, 3, v31
	v_and_or_b32 v33, v34, s19, v33
	v_lshlrev_b32_e32 v33, 2, v33
	global_load_dword v33, v33, s[12:13]
	v_lshrrev_b32_e32 v34, 9, v29
	v_lshl_or_b32 v34, v30, 21, v34
	v_and_b32_e32 v35, 0x1800180, v34
	v_bfe_u32 v34, v34, 24, 1
	v_cmp_ne_u16_e32 vcc, 0, v34
	v_cmp_ne_u16_sdwa s[16:17], v35, v19 src0_sel:BYTE_1 src1_sel:DWORD
	v_lshrrev_b16_e32 v34, 7, v35
	v_lshrrev_b32_e32 v35, 18, v29
	v_cndmask_b32_e64 v36, 0, -1, s[16:17]
	v_cndmask_b32_e64 v38, 0, -1, vcc
	v_bfe_i32 v34, v34, 0, 1
	v_lshlrev_b16_e32 v36, 8, v36
	v_lshlrev_b16_e32 v38, 8, v38
	v_bfe_i32 v35, v35, 0, 1
	v_or_b32_sdwa v37, v34, v36 dst_sel:DWORD dst_unused:UNUSED_PAD src0_sel:BYTE_0 src1_sel:DWORD
	v_or_b32_sdwa v39, v35, v38 dst_sel:WORD_1 dst_unused:UNUSED_PAD src0_sel:BYTE_0 src1_sel:DWORD
	v_or_b32_sdwa v37, v37, v39 dst_sel:DWORD dst_unused:UNUSED_PAD src0_sel:WORD_0 src1_sel:DWORD
	v_lshrrev_b32_e32 v39, 13, v29
	v_lshl_or_b32 v30, v30, 17, v39
	v_and_b32_e32 v39, 0x1800180, v30
	v_bfe_u32 v30, v30, 24, 1
	v_cmp_ne_u16_e32 vcc, 0, v30
	v_cmp_ne_u16_sdwa s[16:17], v39, v19 src0_sel:BYTE_1 src1_sel:DWORD
	v_lshrrev_b16_e32 v30, 7, v39
	v_lshrrev_b32_e32 v39, 22, v29
	v_cndmask_b32_e64 v40, 0, -1, s[16:17]
	v_cndmask_b32_e64 v42, 0, -1, vcc
	v_lshlrev_b16_e32 v34, 8, v34
	v_bfe_i32 v30, v30, 0, 1
	v_lshlrev_b16_e32 v40, 8, v40
	v_lshlrev_b16_e32 v42, 8, v42
	v_bfe_i32 v39, v39, 0, 1
	v_or_b32_sdwa v41, v30, v40 dst_sel:DWORD dst_unused:UNUSED_PAD src0_sel:BYTE_0 src1_sel:DWORD
	v_or_b32_sdwa v43, v39, v42 dst_sel:WORD_1 dst_unused:UNUSED_PAD src0_sel:BYTE_0 src1_sel:DWORD
	v_lshlrev_b16_e32 v35, 8, v35
	v_or_b32_sdwa v41, v41, v43 dst_sel:DWORD dst_unused:UNUSED_PAD src0_sel:WORD_0 src1_sel:DWORD
	v_lshlrev_b16_e32 v30, 8, v30
	s_waitcnt vmcnt(1)
	v_xor_b32_e32 v32, v32, v37
	v_and_b32_e32 v37, 0xffffff00, v32
	v_sub_i16 v36, v37, v36 clamp
	v_lshlrev_b16_e32 v37, 8, v32
	v_sub_i16 v34, v37, v34 clamp
	v_perm_b32 v34, v34, v36, s21
	v_and_b32_sdwa v36, v32, s20 dst_sel:DWORD dst_unused:UNUSED_PAD src0_sel:WORD_1 src1_sel:DWORD
	v_lshlrev_b16_sdwa v32, v25, v32 dst_sel:DWORD dst_unused:UNUSED_PAD src0_sel:DWORD src1_sel:WORD_1
	v_sub_i16 v36, v36, v38 clamp
	v_sub_i16 v32, v32, v35 clamp
	v_perm_b32 v32, v32, v36, s21
	s_waitcnt vmcnt(0)
	v_xor_b32_e32 v33, v33, v41
	v_lshl_or_b32 v32, v32, 16, v34
	v_and_b32_e32 v34, 0xffffff00, v33
	v_lshlrev_b16_e32 v35, 8, v33
	v_sub_i16 v34, v34, v40 clamp
	v_sub_i16 v30, v35, v30 clamp
	v_perm_b32 v30, v30, v34, s21
	v_and_b32_sdwa v34, v33, s20 dst_sel:DWORD dst_unused:UNUSED_PAD src0_sel:WORD_1 src1_sel:DWORD
	v_lshlrev_b16_sdwa v33, v25, v33 dst_sel:DWORD dst_unused:UNUSED_PAD src0_sel:DWORD src1_sel:WORD_1
	v_lshlrev_b16_e32 v35, 8, v39
	v_sub_i16 v34, v34, v42 clamp
	v_sub_i16 v33, v33, v35 clamp
	v_perm_b32 v33, v33, v34, s21
	v_lshl_or_b32 v30, v33, 16, v30
	v_dot4_i32_i8 v27, v32, v3, v27
	v_dot4_i32_i8 v27, v30, v4, v27
	v_bfe_u32 v30, v28, 16, 8
	v_lshlrev_b32_e32 v32, 2, v31
	v_and_or_b32 v30, v32, s19, v30
	v_lshlrev_b32_e32 v30, 2, v30
	global_load_dword v30, v30, s[12:13]
	v_lshrrev_b32_e32 v28, 24, v28
	v_lshlrev_b32_e32 v31, 1, v31
	v_and_or_b32 v28, v31, s19, v28
	v_lshlrev_b32_e32 v28, 2, v28
	global_load_dword v28, v28, s[12:13]
	v_lshrrev_b32_e32 v31, 17, v29
	v_lshrrev_b32_e32 v32, 24, v29
	v_lshl_or_b32 v31, v32, 21, v31
	v_and_b32_e32 v32, 0x1800180, v31
	v_bfe_u32 v31, v31, 24, 1
	v_cmp_ne_u16_e32 vcc, 0, v31
	v_cmp_ne_u16_sdwa s[16:17], v32, v19 src0_sel:BYTE_1 src1_sel:DWORD
	v_lshrrev_b16_e32 v31, 7, v32
	v_lshrrev_b32_e32 v32, 26, v29
	v_cndmask_b32_e64 v33, 0, -1, s[16:17]
	v_cndmask_b32_e64 v35, 0, -1, vcc
	v_bfe_i32 v31, v31, 0, 1
	v_lshlrev_b16_e32 v33, 8, v33
	v_lshlrev_b16_e32 v35, 8, v35
	v_bfe_i32 v32, v32, 0, 1
	v_or_b32_sdwa v34, v31, v33 dst_sel:DWORD dst_unused:UNUSED_PAD src0_sel:BYTE_0 src1_sel:DWORD
	v_or_b32_sdwa v36, v32, v35 dst_sel:WORD_1 dst_unused:UNUSED_PAD src0_sel:BYTE_0 src1_sel:DWORD
	v_or_b32_sdwa v34, v34, v36 dst_sel:DWORD dst_unused:UNUSED_PAD src0_sel:WORD_0 src1_sel:DWORD
	v_lshrrev_b32_e32 v36, 21, v29
	v_lshrrev_b32_e32 v38, 31, v29
	v_lshrrev_b16_e32 v37, 8, v36
	v_cmp_ne_u16_e32 vcc, 0, v38
	v_lshrrev_b32_e32 v29, 30, v29
	v_lshrrev_b16_e32 v36, 7, v36
	v_bfe_i32 v37, v37, 0, 1
	v_cndmask_b32_e64 v39, 0, -1, vcc
	v_lshlrev_b16_e32 v31, 8, v31
	v_lshlrev_b16_e32 v37, 8, v37
	v_bfe_i32 v36, v36, 0, 1
	v_bfe_i32 v29, v29, 0, 1
	v_lshlrev_b16_e32 v39, 8, v39
	v_or_b32_sdwa v38, v36, v37 dst_sel:DWORD dst_unused:UNUSED_PAD src0_sel:BYTE_0 src1_sel:DWORD
	v_or_b32_sdwa v40, v29, v39 dst_sel:WORD_1 dst_unused:UNUSED_PAD src0_sel:BYTE_0 src1_sel:DWORD
	v_lshlrev_b16_e32 v32, 8, v32
	v_or_b32_sdwa v38, v38, v40 dst_sel:DWORD dst_unused:UNUSED_PAD src0_sel:WORD_0 src1_sel:DWORD
	v_lshlrev_b16_e32 v29, 8, v29
	s_waitcnt vmcnt(1)
	v_xor_b32_e32 v30, v30, v34
	v_and_b32_e32 v34, 0xffffff00, v30
	v_sub_i16 v33, v34, v33 clamp
	v_lshlrev_b16_e32 v34, 8, v30
	v_sub_i16 v31, v34, v31 clamp
	v_perm_b32 v31, v31, v33, s21
	v_and_b32_sdwa v33, v30, s20 dst_sel:DWORD dst_unused:UNUSED_PAD src0_sel:WORD_1 src1_sel:DWORD
	v_lshlrev_b16_sdwa v30, v25, v30 dst_sel:DWORD dst_unused:UNUSED_PAD src0_sel:DWORD src1_sel:WORD_1
	v_sub_i16 v33, v33, v35 clamp
	v_sub_i16 v30, v30, v32 clamp
	v_perm_b32 v30, v30, v33, s21
	s_waitcnt vmcnt(0)
	v_xor_b32_e32 v28, v28, v38
	v_lshl_or_b32 v30, v30, 16, v31
	v_and_b32_e32 v31, 0xffffff00, v28
	v_lshlrev_b16_e32 v32, 8, v28
	v_lshlrev_b16_e32 v33, 8, v36
	v_sub_i16 v31, v31, v37 clamp
	v_sub_i16 v32, v32, v33 clamp
	v_perm_b32 v31, v32, v31, s21
	v_and_b32_sdwa v32, v28, s20 dst_sel:DWORD dst_unused:UNUSED_PAD src0_sel:WORD_1 src1_sel:DWORD
	v_lshlrev_b16_sdwa v28, v25, v28 dst_sel:DWORD dst_unused:UNUSED_PAD src0_sel:DWORD src1_sel:WORD_1
	v_sub_i16 v32, v32, v39 clamp
	v_sub_i16 v28, v28, v29 clamp
	v_perm_b32 v28, v28, v32, s21
	v_lshl_or_b32 v28, v28, 16, v31
	v_dot4_i32_i8 v27, v30, v5, v27
	v_dot4_i32_i8 v29, v28, v26, v27
	v_add_co_u32_e32 v27, vcc, v14, v21
	v_addc_co_u32_e32 v28, vcc, 0, v15, vcc
	global_load_ubyte v27, v[27:28], off offset:106
	s_nop 0
	global_load_ushort v14, v[14:15], off
	s_waitcnt vmcnt(1)
	v_lshrrev_b32_e32 v27, v22, v27
	v_lshlrev_b32_e32 v27, 1, v27
	v_and_or_b32 v27, v27, 30, 1
	v_mul_lo_u32 v27, v29, v27
	s_waitcnt vmcnt(0)
	v_cvt_f32_f16_e32 v14, v14
	v_cvt_f32_i32_e32 v15, v27
	v_mul_f32_e32 v14, v14, v6
	v_fmac_f32_e32 v17, v14, v15
	v_add_u32_e32 v14, s15, v18
	v_mad_i64_i32 v[14:15], s[16:17], v14, s18, v[12:13]
	v_add_u32_e32 v18, 16, v18
	v_add_co_u32_e32 v27, vcc, v14, v23
	v_addc_co_u32_e32 v28, vcc, 0, v15, vcc
	v_add_co_u32_e32 v29, vcc, v14, v20
	v_addc_co_u32_e32 v30, vcc, 0, v15, vcc
	global_load_dwordx2 v[27:28], v[27:28], off offset:2
	s_nop 0
	global_load_ubyte v31, v[29:30], off offset:66
	v_add_co_u32_e32 v29, vcc, v14, v24
	v_addc_co_u32_e32 v30, vcc, 0, v15, vcc
	global_load_dword v29, v[29:30], off offset:74
	s_waitcnt vmcnt(2)
	v_and_b32_e32 v32, 0xff, v27
	s_waitcnt vmcnt(1)
	v_lshlrev_b32_e32 v33, 8, v31
	v_and_or_b32 v32, v33, s19, v32
	v_lshlrev_b32_e32 v32, 2, v32
	global_load_dword v32, v32, s[12:13]
	v_bfe_u32 v33, v27, 8, 8
	v_lshlrev_b32_e32 v34, 7, v31
	v_and_or_b32 v33, v34, s19, v33
	v_lshlrev_b32_e32 v33, 2, v33
	global_load_dword v33, v33, s[12:13]
	s_waitcnt vmcnt(2)
	v_and_b32_e32 v34, 0xff, v29
	v_lshlrev_b32_e32 v35, 21, v29
	v_lshl_or_b32 v35, v34, 7, v35
	v_and_b32_e32 v36, 0x1800180, v35
	v_bfe_u32 v35, v35, 24, 1
	v_cmp_ne_u16_e32 vcc, 0, v35
	v_cmp_ne_u16_sdwa s[16:17], v36, v19 src0_sel:BYTE_1 src1_sel:DWORD
	v_lshrrev_b16_e32 v35, 7, v36
	v_lshrrev_b32_e32 v36, 2, v29
	v_cndmask_b32_e64 v37, 0, -1, s[16:17]
	v_cndmask_b32_e64 v39, 0, -1, vcc
	v_bfe_i32 v35, v35, 0, 1
	v_lshlrev_b16_e32 v37, 8, v37
	v_lshlrev_b16_e32 v39, 8, v39
	v_bfe_i32 v36, v36, 0, 1
	v_or_b32_sdwa v38, v35, v37 dst_sel:DWORD dst_unused:UNUSED_PAD src0_sel:BYTE_0 src1_sel:DWORD
	v_or_b32_sdwa v40, v36, v39 dst_sel:WORD_1 dst_unused:UNUSED_PAD src0_sel:BYTE_0 src1_sel:DWORD
	v_or_b32_sdwa v38, v38, v40 dst_sel:DWORD dst_unused:UNUSED_PAD src0_sel:WORD_0 src1_sel:DWORD
	v_lshlrev_b32_e32 v40, 17, v29
	v_lshl_or_b32 v34, v34, 3, v40
	v_and_b32_e32 v40, 0x1800180, v34
	v_bfe_u32 v34, v34, 24, 1
	v_cmp_ne_u16_e32 vcc, 0, v34
	v_cmp_ne_u16_sdwa s[16:17], v40, v19 src0_sel:BYTE_1 src1_sel:DWORD
	v_lshrrev_b16_e32 v34, 7, v40
	v_lshrrev_b32_e32 v40, 6, v29
	v_cndmask_b32_e64 v41, 0, -1, s[16:17]
	v_cndmask_b32_e64 v43, 0, -1, vcc
	v_lshlrev_b16_e32 v35, 8, v35
	v_bfe_i32 v34, v34, 0, 1
	v_lshlrev_b16_e32 v41, 8, v41
	v_lshlrev_b16_e32 v43, 8, v43
	v_bfe_i32 v40, v40, 0, 1
	v_or_b32_sdwa v42, v34, v41 dst_sel:DWORD dst_unused:UNUSED_PAD src0_sel:BYTE_0 src1_sel:DWORD
	v_or_b32_sdwa v44, v40, v43 dst_sel:WORD_1 dst_unused:UNUSED_PAD src0_sel:BYTE_0 src1_sel:DWORD
	v_lshlrev_b16_e32 v36, 8, v36
	v_or_b32_sdwa v42, v42, v44 dst_sel:DWORD dst_unused:UNUSED_PAD src0_sel:WORD_0 src1_sel:DWORD
	v_lshlrev_b16_e32 v34, 8, v34
	v_lshrrev_b32_e32 v30, 16, v29
	s_waitcnt vmcnt(1)
	v_xor_b32_e32 v32, v32, v38
	v_and_b32_e32 v38, 0xffffff00, v32
	v_sub_i16 v37, v38, v37 clamp
	v_lshlrev_b16_e32 v38, 8, v32
	v_sub_i16 v35, v38, v35 clamp
	v_perm_b32 v35, v35, v37, s21
	v_and_b32_sdwa v37, v32, s20 dst_sel:DWORD dst_unused:UNUSED_PAD src0_sel:WORD_1 src1_sel:DWORD
	v_lshlrev_b16_sdwa v32, v25, v32 dst_sel:DWORD dst_unused:UNUSED_PAD src0_sel:DWORD src1_sel:WORD_1
	v_sub_i16 v37, v37, v39 clamp
	v_sub_i16 v32, v32, v36 clamp
	v_perm_b32 v32, v32, v37, s21
	s_waitcnt vmcnt(0)
	v_xor_b32_e32 v33, v33, v42
	v_lshl_or_b32 v32, v32, 16, v35
	v_and_b32_e32 v35, 0xffffff00, v33
	v_lshlrev_b16_e32 v36, 8, v33
	v_sub_i16 v35, v35, v41 clamp
	v_sub_i16 v34, v36, v34 clamp
	v_perm_b32 v34, v34, v35, s21
	v_and_b32_sdwa v35, v33, s20 dst_sel:DWORD dst_unused:UNUSED_PAD src0_sel:WORD_1 src1_sel:DWORD
	v_lshlrev_b16_sdwa v33, v25, v33 dst_sel:DWORD dst_unused:UNUSED_PAD src0_sel:DWORD src1_sel:WORD_1
	v_lshlrev_b16_e32 v36, 8, v40
	v_sub_i16 v35, v35, v43 clamp
	v_sub_i16 v33, v33, v36 clamp
	v_perm_b32 v33, v33, v35, s21
	v_lshl_or_b32 v33, v33, 16, v34
	v_dot4_i32_i8 v7, v32, v7, 0
	v_dot4_i32_i8 v7, v33, v8, v7
	v_bfe_u32 v8, v27, 16, 8
	v_lshlrev_b32_e32 v32, 6, v31
	v_and_or_b32 v8, v32, s19, v8
	v_lshlrev_b32_e32 v8, 2, v8
	global_load_dword v8, v8, s[12:13]
	v_lshrrev_b32_e32 v27, 24, v27
	v_lshlrev_b32_e32 v32, 5, v31
	v_and_or_b32 v27, v32, s19, v27
	v_lshlrev_b32_e32 v27, 2, v27
	global_load_dword v27, v27, s[12:13]
	v_lshrrev_b32_e32 v32, 1, v29
	v_and_b32_e32 v32, 0x180, v32
	v_lshrrev_b32_e32 v33, 11, v29
	v_cmp_ne_u16_sdwa s[16:17], v32, v19 src0_sel:BYTE_1 src1_sel:DWORD
	v_lshrrev_b32_e32 v34, 10, v29
	v_lshrrev_b16_e32 v32, 7, v32
	v_cndmask_b32_e64 v35, 0, -1, s[16:17]
	v_bfe_i32 v33, v33, 0, 1
	v_bfe_i32 v32, v32, 0, 1
	v_lshlrev_b16_e32 v35, 8, v35
	v_lshlrev_b16_e32 v33, 8, v33
	v_bfe_i32 v34, v34, 0, 1
	v_or_b32_sdwa v36, v32, v35 dst_sel:DWORD dst_unused:UNUSED_PAD src0_sel:BYTE_0 src1_sel:DWORD
	v_or_b32_sdwa v37, v34, v33 dst_sel:WORD_1 dst_unused:UNUSED_PAD src0_sel:BYTE_0 src1_sel:DWORD
	v_or_b32_sdwa v36, v36, v37 dst_sel:DWORD dst_unused:UNUSED_PAD src0_sel:WORD_0 src1_sel:DWORD
	v_lshrrev_b32_e32 v37, 5, v29
	v_and_b32_e32 v37, 0x180, v37
	v_lshrrev_b32_e32 v38, 15, v29
	v_cmp_ne_u16_sdwa s[16:17], v37, v19 src0_sel:BYTE_1 src1_sel:DWORD
	v_lshrrev_b32_e32 v39, 14, v29
	v_lshrrev_b16_e32 v37, 7, v37
	v_cndmask_b32_e64 v40, 0, -1, s[16:17]
	v_bfe_i32 v38, v38, 0, 1
	v_lshlrev_b16_e32 v32, 8, v32
	v_bfe_i32 v37, v37, 0, 1
	v_lshlrev_b16_e32 v40, 8, v40
	v_lshlrev_b16_e32 v38, 8, v38
	v_bfe_i32 v39, v39, 0, 1
	v_or_b32_sdwa v41, v37, v40 dst_sel:DWORD dst_unused:UNUSED_PAD src0_sel:BYTE_0 src1_sel:DWORD
	v_or_b32_sdwa v42, v39, v38 dst_sel:WORD_1 dst_unused:UNUSED_PAD src0_sel:BYTE_0 src1_sel:DWORD
	v_lshlrev_b16_e32 v34, 8, v34
	v_or_b32_sdwa v41, v41, v42 dst_sel:DWORD dst_unused:UNUSED_PAD src0_sel:WORD_0 src1_sel:DWORD
	s_waitcnt vmcnt(1)
	v_xor_b32_e32 v8, v8, v36
	v_and_b32_e32 v36, 0xffffff00, v8
	v_sub_i16 v35, v36, v35 clamp
	v_lshlrev_b16_e32 v36, 8, v8
	v_sub_i16 v32, v36, v32 clamp
	v_perm_b32 v32, v32, v35, s21
	v_and_b32_sdwa v35, v8, s20 dst_sel:DWORD dst_unused:UNUSED_PAD src0_sel:WORD_1 src1_sel:DWORD
	v_lshlrev_b16_sdwa v8, v25, v8 dst_sel:DWORD dst_unused:UNUSED_PAD src0_sel:DWORD src1_sel:WORD_1
	v_sub_i16 v33, v35, v33 clamp
	v_sub_i16 v8, v8, v34 clamp
	v_perm_b32 v8, v8, v33, s21
	s_waitcnt vmcnt(0)
	v_xor_b32_e32 v27, v27, v41
	v_lshl_or_b32 v8, v8, 16, v32
	v_and_b32_e32 v32, 0xffffff00, v27
	v_lshlrev_b16_e32 v33, 8, v27
	v_lshlrev_b16_e32 v34, 8, v37
	v_sub_i16 v32, v32, v40 clamp
	v_sub_i16 v33, v33, v34 clamp
	v_perm_b32 v32, v33, v32, s21
	v_and_b32_sdwa v33, v27, s20 dst_sel:DWORD dst_unused:UNUSED_PAD src0_sel:WORD_1 src1_sel:DWORD
	v_lshlrev_b16_sdwa v27, v25, v27 dst_sel:DWORD dst_unused:UNUSED_PAD src0_sel:DWORD src1_sel:WORD_1
	v_lshlrev_b16_e32 v34, 8, v39
	v_sub_i16 v33, v33, v38 clamp
	v_sub_i16 v27, v27, v34 clamp
	v_perm_b32 v27, v27, v33, s21
	v_lshl_or_b32 v27, v27, 16, v32
	v_dot4_i32_i8 v7, v8, v9, v7
	v_dot4_i32_i8 v2, v27, v2, v7
	v_and_b32_e32 v7, 0xff, v28
	v_lshlrev_b32_e32 v8, 4, v31
	v_and_or_b32 v7, v8, s19, v7
	v_lshlrev_b32_e32 v7, 2, v7
	global_load_dword v7, v7, s[12:13]
	v_bfe_u32 v8, v28, 8, 8
	v_lshlrev_b32_e32 v9, 3, v31
	v_and_or_b32 v8, v9, s19, v8
	v_lshlrev_b32_e32 v8, 2, v8
	global_load_dword v8, v8, s[12:13]
	v_lshrrev_b32_e32 v9, 9, v29
	v_lshl_or_b32 v9, v30, 21, v9
	v_and_b32_e32 v27, 0x1800180, v9
	v_bfe_u32 v9, v9, 24, 1
	v_cmp_ne_u16_e32 vcc, 0, v9
	v_cmp_ne_u16_sdwa s[16:17], v27, v19 src0_sel:BYTE_1 src1_sel:DWORD
	v_lshrrev_b16_e32 v9, 7, v27
	v_lshrrev_b32_e32 v27, 18, v29
	v_cndmask_b32_e64 v32, 0, -1, s[16:17]
	v_cndmask_b32_e64 v34, 0, -1, vcc
	v_bfe_i32 v9, v9, 0, 1
	v_lshlrev_b16_e32 v32, 8, v32
	v_lshlrev_b16_e32 v34, 8, v34
	v_bfe_i32 v27, v27, 0, 1
	v_or_b32_sdwa v33, v9, v32 dst_sel:DWORD dst_unused:UNUSED_PAD src0_sel:BYTE_0 src1_sel:DWORD
	v_or_b32_sdwa v35, v27, v34 dst_sel:WORD_1 dst_unused:UNUSED_PAD src0_sel:BYTE_0 src1_sel:DWORD
	v_or_b32_sdwa v33, v33, v35 dst_sel:DWORD dst_unused:UNUSED_PAD src0_sel:WORD_0 src1_sel:DWORD
	v_lshrrev_b32_e32 v35, 13, v29
	v_lshl_or_b32 v30, v30, 17, v35
	v_and_b32_e32 v35, 0x1800180, v30
	v_bfe_u32 v30, v30, 24, 1
	v_cmp_ne_u16_e32 vcc, 0, v30
	v_cmp_ne_u16_sdwa s[16:17], v35, v19 src0_sel:BYTE_1 src1_sel:DWORD
	v_lshrrev_b16_e32 v30, 7, v35
	v_lshrrev_b32_e32 v35, 22, v29
	v_cndmask_b32_e64 v36, 0, -1, s[16:17]
	v_cndmask_b32_e64 v38, 0, -1, vcc
	v_lshlrev_b16_e32 v9, 8, v9
	v_bfe_i32 v30, v30, 0, 1
	v_lshlrev_b16_e32 v36, 8, v36
	v_lshlrev_b16_e32 v38, 8, v38
	v_bfe_i32 v35, v35, 0, 1
	v_or_b32_sdwa v37, v30, v36 dst_sel:DWORD dst_unused:UNUSED_PAD src0_sel:BYTE_0 src1_sel:DWORD
	v_or_b32_sdwa v39, v35, v38 dst_sel:WORD_1 dst_unused:UNUSED_PAD src0_sel:BYTE_0 src1_sel:DWORD
	v_lshlrev_b16_e32 v27, 8, v27
	v_or_b32_sdwa v37, v37, v39 dst_sel:DWORD dst_unused:UNUSED_PAD src0_sel:WORD_0 src1_sel:DWORD
	v_lshlrev_b16_e32 v30, 8, v30
	s_waitcnt vmcnt(1)
	v_xor_b32_e32 v7, v7, v33
	v_and_b32_e32 v33, 0xffffff00, v7
	v_sub_i16 v32, v33, v32 clamp
	v_lshlrev_b16_e32 v33, 8, v7
	v_sub_i16 v9, v33, v9 clamp
	v_perm_b32 v9, v9, v32, s21
	v_and_b32_sdwa v32, v7, s20 dst_sel:DWORD dst_unused:UNUSED_PAD src0_sel:WORD_1 src1_sel:DWORD
	v_lshlrev_b16_sdwa v7, v25, v7 dst_sel:DWORD dst_unused:UNUSED_PAD src0_sel:DWORD src1_sel:WORD_1
	v_sub_i16 v32, v32, v34 clamp
	v_sub_i16 v7, v7, v27 clamp
	v_perm_b32 v7, v7, v32, s21
	s_waitcnt vmcnt(0)
	v_xor_b32_e32 v8, v8, v37
	v_lshl_or_b32 v7, v7, 16, v9
	v_and_b32_e32 v9, 0xffffff00, v8
	v_lshlrev_b16_e32 v27, 8, v8
	v_sub_i16 v9, v9, v36 clamp
	v_sub_i16 v27, v27, v30 clamp
	v_perm_b32 v9, v27, v9, s21
	v_and_b32_sdwa v27, v8, s20 dst_sel:DWORD dst_unused:UNUSED_PAD src0_sel:WORD_1 src1_sel:DWORD
	v_lshlrev_b16_sdwa v8, v25, v8 dst_sel:DWORD dst_unused:UNUSED_PAD src0_sel:DWORD src1_sel:WORD_1
	v_lshlrev_b16_e32 v30, 8, v35
	v_sub_i16 v27, v27, v38 clamp
	v_sub_i16 v8, v8, v30 clamp
	v_perm_b32 v8, v8, v27, s21
	v_lshl_or_b32 v8, v8, 16, v9
	v_dot4_i32_i8 v2, v7, v3, v2
	v_dot4_i32_i8 v2, v8, v4, v2
	v_bfe_u32 v3, v28, 16, 8
	v_lshlrev_b32_e32 v4, 2, v31
	v_and_or_b32 v3, v4, s19, v3
	v_lshlrev_b32_e32 v3, 2, v3
	global_load_dword v3, v3, s[12:13]
	v_lshrrev_b32_e32 v4, 24, v28
	v_lshlrev_b32_e32 v7, 1, v31
	v_and_or_b32 v4, v7, s19, v4
	v_lshlrev_b32_e32 v4, 2, v4
	global_load_dword v4, v4, s[12:13]
	v_lshrrev_b32_e32 v7, 17, v29
	v_lshrrev_b32_e32 v8, 24, v29
	v_lshl_or_b32 v7, v8, 21, v7
	v_and_b32_e32 v8, 0x1800180, v7
	v_bfe_u32 v7, v7, 24, 1
	v_cmp_ne_u16_e32 vcc, 0, v7
	v_cmp_ne_u16_sdwa s[12:13], v8, v19 src0_sel:BYTE_1 src1_sel:DWORD
	v_lshrrev_b16_e32 v7, 7, v8
	v_lshrrev_b32_e32 v8, 26, v29
	v_cndmask_b32_e64 v9, 0, -1, s[12:13]
	v_cndmask_b32_e64 v28, 0, -1, vcc
	v_bfe_i32 v7, v7, 0, 1
	v_lshlrev_b16_e32 v9, 8, v9
	v_lshlrev_b16_e32 v28, 8, v28
	v_bfe_i32 v8, v8, 0, 1
	v_or_b32_sdwa v27, v7, v9 dst_sel:DWORD dst_unused:UNUSED_PAD src0_sel:BYTE_0 src1_sel:DWORD
	v_or_b32_sdwa v30, v8, v28 dst_sel:WORD_1 dst_unused:UNUSED_PAD src0_sel:BYTE_0 src1_sel:DWORD
	v_or_b32_sdwa v27, v27, v30 dst_sel:DWORD dst_unused:UNUSED_PAD src0_sel:WORD_0 src1_sel:DWORD
	v_lshrrev_b32_e32 v30, 21, v29
	v_lshrrev_b32_e32 v32, 31, v29
	v_lshrrev_b16_e32 v31, 8, v30
	v_cmp_ne_u16_e32 vcc, 0, v32
	v_lshrrev_b32_e32 v29, 30, v29
	v_lshrrev_b16_e32 v30, 7, v30
	v_bfe_i32 v31, v31, 0, 1
	v_cndmask_b32_e64 v33, 0, -1, vcc
	v_lshlrev_b16_e32 v7, 8, v7
	v_lshlrev_b16_e32 v31, 8, v31
	v_bfe_i32 v30, v30, 0, 1
	v_bfe_i32 v29, v29, 0, 1
	v_lshlrev_b16_e32 v33, 8, v33
	v_or_b32_sdwa v32, v30, v31 dst_sel:DWORD dst_unused:UNUSED_PAD src0_sel:BYTE_0 src1_sel:DWORD
	v_or_b32_sdwa v34, v29, v33 dst_sel:WORD_1 dst_unused:UNUSED_PAD src0_sel:BYTE_0 src1_sel:DWORD
	v_lshlrev_b16_e32 v8, 8, v8
	v_or_b32_sdwa v32, v32, v34 dst_sel:DWORD dst_unused:UNUSED_PAD src0_sel:WORD_0 src1_sel:DWORD
	s_waitcnt vmcnt(1)
	v_xor_b32_e32 v3, v3, v27
	v_and_b32_e32 v27, 0xffffff00, v3
	v_sub_i16 v9, v27, v9 clamp
	v_lshlrev_b16_e32 v27, 8, v3
	v_sub_i16 v7, v27, v7 clamp
	v_perm_b32 v7, v7, v9, s21
	v_and_b32_sdwa v9, v3, s20 dst_sel:DWORD dst_unused:UNUSED_PAD src0_sel:WORD_1 src1_sel:DWORD
	v_lshlrev_b16_sdwa v3, v25, v3 dst_sel:DWORD dst_unused:UNUSED_PAD src0_sel:DWORD src1_sel:WORD_1
	v_sub_i16 v9, v9, v28 clamp
	v_sub_i16 v3, v3, v8 clamp
	v_perm_b32 v3, v3, v9, s21
	s_waitcnt vmcnt(0)
	v_xor_b32_e32 v4, v4, v32
	v_lshl_or_b32 v3, v3, 16, v7
	v_and_b32_e32 v7, 0xffffff00, v4
	v_lshlrev_b16_e32 v8, 8, v4
	v_lshlrev_b16_e32 v9, 8, v30
	v_sub_i16 v7, v7, v31 clamp
	v_sub_i16 v8, v8, v9 clamp
	v_perm_b32 v7, v8, v7, s21
	v_and_b32_sdwa v8, v4, s20 dst_sel:DWORD dst_unused:UNUSED_PAD src0_sel:WORD_1 src1_sel:DWORD
	v_lshlrev_b16_sdwa v4, v25, v4 dst_sel:DWORD dst_unused:UNUSED_PAD src0_sel:DWORD src1_sel:WORD_1
	v_lshlrev_b16_e32 v9, 8, v29
	v_sub_i16 v8, v8, v33 clamp
	v_sub_i16 v4, v4, v9 clamp
	v_perm_b32 v4, v4, v8, s21
	v_lshl_or_b32 v4, v4, 16, v7
	v_dot4_i32_i8 v2, v3, v5, v2
	v_add_co_u32_e32 v3, vcc, v14, v21
	v_dot4_i32_i8 v2, v4, v26, v2
	v_addc_co_u32_e32 v4, vcc, 0, v15, vcc
	global_load_ubyte v3, v[3:4], off offset:106
	v_add_co_u32_e32 v10, vcc, 0x1200, v10
	v_addc_co_u32_e32 v11, vcc, 0, v11, vcc
	v_cmp_le_u32_e32 vcc, s11, v18
	s_or_b64 s[0:1], vcc, s[0:1]
	s_waitcnt vmcnt(0)
	v_lshrrev_b32_e32 v3, v22, v3
	v_lshlrev_b32_e32 v3, 1, v3
	v_and_or_b32 v3, v3, 30, 1
	v_mul_lo_u32 v2, v2, v3
	global_load_ushort v3, v[14:15], off
	v_cvt_f32_i32_e32 v2, v2
	s_waitcnt vmcnt(0)
	v_cvt_f32_f16_e32 v3, v3
	v_mul_f32_e32 v3, v3, v6
	v_fmac_f32_e32 v16, v3, v2
	s_andn2_b64 exec, exec, s[0:1]
	s_cbranch_execnz .LBB254_9
; %bb.10:
	s_or_b64 exec, exec, s[0:1]
.LBB254_11:
	s_or_b64 exec, exec, s[6:7]
	v_cmp_eq_u32_e32 vcc, 0, v1
	s_waitcnt lgkmcnt(0)
	v_cmp_ne_u32_e64 s[0:1], 0, v1
	v_lshlrev_b32_e32 v2, 2, v0
	s_and_saveexec_b64 s[6:7], s[0:1]
; %bb.12:
	v_lshl_or_b32 v1, v1, 9, v2
	v_add_u32_e32 v1, 0xfffffe00, v1
	ds_write2st64_b32 v1, v17, v16 offset1:1
; %bb.13:
	s_or_b64 exec, exec, s[6:7]
	s_waitcnt lgkmcnt(0)
	s_barrier
	s_and_saveexec_b64 s[0:1], vcc
	s_cbranch_execz .LBB254_16
; %bb.14:
	v_mbcnt_lo_u32_b32 v1, -1, 0
	v_mbcnt_hi_u32_b32 v1, -1, v1
	v_and_b32_e32 v3, 64, v1
	v_add_u32_e32 v5, 64, v3
	v_xor_b32_e32 v3, 32, v1
	v_cmp_lt_i32_e32 vcc, v3, v5
	v_cndmask_b32_e32 v3, v1, v3, vcc
	v_lshlrev_b32_e32 v6, 2, v3
	v_xor_b32_e32 v3, 16, v1
	v_cmp_lt_i32_e32 vcc, v3, v5
	v_cndmask_b32_e32 v3, v1, v3, vcc
	v_lshlrev_b32_e32 v7, 2, v3
	ds_read2st64_b32 v[3:4], v2 offset1:1
	v_xor_b32_e32 v8, 8, v1
	v_cmp_lt_i32_e32 vcc, v8, v5
	v_cndmask_b32_e32 v8, v1, v8, vcc
	v_lshlrev_b32_e32 v8, 2, v8
	s_waitcnt lgkmcnt(0)
	v_add_f32_e32 v3, v17, v3
	v_add_f32_e32 v4, v16, v4
	ds_bpermute_b32 v10, v6, v3
	ds_bpermute_b32 v6, v6, v4
	v_xor_b32_e32 v9, 4, v1
	v_cmp_lt_i32_e32 vcc, v9, v5
	v_cndmask_b32_e32 v9, v1, v9, vcc
	s_waitcnt lgkmcnt(1)
	v_add_f32_e32 v3, v3, v10
	s_waitcnt lgkmcnt(0)
	v_add_f32_e32 v4, v4, v6
	ds_bpermute_b32 v10, v7, v3
	ds_bpermute_b32 v6, v7, v4
	v_lshlrev_b32_e32 v7, 2, v9
	v_xor_b32_e32 v9, 2, v1
	v_cmp_lt_i32_e32 vcc, v9, v5
	s_waitcnt lgkmcnt(1)
	v_add_f32_e32 v3, v3, v10
	s_waitcnt lgkmcnt(0)
	v_add_f32_e32 v4, v4, v6
	ds_bpermute_b32 v10, v8, v3
	ds_bpermute_b32 v6, v8, v4
	v_cndmask_b32_e32 v8, v1, v9, vcc
	s_load_dword s0, s[4:5], 0x58
	s_mov_b32 s3, 0
	s_waitcnt lgkmcnt(0)
	v_add_f32_e32 v3, v3, v10
	v_add_f32_e32 v4, v4, v6
	ds_bpermute_b32 v9, v7, v3
	ds_bpermute_b32 v6, v7, v4
	v_lshlrev_b32_e32 v7, 2, v8
	v_xor_b32_e32 v8, 1, v1
	v_cmp_lt_i32_e32 vcc, v8, v5
	s_waitcnt lgkmcnt(1)
	v_add_f32_e32 v3, v3, v9
	s_waitcnt lgkmcnt(0)
	v_add_f32_e32 v4, v4, v6
	ds_bpermute_b32 v9, v7, v3
	ds_bpermute_b32 v6, v7, v4
	v_cndmask_b32_e32 v1, v1, v8, vcc
	v_lshlrev_b32_e32 v5, 2, v1
	s_waitcnt lgkmcnt(1)
	v_add_f32_e32 v1, v3, v9
	s_waitcnt lgkmcnt(0)
	v_add_f32_e32 v4, v4, v6
	ds_bpermute_b32 v3, v5, v1
	ds_bpermute_b32 v5, v5, v4
	v_or_b32_e32 v6, s9, v0
	v_cmp_gt_u32_e32 vcc, s0, v6
	v_cmp_gt_u32_e64 s[0:1], 2, v0
	s_and_b64 s[0:1], s[0:1], vcc
	s_and_b64 exec, exec, s[0:1]
	s_cbranch_execz .LBB254_16
; %bb.15:
	s_load_dwordx2 s[0:1], s[4:5], 0x38
	s_mul_i32 s2, s2, s10
	s_add_i32 s2, s2, s9
	s_mul_i32 s4, s14, s8
	s_add_i32 s2, s2, s4
	s_lshl_b64 s[2:3], s[2:3], 2
	s_waitcnt lgkmcnt(0)
	s_add_u32 s0, s0, s2
	v_add_f32_e32 v4, v4, v5
	v_add_f32_e32 v1, v1, v3
	v_cmp_eq_u32_e32 vcc, 1, v0
	s_addc_u32 s1, s1, s3
	v_cndmask_b32_e32 v0, v1, v4, vcc
	global_store_dword v2, v0, s[0:1]
.LBB254_16:
	s_endpgm
	.section	.rodata,"a",@progbits
	.p2align	6, 0x0
	.amdhsa_kernel _ZL13mul_mat_vec_qIL9ggml_type21ELi1ELb0ELb1EEvPKvS2_PKi31ggml_cuda_mm_fusion_args_devicePfj15HIP_vector_typeIjLj3EEjjjS8_jjjS8_jjjj
		.amdhsa_group_segment_fixed_size 512
		.amdhsa_private_segment_fixed_size 0
		.amdhsa_kernarg_size 144
		.amdhsa_user_sgpr_count 6
		.amdhsa_user_sgpr_private_segment_buffer 1
		.amdhsa_user_sgpr_dispatch_ptr 0
		.amdhsa_user_sgpr_queue_ptr 0
		.amdhsa_user_sgpr_kernarg_segment_ptr 1
		.amdhsa_user_sgpr_dispatch_id 0
		.amdhsa_user_sgpr_flat_scratch_init 0
		.amdhsa_user_sgpr_private_segment_size 0
		.amdhsa_uses_dynamic_stack 0
		.amdhsa_system_sgpr_private_segment_wavefront_offset 0
		.amdhsa_system_sgpr_workgroup_id_x 1
		.amdhsa_system_sgpr_workgroup_id_y 1
		.amdhsa_system_sgpr_workgroup_id_z 1
		.amdhsa_system_sgpr_workgroup_info 0
		.amdhsa_system_vgpr_workitem_id 1
		.amdhsa_next_free_vgpr 45
		.amdhsa_next_free_sgpr 24
		.amdhsa_reserve_vcc 1
		.amdhsa_reserve_flat_scratch 0
		.amdhsa_float_round_mode_32 0
		.amdhsa_float_round_mode_16_64 0
		.amdhsa_float_denorm_mode_32 3
		.amdhsa_float_denorm_mode_16_64 3
		.amdhsa_dx10_clamp 1
		.amdhsa_ieee_mode 1
		.amdhsa_fp16_overflow 0
		.amdhsa_exception_fp_ieee_invalid_op 0
		.amdhsa_exception_fp_denorm_src 0
		.amdhsa_exception_fp_ieee_div_zero 0
		.amdhsa_exception_fp_ieee_overflow 0
		.amdhsa_exception_fp_ieee_underflow 0
		.amdhsa_exception_fp_ieee_inexact 0
		.amdhsa_exception_int_div_zero 0
	.end_amdhsa_kernel
	.section	.text._ZL13mul_mat_vec_qIL9ggml_type21ELi1ELb0ELb1EEvPKvS2_PKi31ggml_cuda_mm_fusion_args_devicePfj15HIP_vector_typeIjLj3EEjjjS8_jjjS8_jjjj,"axG",@progbits,_ZL13mul_mat_vec_qIL9ggml_type21ELi1ELb0ELb1EEvPKvS2_PKi31ggml_cuda_mm_fusion_args_devicePfj15HIP_vector_typeIjLj3EEjjjS8_jjjS8_jjjj,comdat
.Lfunc_end254:
	.size	_ZL13mul_mat_vec_qIL9ggml_type21ELi1ELb0ELb1EEvPKvS2_PKi31ggml_cuda_mm_fusion_args_devicePfj15HIP_vector_typeIjLj3EEjjjS8_jjjS8_jjjj, .Lfunc_end254-_ZL13mul_mat_vec_qIL9ggml_type21ELi1ELb0ELb1EEvPKvS2_PKi31ggml_cuda_mm_fusion_args_devicePfj15HIP_vector_typeIjLj3EEjjjS8_jjjS8_jjjj
                                        ; -- End function
	.set _ZL13mul_mat_vec_qIL9ggml_type21ELi1ELb0ELb1EEvPKvS2_PKi31ggml_cuda_mm_fusion_args_devicePfj15HIP_vector_typeIjLj3EEjjjS8_jjjS8_jjjj.num_vgpr, 45
	.set _ZL13mul_mat_vec_qIL9ggml_type21ELi1ELb0ELb1EEvPKvS2_PKi31ggml_cuda_mm_fusion_args_devicePfj15HIP_vector_typeIjLj3EEjjjS8_jjjS8_jjjj.num_agpr, 0
	.set _ZL13mul_mat_vec_qIL9ggml_type21ELi1ELb0ELb1EEvPKvS2_PKi31ggml_cuda_mm_fusion_args_devicePfj15HIP_vector_typeIjLj3EEjjjS8_jjjS8_jjjj.numbered_sgpr, 24
	.set _ZL13mul_mat_vec_qIL9ggml_type21ELi1ELb0ELb1EEvPKvS2_PKi31ggml_cuda_mm_fusion_args_devicePfj15HIP_vector_typeIjLj3EEjjjS8_jjjS8_jjjj.num_named_barrier, 0
	.set _ZL13mul_mat_vec_qIL9ggml_type21ELi1ELb0ELb1EEvPKvS2_PKi31ggml_cuda_mm_fusion_args_devicePfj15HIP_vector_typeIjLj3EEjjjS8_jjjS8_jjjj.private_seg_size, 0
	.set _ZL13mul_mat_vec_qIL9ggml_type21ELi1ELb0ELb1EEvPKvS2_PKi31ggml_cuda_mm_fusion_args_devicePfj15HIP_vector_typeIjLj3EEjjjS8_jjjS8_jjjj.uses_vcc, 1
	.set _ZL13mul_mat_vec_qIL9ggml_type21ELi1ELb0ELb1EEvPKvS2_PKi31ggml_cuda_mm_fusion_args_devicePfj15HIP_vector_typeIjLj3EEjjjS8_jjjS8_jjjj.uses_flat_scratch, 0
	.set _ZL13mul_mat_vec_qIL9ggml_type21ELi1ELb0ELb1EEvPKvS2_PKi31ggml_cuda_mm_fusion_args_devicePfj15HIP_vector_typeIjLj3EEjjjS8_jjjS8_jjjj.has_dyn_sized_stack, 0
	.set _ZL13mul_mat_vec_qIL9ggml_type21ELi1ELb0ELb1EEvPKvS2_PKi31ggml_cuda_mm_fusion_args_devicePfj15HIP_vector_typeIjLj3EEjjjS8_jjjS8_jjjj.has_recursion, 0
	.set _ZL13mul_mat_vec_qIL9ggml_type21ELi1ELb0ELb1EEvPKvS2_PKi31ggml_cuda_mm_fusion_args_devicePfj15HIP_vector_typeIjLj3EEjjjS8_jjjS8_jjjj.has_indirect_call, 0
	.section	.AMDGPU.csdata,"",@progbits
; Kernel info:
; codeLenInByte = 5264
; TotalNumSgprs: 28
; NumVgprs: 45
; ScratchSize: 0
; MemoryBound: 0
; FloatMode: 240
; IeeeMode: 1
; LDSByteSize: 512 bytes/workgroup (compile time only)
; SGPRBlocks: 3
; VGPRBlocks: 11
; NumSGPRsForWavesPerEU: 28
; NumVGPRsForWavesPerEU: 45
; Occupancy: 5
; WaveLimiterHint : 0
; COMPUTE_PGM_RSRC2:SCRATCH_EN: 0
; COMPUTE_PGM_RSRC2:USER_SGPR: 6
; COMPUTE_PGM_RSRC2:TRAP_HANDLER: 0
; COMPUTE_PGM_RSRC2:TGID_X_EN: 1
; COMPUTE_PGM_RSRC2:TGID_Y_EN: 1
; COMPUTE_PGM_RSRC2:TGID_Z_EN: 1
; COMPUTE_PGM_RSRC2:TIDIG_COMP_CNT: 1
	.section	.text._ZL13mul_mat_vec_qIL9ggml_type21ELi1ELb1ELb0EEvPKvS2_PKi31ggml_cuda_mm_fusion_args_devicePfj15HIP_vector_typeIjLj3EEjjjS8_jjjS8_jjjj,"axG",@progbits,_ZL13mul_mat_vec_qIL9ggml_type21ELi1ELb1ELb0EEvPKvS2_PKi31ggml_cuda_mm_fusion_args_devicePfj15HIP_vector_typeIjLj3EEjjjS8_jjjS8_jjjj,comdat
	.globl	_ZL13mul_mat_vec_qIL9ggml_type21ELi1ELb1ELb0EEvPKvS2_PKi31ggml_cuda_mm_fusion_args_devicePfj15HIP_vector_typeIjLj3EEjjjS8_jjjS8_jjjj ; -- Begin function _ZL13mul_mat_vec_qIL9ggml_type21ELi1ELb1ELb0EEvPKvS2_PKi31ggml_cuda_mm_fusion_args_devicePfj15HIP_vector_typeIjLj3EEjjjS8_jjjS8_jjjj
	.p2align	8
	.type	_ZL13mul_mat_vec_qIL9ggml_type21ELi1ELb1ELb0EEvPKvS2_PKi31ggml_cuda_mm_fusion_args_devicePfj15HIP_vector_typeIjLj3EEjjjS8_jjjS8_jjjj,@function
_ZL13mul_mat_vec_qIL9ggml_type21ELi1ELb1ELb0EEvPKvS2_PKi31ggml_cuda_mm_fusion_args_devicePfj15HIP_vector_typeIjLj3EEjjjS8_jjjS8_jjjj: ; @_ZL13mul_mat_vec_qIL9ggml_type21ELi1ELb1ELb0EEvPKvS2_PKi31ggml_cuda_mm_fusion_args_devicePfj15HIP_vector_typeIjLj3EEjjjS8_jjjS8_jjjj
; %bb.0:
	s_load_dwordx8 s[12:19], s[4:5], 0x0
	s_load_dwordx4 s[28:31], s[4:5], 0x20
	s_load_dwordx4 s[36:39], s[4:5], 0x40
	;; [unrolled: 1-line block ×3, first 2 shown]
	s_mov_b32 s34, s7
	s_waitcnt lgkmcnt(0)
	s_cmp_lg_u64 s[16:17], 0
	s_cselect_b64 s[0:1], -1, 0
	s_cmp_eq_u64 s[16:17], 0
	s_mov_b64 s[2:3], 0
	s_cbranch_scc1 .LBB255_5
; %bb.1:
	s_mov_b32 s35, 0
	s_lshl_b64 s[10:11], s[34:35], 2
	s_add_u32 s10, s16, s10
	s_addc_u32 s11, s17, s11
	s_load_dword s9, s[10:11], 0x0
	s_load_dword s33, s[4:5], 0x50
	;; [unrolled: 1-line block ×3, first 2 shown]
	s_andn2_b64 vcc, exec, s[2:3]
	s_cbranch_vccnz .LBB255_3
.LBB255_2:
	s_load_dwordx2 s[2:3], s[4:5], 0x5c
	s_waitcnt lgkmcnt(0)
	s_mul_hi_u32 s2, s2, s34
	s_add_i32 s2, s34, s2
	s_lshr_b32 s9, s2, s3
.LBB255_3:
	s_andn2_b64 vcc, exec, s[0:1]
	s_cbranch_vccnz .LBB255_6
; %bb.4:
	s_mul_hi_u32 s0, s37, s34
	s_add_i32 s0, s34, s0
	s_lshr_b32 s0, s0, s38
	s_mul_i32 s0, s0, s39
	s_sub_i32 s37, s34, s0
	s_waitcnt lgkmcnt(0)
	s_mov_b32 s2, s9
	s_branch .LBB255_7
.LBB255_5:
                                        ; implicit-def: $sgpr9
	s_load_dword s33, s[4:5], 0x50
	s_load_dword s35, s[4:5], 0x78
	s_branch .LBB255_2
.LBB255_6:
	s_mov_b32 s2, s34
	s_mov_b32 s37, s34
.LBB255_7:
	s_load_dwordx4 s[24:27], s[4:5], 0x80
	s_cmp_lg_u64 s[18:19], 0
	v_or_b32_e32 v2, v0, v1
	s_cselect_b64 s[0:1], -1, 0
	v_cmp_eq_u32_e32 vcc, 0, v2
	s_mov_b32 s17, 0
	s_and_b64 s[38:39], s[0:1], vcc
	v_mov_b32_e32 v19, 0
	s_mul_i32 s10, s2, s22
	v_lshlrev_b32_e32 v18, 2, v0
	v_mov_b32_e32 v20, 0
	s_and_saveexec_b64 s[2:3], s[38:39]
	s_cbranch_execz .LBB255_9
; %bb.8:
	s_waitcnt lgkmcnt(0)
	s_mul_i32 s16, s26, s8
	s_lshl_b64 s[38:39], s[16:17], 2
	s_add_u32 s7, s18, s38
	s_mov_b32 s11, s17
	s_addc_u32 s18, s19, s39
	s_lshl_b64 s[16:17], s[10:11], 2
	s_add_u32 s11, s7, s16
	s_addc_u32 s18, s18, s17
	s_ashr_i32 s7, s6, 31
	s_lshl_b64 s[16:17], s[6:7], 2
	s_add_u32 s16, s11, s16
	s_addc_u32 s17, s18, s17
	global_load_dword v20, v18, s[16:17]
.LBB255_9:
	s_or_b64 exec, exec, s[2:3]
	s_cmp_lg_u64 s[28:29], 0
	s_cselect_b64 s[16:17], -1, 0
	s_cmp_lg_u64 s[30:31], 0
	s_cselect_b64 s[2:3], -1, 0
	s_and_b64 s[18:19], s[2:3], s[16:17]
	s_and_b64 s[38:39], s[18:19], vcc
	s_and_saveexec_b64 s[18:19], s[38:39]
	s_cbranch_execz .LBB255_11
; %bb.10:
	s_waitcnt lgkmcnt(0)
	s_mul_i32 s38, s26, s8
	s_mov_b32 s39, 0
	s_lshl_b64 s[40:41], s[38:39], 2
	s_add_u32 s7, s30, s40
	s_mov_b32 s11, s39
	s_addc_u32 s27, s31, s41
	s_lshl_b64 s[10:11], s[10:11], 2
	s_add_u32 s30, s7, s10
	s_addc_u32 s27, s27, s11
	s_ashr_i32 s7, s6, 31
	s_lshl_b64 s[10:11], s[6:7], 2
	s_add_u32 s10, s30, s10
	s_addc_u32 s11, s27, s11
	global_load_dword v19, v18, s[10:11]
.LBB255_11:
	s_or_b64 exec, exec, s[18:19]
	v_lshl_add_u32 v2, v1, 6, v0
	s_lshr_b32 s7, s36, 8
	v_lshrrev_b32_e32 v24, 3, v2
	v_cmp_gt_u32_e32 vcc, s7, v24
	v_mov_b32_e32 v23, 0
	v_cndmask_b32_e64 v22, 0, 1, s[16:17]
	v_mov_b32_e32 v21, 0
	s_and_saveexec_b64 s[18:19], vcc
	s_cbranch_execz .LBB255_17
; %bb.12:
	s_mul_hi_u32 s10, s23, s8
	s_add_i32 s10, s8, s10
	s_waitcnt lgkmcnt(0)
	s_lshr_b32 s10, s10, s35
	s_mul_i32 s33, s33, s6
	s_mul_i32 s10, s10, s24
	;; [unrolled: 1-line block ×4, first 2 shown]
	s_add_i32 s10, s10, s33
	s_add_i32 s9, s9, s10
	s_mul_hi_u32 s10, s11, 36
	s_mul_i32 s11, s11, 36
	v_lshrrev_b32_e32 v6, 3, v2
	v_mov_b32_e32 v2, s11
	v_mov_b32_e32 v3, s10
	s_movk_i32 s10, 0x120
	v_mad_u64_u32 v[2:3], s[10:11], v6, s10, v[2:3]
	s_mul_i32 s20, s25, s8
	v_and_b32_e32 v26, 7, v0
	v_mad_u64_u32 v[2:3], s[10:11], s20, 36, v[2:3]
	v_lshlrev_b32_e32 v4, 1, v0
	v_and_b32_e32 v5, 14, v4
	v_mad_u64_u32 v[2:3], s[10:11], v26, 36, v[2:3]
	v_bfe_u32 v27, v4, 2, 2
	v_mov_b32_e32 v4, s15
	v_add_co_u32_e32 v2, vcc, s14, v2
	v_addc_co_u32_e32 v3, vcc, v4, v3, vcc
	v_lshlrev_b32_e32 v6, 1, v5
	v_add_co_u32_e32 v10, vcc, 32, v2
	v_mov_b32_e32 v12, s12
	v_mov_b32_e32 v25, 0
	v_and_b32_e32 v28, 4, v6
	v_addc_co_u32_e32 v11, vcc, 0, v3, vcc
	s_mov_b64 s[14:15], 0
	s_movk_i32 s20, 0x6e
	v_lshlrev_b32_e32 v29, 1, v5
	s_movk_i32 s21, 0x100
	s_movk_i32 s23, 0xff00
	s_mov_b32 s24, 0xc0c0105
	v_mov_b32_e32 v13, s13
	v_lshlrev_b32_e32 v30, 1, v6
	v_cmp_ne_u32_e64 s[10:11], 1, v22
	v_mov_b32_e32 v31, 8
	v_mov_b32_e32 v23, 0
	;; [unrolled: 1-line block ×3, first 2 shown]
	s_branch .LBB255_14
.LBB255_13:                             ;   in Loop: Header=BB255_14 Depth=1
	s_waitcnt vmcnt(11)
	v_and_b32_e32 v15, 0xff, v35
	v_lshlrev_b32_e32 v16, 21, v35
	v_lshl_or_b32 v16, v15, 7, v16
	v_and_b32_e32 v17, 0x1800180, v16
	v_bfe_u32 v16, v16, 24, 1
	v_cmp_ne_u16_sdwa s[12:13], v17, v25 src0_sel:BYTE_1 src1_sel:DWORD
	v_cmp_ne_u16_e32 vcc, 0, v16
	v_lshrrev_b16_e32 v44, 7, v17
	v_lshrrev_b32_e32 v45, 2, v35
	v_cndmask_b32_e64 v17, 0, -1, s[12:13]
	v_cndmask_b32_e64 v16, 0, -1, vcc
	v_bfe_i32 v44, v44, 0, 1
	v_lshlrev_b16_e32 v17, 8, v17
	v_lshlrev_b16_e32 v16, 8, v16
	v_bfe_i32 v45, v45, 0, 1
	v_or_b32_sdwa v46, v44, v17 dst_sel:DWORD dst_unused:UNUSED_PAD src0_sel:BYTE_0 src1_sel:DWORD
	v_or_b32_sdwa v47, v45, v16 dst_sel:WORD_1 dst_unused:UNUSED_PAD src0_sel:BYTE_0 src1_sel:DWORD
	v_or_b32_sdwa v46, v46, v47 dst_sel:DWORD dst_unused:UNUSED_PAD src0_sel:WORD_0 src1_sel:DWORD
	v_lshlrev_b32_e32 v47, 17, v35
	s_waitcnt vmcnt(8)
	v_xor_b32_e32 v43, v43, v46
	v_lshl_or_b32 v15, v15, 3, v47
	v_and_b32_e32 v46, 0xffffff00, v43
	v_and_b32_e32 v47, 0x1800180, v15
	v_bfe_u32 v15, v15, 24, 1
	v_sub_i16 v17, v46, v17 clamp
	v_lshlrev_b16_e32 v46, 8, v43
	v_lshlrev_b16_e32 v44, 8, v44
	v_cmp_ne_u16_sdwa s[12:13], v47, v25 src0_sel:BYTE_1 src1_sel:DWORD
	v_cmp_ne_u16_e32 vcc, 0, v15
	v_sub_i16 v44, v46, v44 clamp
	v_lshrrev_b16_e32 v48, 7, v47
	v_lshrrev_b32_e32 v49, 6, v35
	v_cndmask_b32_e64 v47, 0, -1, s[12:13]
	v_cndmask_b32_e64 v15, 0, -1, vcc
	v_perm_b32 v17, v44, v17, s24
	v_and_b32_sdwa v44, v43, s23 dst_sel:DWORD dst_unused:UNUSED_PAD src0_sel:WORD_1 src1_sel:DWORD
	v_bfe_i32 v48, v48, 0, 1
	v_lshlrev_b16_e32 v47, 8, v47
	v_lshlrev_b16_e32 v15, 8, v15
	v_bfe_i32 v49, v49, 0, 1
	v_sub_i16 v16, v44, v16 clamp
	v_lshlrev_b16_sdwa v43, v31, v43 dst_sel:DWORD dst_unused:UNUSED_PAD src0_sel:DWORD src1_sel:WORD_1
	v_lshlrev_b16_e32 v44, 8, v45
	v_or_b32_sdwa v50, v48, v47 dst_sel:DWORD dst_unused:UNUSED_PAD src0_sel:BYTE_0 src1_sel:DWORD
	v_or_b32_sdwa v51, v49, v15 dst_sel:WORD_1 dst_unused:UNUSED_PAD src0_sel:BYTE_0 src1_sel:DWORD
	v_sub_i16 v43, v43, v44 clamp
	v_or_b32_sdwa v50, v50, v51 dst_sel:DWORD dst_unused:UNUSED_PAD src0_sel:WORD_0 src1_sel:DWORD
	v_perm_b32 v16, v43, v16, s24
	v_lshl_or_b32 v16, v16, 16, v17
	s_waitcnt vmcnt(7)
	v_xor_b32_e32 v17, v42, v50
	v_and_b32_e32 v42, 0xffffff00, v17
	v_lshlrev_b16_e32 v43, 8, v17
	v_lshlrev_b16_e32 v44, 8, v48
	v_sub_i16 v42, v42, v47 clamp
	v_sub_i16 v43, v43, v44 clamp
	v_perm_b32 v42, v43, v42, s24
	v_and_b32_sdwa v43, v17, s23 dst_sel:DWORD dst_unused:UNUSED_PAD src0_sel:WORD_1 src1_sel:DWORD
	v_sub_i16 v15, v43, v15 clamp
	v_lshlrev_b16_sdwa v17, v31, v17 dst_sel:DWORD dst_unused:UNUSED_PAD src0_sel:DWORD src1_sel:WORD_1
	v_lshlrev_b16_e32 v43, 8, v49
	v_sub_i16 v17, v17, v43 clamp
	v_perm_b32 v15, v17, v15, s24
	v_lshl_or_b32 v15, v15, 16, v42
	v_dot4_i32_i8 v7, v16, v7, 0
	v_dot4_i32_i8 v7, v15, v8, v7
	v_lshrrev_b32_e32 v8, 1, v35
	v_and_b32_e32 v8, 0x180, v8
	v_lshrrev_b32_e32 v15, 11, v35
	v_cmp_ne_u16_sdwa s[12:13], v8, v25 src0_sel:BYTE_1 src1_sel:DWORD
	v_lshrrev_b32_e32 v16, 10, v35
	v_lshrrev_b16_e32 v17, 7, v8
	v_cndmask_b32_e64 v8, 0, -1, s[12:13]
	v_bfe_i32 v15, v15, 0, 1
	v_bfe_i32 v17, v17, 0, 1
	v_lshlrev_b16_e32 v8, 8, v8
	v_lshlrev_b16_e32 v15, 8, v15
	v_bfe_i32 v16, v16, 0, 1
	v_or_b32_sdwa v42, v17, v8 dst_sel:DWORD dst_unused:UNUSED_PAD src0_sel:BYTE_0 src1_sel:DWORD
	v_or_b32_sdwa v43, v16, v15 dst_sel:WORD_1 dst_unused:UNUSED_PAD src0_sel:BYTE_0 src1_sel:DWORD
	v_or_b32_sdwa v42, v42, v43 dst_sel:DWORD dst_unused:UNUSED_PAD src0_sel:WORD_0 src1_sel:DWORD
	s_waitcnt vmcnt(6)
	v_xor_b32_e32 v41, v41, v42
	v_lshrrev_b32_e32 v43, 5, v35
	v_and_b32_e32 v42, 0xffffff00, v41
	v_and_b32_e32 v43, 0x180, v43
	v_sub_i16 v8, v42, v8 clamp
	v_lshlrev_b16_e32 v42, 8, v41
	v_lshlrev_b16_e32 v17, 8, v17
	v_lshrrev_b32_e32 v44, 15, v35
	v_cmp_ne_u16_sdwa s[12:13], v43, v25 src0_sel:BYTE_1 src1_sel:DWORD
	v_sub_i16 v17, v42, v17 clamp
	v_lshrrev_b32_e32 v45, 14, v35
	v_lshrrev_b16_e32 v46, 7, v43
	v_cndmask_b32_e64 v43, 0, -1, s[12:13]
	v_bfe_i32 v44, v44, 0, 1
	v_perm_b32 v8, v17, v8, s24
	v_and_b32_sdwa v17, v41, s23 dst_sel:DWORD dst_unused:UNUSED_PAD src0_sel:WORD_1 src1_sel:DWORD
	v_bfe_i32 v46, v46, 0, 1
	v_lshlrev_b16_e32 v43, 8, v43
	v_lshlrev_b16_e32 v44, 8, v44
	v_bfe_i32 v45, v45, 0, 1
	v_sub_i16 v15, v17, v15 clamp
	v_lshlrev_b16_sdwa v17, v31, v41 dst_sel:DWORD dst_unused:UNUSED_PAD src0_sel:DWORD src1_sel:WORD_1
	v_lshlrev_b16_e32 v16, 8, v16
	v_or_b32_sdwa v47, v46, v43 dst_sel:DWORD dst_unused:UNUSED_PAD src0_sel:BYTE_0 src1_sel:DWORD
	v_or_b32_sdwa v48, v45, v44 dst_sel:WORD_1 dst_unused:UNUSED_PAD src0_sel:BYTE_0 src1_sel:DWORD
	v_sub_i16 v16, v17, v16 clamp
	v_or_b32_sdwa v47, v47, v48 dst_sel:DWORD dst_unused:UNUSED_PAD src0_sel:WORD_0 src1_sel:DWORD
	v_perm_b32 v15, v16, v15, s24
	v_lshl_or_b32 v8, v15, 16, v8
	s_waitcnt vmcnt(5)
	v_xor_b32_e32 v15, v40, v47
	v_and_b32_e32 v16, 0xffffff00, v15
	v_lshlrev_b16_e32 v17, 8, v15
	v_lshlrev_b16_e32 v40, 8, v46
	v_sub_i16 v16, v16, v43 clamp
	v_sub_i16 v17, v17, v40 clamp
	v_perm_b32 v16, v17, v16, s24
	v_and_b32_sdwa v17, v15, s23 dst_sel:DWORD dst_unused:UNUSED_PAD src0_sel:WORD_1 src1_sel:DWORD
	v_lshlrev_b16_sdwa v15, v31, v15 dst_sel:DWORD dst_unused:UNUSED_PAD src0_sel:DWORD src1_sel:WORD_1
	v_lshlrev_b16_e32 v40, 8, v45
	v_sub_i16 v17, v17, v44 clamp
	v_sub_i16 v15, v15, v40 clamp
	v_perm_b32 v15, v15, v17, s24
	v_lshl_or_b32 v15, v15, 16, v16
	v_dot4_i32_i8 v7, v8, v9, v7
	v_lshrrev_b32_e32 v14, 16, v35
	s_waitcnt vmcnt(0)
	v_dot4_i32_i8 v2, v15, v2, v7
	v_lshrrev_b32_e32 v7, 9, v35
	v_lshl_or_b32 v7, v14, 21, v7
	v_and_b32_e32 v8, 0x1800180, v7
	v_bfe_u32 v7, v7, 24, 1
	v_cmp_ne_u16_sdwa s[12:13], v8, v25 src0_sel:BYTE_1 src1_sel:DWORD
	v_cmp_ne_u16_e32 vcc, 0, v7
	v_lshrrev_b16_e32 v9, 7, v8
	v_lshrrev_b32_e32 v15, 18, v35
	v_cndmask_b32_e64 v8, 0, -1, s[12:13]
	v_cndmask_b32_e64 v7, 0, -1, vcc
	v_bfe_i32 v9, v9, 0, 1
	v_lshlrev_b16_e32 v8, 8, v8
	v_lshlrev_b16_e32 v7, 8, v7
	v_bfe_i32 v15, v15, 0, 1
	v_or_b32_sdwa v16, v9, v8 dst_sel:DWORD dst_unused:UNUSED_PAD src0_sel:BYTE_0 src1_sel:DWORD
	v_or_b32_sdwa v17, v15, v7 dst_sel:WORD_1 dst_unused:UNUSED_PAD src0_sel:BYTE_0 src1_sel:DWORD
	v_or_b32_sdwa v16, v16, v17 dst_sel:DWORD dst_unused:UNUSED_PAD src0_sel:WORD_0 src1_sel:DWORD
	v_lshrrev_b32_e32 v17, 13, v35
	v_xor_b32_e32 v16, v39, v16
	v_lshl_or_b32 v14, v14, 17, v17
	v_and_b32_e32 v39, 0xffffff00, v16
	v_and_b32_e32 v17, 0x1800180, v14
	v_bfe_u32 v14, v14, 24, 1
	v_sub_i16 v8, v39, v8 clamp
	v_lshlrev_b16_e32 v39, 8, v16
	v_lshlrev_b16_e32 v9, 8, v9
	v_cmp_ne_u16_sdwa s[12:13], v17, v25 src0_sel:BYTE_1 src1_sel:DWORD
	v_cmp_ne_u16_e32 vcc, 0, v14
	v_sub_i16 v9, v39, v9 clamp
	v_lshrrev_b16_e32 v40, 7, v17
	v_lshrrev_b32_e32 v41, 22, v35
	v_cndmask_b32_e64 v17, 0, -1, s[12:13]
	v_cndmask_b32_e64 v14, 0, -1, vcc
	v_perm_b32 v8, v9, v8, s24
	v_and_b32_sdwa v9, v16, s23 dst_sel:DWORD dst_unused:UNUSED_PAD src0_sel:WORD_1 src1_sel:DWORD
	v_bfe_i32 v40, v40, 0, 1
	v_lshlrev_b16_e32 v17, 8, v17
	v_lshlrev_b16_e32 v14, 8, v14
	v_bfe_i32 v41, v41, 0, 1
	v_sub_i16 v7, v9, v7 clamp
	v_lshlrev_b16_sdwa v9, v31, v16 dst_sel:DWORD dst_unused:UNUSED_PAD src0_sel:DWORD src1_sel:WORD_1
	v_lshlrev_b16_e32 v15, 8, v15
	v_or_b32_sdwa v42, v40, v17 dst_sel:DWORD dst_unused:UNUSED_PAD src0_sel:BYTE_0 src1_sel:DWORD
	v_or_b32_sdwa v43, v41, v14 dst_sel:WORD_1 dst_unused:UNUSED_PAD src0_sel:BYTE_0 src1_sel:DWORD
	v_sub_i16 v9, v9, v15 clamp
	v_or_b32_sdwa v42, v42, v43 dst_sel:DWORD dst_unused:UNUSED_PAD src0_sel:WORD_0 src1_sel:DWORD
	v_perm_b32 v7, v9, v7, s24
	v_lshl_or_b32 v7, v7, 16, v8
	v_xor_b32_e32 v8, v38, v42
	v_and_b32_e32 v9, 0xffffff00, v8
	v_lshlrev_b16_e32 v15, 8, v8
	v_lshlrev_b16_e32 v16, 8, v40
	v_sub_i16 v9, v9, v17 clamp
	v_sub_i16 v15, v15, v16 clamp
	v_perm_b32 v9, v15, v9, s24
	v_and_b32_sdwa v15, v8, s23 dst_sel:DWORD dst_unused:UNUSED_PAD src0_sel:WORD_1 src1_sel:DWORD
	v_sub_i16 v14, v15, v14 clamp
	v_lshlrev_b16_sdwa v8, v31, v8 dst_sel:DWORD dst_unused:UNUSED_PAD src0_sel:DWORD src1_sel:WORD_1
	v_lshlrev_b16_e32 v15, 8, v41
	v_sub_i16 v8, v8, v15 clamp
	v_perm_b32 v8, v8, v14, s24
	v_lshl_or_b32 v8, v8, 16, v9
	v_dot4_i32_i8 v2, v7, v3, v2
	v_dot4_i32_i8 v2, v8, v4, v2
	v_lshrrev_b32_e32 v3, 17, v35
	v_lshrrev_b32_e32 v4, 24, v35
	v_lshl_or_b32 v3, v4, 21, v3
	v_and_b32_e32 v4, 0x1800180, v3
	v_bfe_u32 v3, v3, 24, 1
	v_cmp_ne_u16_sdwa s[12:13], v4, v25 src0_sel:BYTE_1 src1_sel:DWORD
	v_cmp_ne_u16_e32 vcc, 0, v3
	v_lshrrev_b16_e32 v7, 7, v4
	v_lshrrev_b32_e32 v8, 26, v35
	v_cndmask_b32_e64 v4, 0, -1, s[12:13]
	v_cndmask_b32_e64 v3, 0, -1, vcc
	v_bfe_i32 v7, v7, 0, 1
	v_lshlrev_b16_e32 v4, 8, v4
	v_lshlrev_b16_e32 v3, 8, v3
	v_bfe_i32 v8, v8, 0, 1
	v_or_b32_sdwa v9, v7, v4 dst_sel:DWORD dst_unused:UNUSED_PAD src0_sel:BYTE_0 src1_sel:DWORD
	v_or_b32_sdwa v14, v8, v3 dst_sel:WORD_1 dst_unused:UNUSED_PAD src0_sel:BYTE_0 src1_sel:DWORD
	v_or_b32_sdwa v9, v9, v14 dst_sel:DWORD dst_unused:UNUSED_PAD src0_sel:WORD_0 src1_sel:DWORD
	v_xor_b32_e32 v9, v37, v9
	v_and_b32_e32 v37, 0xffffff00, v9
	v_lshrrev_b32_e32 v14, 21, v35
	v_lshrrev_b32_e32 v16, 31, v35
	v_sub_i16 v4, v37, v4 clamp
	v_lshlrev_b16_e32 v37, 8, v9
	v_lshlrev_b16_e32 v7, 8, v7
	v_lshrrev_b16_e32 v15, 8, v14
	v_cmp_ne_u16_e32 vcc, 0, v16
	v_sub_i16 v7, v37, v7 clamp
	v_lshrrev_b32_e32 v17, 30, v35
	v_lshrrev_b16_e32 v14, 7, v14
	v_bfe_i32 v15, v15, 0, 1
	v_cndmask_b32_e64 v16, 0, -1, vcc
	v_perm_b32 v4, v7, v4, s24
	v_and_b32_sdwa v7, v9, s23 dst_sel:DWORD dst_unused:UNUSED_PAD src0_sel:WORD_1 src1_sel:DWORD
	v_lshlrev_b16_e32 v15, 8, v15
	v_bfe_i32 v14, v14, 0, 1
	v_bfe_i32 v17, v17, 0, 1
	v_lshlrev_b16_e32 v16, 8, v16
	v_sub_i16 v3, v7, v3 clamp
	v_lshlrev_b16_sdwa v7, v31, v9 dst_sel:DWORD dst_unused:UNUSED_PAD src0_sel:DWORD src1_sel:WORD_1
	v_lshlrev_b16_e32 v8, 8, v8
	v_or_b32_sdwa v35, v14, v15 dst_sel:DWORD dst_unused:UNUSED_PAD src0_sel:BYTE_0 src1_sel:DWORD
	v_or_b32_sdwa v38, v17, v16 dst_sel:WORD_1 dst_unused:UNUSED_PAD src0_sel:BYTE_0 src1_sel:DWORD
	v_sub_i16 v7, v7, v8 clamp
	v_or_b32_sdwa v35, v35, v38 dst_sel:DWORD dst_unused:UNUSED_PAD src0_sel:WORD_0 src1_sel:DWORD
	v_perm_b32 v3, v7, v3, s24
	v_lshl_or_b32 v3, v3, 16, v4
	v_xor_b32_e32 v4, v36, v35
	v_and_b32_e32 v7, 0xffffff00, v4
	v_lshlrev_b16_e32 v8, 8, v4
	v_lshlrev_b16_e32 v9, 8, v14
	v_sub_i16 v7, v7, v15 clamp
	v_sub_i16 v8, v8, v9 clamp
	v_perm_b32 v7, v8, v7, s24
	v_and_b32_sdwa v8, v4, s23 dst_sel:DWORD dst_unused:UNUSED_PAD src0_sel:WORD_1 src1_sel:DWORD
	v_lshlrev_b16_sdwa v4, v31, v4 dst_sel:DWORD dst_unused:UNUSED_PAD src0_sel:DWORD src1_sel:WORD_1
	v_lshlrev_b16_e32 v9, 8, v17
	v_sub_i16 v8, v8, v16 clamp
	v_sub_i16 v4, v4, v9 clamp
	v_perm_b32 v4, v4, v8, s24
	v_dot4_i32_i8 v2, v3, v5, v2
	v_lshrrev_b32_sdwa v3, v28, v34 dst_sel:DWORD dst_unused:UNUSED_PAD src0_sel:DWORD src1_sel:BYTE_0
	v_lshl_or_b32 v4, v4, 16, v7
	v_lshlrev_b32_e32 v3, 1, v3
	v_dot4_i32_i8 v2, v4, v32, v2
	v_and_or_b32 v3, v3, 30, 1
	v_mul_lo_u32 v2, v2, v3
	v_cvt_f32_f16_e32 v3, v33
	v_add_u32_e32 v24, 16, v24
	v_add_co_u32_e32 v10, vcc, 0x1200, v10
	v_cvt_f32_i32_e32 v2, v2
	v_mul_f32_e32 v3, v3, v6
	v_cmp_le_u32_e64 s[12:13], s7, v24
	s_or_b64 s[14:15], s[12:13], s[14:15]
	v_fmac_f32_e32 v23, v3, v2
	v_addc_co_u32_e32 v11, vcc, 0, v11, vcc
	s_andn2_b64 exec, exec, s[14:15]
	s_cbranch_execz .LBB255_16
.LBB255_14:                             ; =>This Inner Loop Header: Depth=1
	v_add_u32_e32 v14, s9, v24
	v_mad_i64_i32 v[2:3], s[12:13], v14, s20, v[12:13]
	s_getpc_b64 s[12:13]
	s_add_u32 s12, s12, _ZL9iq3s_grid@rel32@lo+4
	s_addc_u32 s13, s13, _ZL9iq3s_grid@rel32@hi+12
	v_add_co_u32_e32 v4, vcc, v2, v30
	v_addc_co_u32_e32 v5, vcc, 0, v3, vcc
	v_add_co_u32_e32 v6, vcc, v2, v26
	v_addc_co_u32_e32 v7, vcc, 0, v3, vcc
	global_load_dwordx2 v[4:5], v[4:5], off offset:2
	v_add_co_u32_e32 v15, vcc, v2, v29
	global_load_ubyte v17, v[6:7], off offset:66
	v_addc_co_u32_e32 v16, vcc, 0, v3, vcc
	v_add_co_u32_e32 v36, vcc, v2, v27
	global_load_dword v32, v[10:11], off
	global_load_dwordx4 v[6:9], v[10:11], off offset:-32
	v_addc_co_u32_e32 v37, vcc, 0, v3, vcc
	global_load_dword v35, v[15:16], off offset:74
	global_load_ubyte v34, v[36:37], off offset:106
	global_load_ushort v33, v[2:3], off
	s_and_b64 vcc, exec, s[10:11]
	s_waitcnt vmcnt(6)
	v_and_b32_e32 v2, 0xff, v4
	v_bfe_u32 v3, v4, 8, 8
	v_bfe_u32 v15, v4, 16, 8
	s_waitcnt vmcnt(5)
	v_lshlrev_b32_e32 v38, 8, v17
	v_lshrrev_b32_e32 v4, 24, v4
	v_and_b32_e32 v16, 0xff, v5
	v_bfe_u32 v36, v5, 8, 8
	v_bfe_u32 v37, v5, 16, 8
	v_lshrrev_b32_e32 v5, 24, v5
	v_lshlrev_b32_e32 v39, 7, v17
	v_lshlrev_b32_e32 v40, 6, v17
	;; [unrolled: 1-line block ×7, first 2 shown]
	v_and_or_b32 v2, v38, s21, v2
	v_and_or_b32 v3, v39, s21, v3
	;; [unrolled: 1-line block ×8, first 2 shown]
	v_lshlrev_b32_e32 v17, 2, v2
	v_lshlrev_b32_e32 v44, 2, v3
	;; [unrolled: 1-line block ×8, first 2 shown]
	global_load_dword v43, v17, s[12:13]
	global_load_dword v42, v44, s[12:13]
	;; [unrolled: 1-line block ×8, first 2 shown]
	global_load_dwordx4 v[2:5], v[10:11], off offset:-16
	s_waitcnt vmcnt(12)
	v_cvt_f32_f16_e32 v6, v6
	s_cbranch_vccnz .LBB255_13
; %bb.15:                               ;   in Loop: Header=BB255_14 Depth=1
	v_mov_b32_e32 v15, s28
	v_mov_b32_e32 v16, s29
	v_mad_i64_i32 v[14:15], s[30:31], v14, s20, v[15:16]
	v_add_co_u32_e32 v16, vcc, v14, v27
	v_addc_co_u32_e32 v17, vcc, 0, v15, vcc
	v_add_co_u32_e32 v44, vcc, v14, v29
	v_addc_co_u32_e32 v45, vcc, 0, v15, vcc
	;; [unrolled: 2-line block ×4, first 2 shown]
	global_load_dwordx2 v[50:51], v[48:49], off offset:2
	global_load_ubyte v52, v[46:47], off offset:66
	global_load_dword v53, v[44:45], off offset:74
	s_waitcnt vmcnt(2)
	v_and_b32_e32 v45, 0xff, v50
	s_waitcnt vmcnt(1)
	v_lshlrev_b32_e32 v46, 8, v52
	v_and_or_b32 v45, v46, s21, v45
	v_lshlrev_b32_e32 v45, 2, v45
	global_load_dword v45, v45, s[12:13]
	v_bfe_u32 v46, v50, 8, 8
	v_lshlrev_b32_e32 v47, 7, v52
	v_and_or_b32 v46, v47, s21, v46
	v_lshlrev_b32_e32 v46, 2, v46
	global_load_dword v46, v46, s[12:13]
	s_waitcnt vmcnt(2)
	v_and_b32_e32 v47, 0xff, v53
	v_lshlrev_b32_e32 v48, 21, v53
	v_lshl_or_b32 v48, v47, 7, v48
	v_and_b32_e32 v49, 0x1800180, v48
	v_bfe_u32 v48, v48, 24, 1
	v_cmp_ne_u16_e32 vcc, 0, v48
	v_cmp_ne_u16_sdwa s[30:31], v49, v25 src0_sel:BYTE_1 src1_sel:DWORD
	v_lshrrev_b16_e32 v48, 7, v49
	v_lshrrev_b32_e32 v49, 2, v53
	v_cndmask_b32_e64 v54, 0, -1, s[30:31]
	v_cndmask_b32_e64 v56, 0, -1, vcc
	v_bfe_i32 v48, v48, 0, 1
	v_lshlrev_b16_e32 v54, 8, v54
	v_lshlrev_b16_e32 v56, 8, v56
	v_bfe_i32 v49, v49, 0, 1
	v_or_b32_sdwa v55, v48, v54 dst_sel:DWORD dst_unused:UNUSED_PAD src0_sel:BYTE_0 src1_sel:DWORD
	v_or_b32_sdwa v57, v49, v56 dst_sel:WORD_1 dst_unused:UNUSED_PAD src0_sel:BYTE_0 src1_sel:DWORD
	v_or_b32_sdwa v55, v55, v57 dst_sel:DWORD dst_unused:UNUSED_PAD src0_sel:WORD_0 src1_sel:DWORD
	v_lshlrev_b32_e32 v57, 17, v53
	v_lshl_or_b32 v47, v47, 3, v57
	v_and_b32_e32 v57, 0x1800180, v47
	v_bfe_u32 v47, v47, 24, 1
	v_cmp_ne_u16_e32 vcc, 0, v47
	v_cmp_ne_u16_sdwa s[30:31], v57, v25 src0_sel:BYTE_1 src1_sel:DWORD
	v_lshrrev_b16_e32 v47, 7, v57
	v_lshrrev_b32_e32 v57, 6, v53
	v_cndmask_b32_e64 v58, 0, -1, s[30:31]
	v_cndmask_b32_e64 v60, 0, -1, vcc
	v_lshlrev_b16_e32 v48, 8, v48
	v_bfe_i32 v47, v47, 0, 1
	v_lshlrev_b16_e32 v58, 8, v58
	v_lshlrev_b16_e32 v60, 8, v60
	v_bfe_i32 v57, v57, 0, 1
	v_or_b32_sdwa v59, v47, v58 dst_sel:DWORD dst_unused:UNUSED_PAD src0_sel:BYTE_0 src1_sel:DWORD
	v_or_b32_sdwa v61, v57, v60 dst_sel:WORD_1 dst_unused:UNUSED_PAD src0_sel:BYTE_0 src1_sel:DWORD
	v_lshlrev_b16_e32 v49, 8, v49
	v_or_b32_sdwa v59, v59, v61 dst_sel:DWORD dst_unused:UNUSED_PAD src0_sel:WORD_0 src1_sel:DWORD
	v_lshlrev_b16_e32 v47, 8, v47
	v_lshrrev_b32_e32 v44, 16, v53
	global_load_ubyte v16, v[16:17], off offset:106
	s_waitcnt vmcnt(2)
	v_xor_b32_e32 v45, v45, v55
	v_and_b32_e32 v55, 0xffffff00, v45
	v_sub_i16 v54, v55, v54 clamp
	v_lshlrev_b16_e32 v55, 8, v45
	v_sub_i16 v48, v55, v48 clamp
	v_perm_b32 v48, v48, v54, s24
	v_and_b32_sdwa v54, v45, s23 dst_sel:DWORD dst_unused:UNUSED_PAD src0_sel:WORD_1 src1_sel:DWORD
	v_lshlrev_b16_sdwa v45, v31, v45 dst_sel:DWORD dst_unused:UNUSED_PAD src0_sel:DWORD src1_sel:WORD_1
	v_sub_i16 v54, v54, v56 clamp
	v_sub_i16 v45, v45, v49 clamp
	v_perm_b32 v45, v45, v54, s24
	s_waitcnt vmcnt(1)
	v_xor_b32_e32 v46, v46, v59
	v_lshl_or_b32 v45, v45, 16, v48
	v_and_b32_e32 v48, 0xffffff00, v46
	v_lshlrev_b16_e32 v49, 8, v46
	v_sub_i16 v48, v48, v58 clamp
	v_sub_i16 v47, v49, v47 clamp
	v_perm_b32 v47, v47, v48, s24
	v_and_b32_sdwa v48, v46, s23 dst_sel:DWORD dst_unused:UNUSED_PAD src0_sel:WORD_1 src1_sel:DWORD
	v_lshlrev_b16_sdwa v46, v31, v46 dst_sel:DWORD dst_unused:UNUSED_PAD src0_sel:DWORD src1_sel:WORD_1
	v_lshlrev_b16_e32 v49, 8, v57
	v_sub_i16 v48, v48, v60 clamp
	v_sub_i16 v46, v46, v49 clamp
	v_perm_b32 v46, v46, v48, s24
	v_lshl_or_b32 v46, v46, 16, v47
	v_dot4_i32_i8 v45, v45, v7, 0
	v_dot4_i32_i8 v45, v46, v8, v45
	v_bfe_u32 v46, v50, 16, 8
	v_lshlrev_b32_e32 v47, 6, v52
	v_and_or_b32 v46, v47, s21, v46
	v_lshlrev_b32_e32 v46, 2, v46
	global_load_dword v46, v46, s[12:13]
	v_lshrrev_b32_e32 v47, 24, v50
	v_lshlrev_b32_e32 v48, 5, v52
	v_and_or_b32 v47, v48, s21, v47
	v_lshlrev_b32_e32 v47, 2, v47
	global_load_dword v47, v47, s[12:13]
	v_lshrrev_b32_e32 v48, 1, v53
	v_and_b32_e32 v48, 0x180, v48
	v_lshrrev_b32_e32 v49, 11, v53
	v_cmp_ne_u16_sdwa s[30:31], v48, v25 src0_sel:BYTE_1 src1_sel:DWORD
	v_lshrrev_b32_e32 v50, 10, v53
	v_lshrrev_b16_e32 v48, 7, v48
	v_cndmask_b32_e64 v54, 0, -1, s[30:31]
	v_bfe_i32 v49, v49, 0, 1
	v_bfe_i32 v48, v48, 0, 1
	v_lshlrev_b16_e32 v54, 8, v54
	v_lshlrev_b16_e32 v49, 8, v49
	v_bfe_i32 v50, v50, 0, 1
	v_or_b32_sdwa v55, v48, v54 dst_sel:DWORD dst_unused:UNUSED_PAD src0_sel:BYTE_0 src1_sel:DWORD
	v_or_b32_sdwa v56, v50, v49 dst_sel:WORD_1 dst_unused:UNUSED_PAD src0_sel:BYTE_0 src1_sel:DWORD
	v_or_b32_sdwa v55, v55, v56 dst_sel:DWORD dst_unused:UNUSED_PAD src0_sel:WORD_0 src1_sel:DWORD
	v_lshrrev_b32_e32 v56, 5, v53
	v_and_b32_e32 v56, 0x180, v56
	v_lshrrev_b32_e32 v57, 15, v53
	v_cmp_ne_u16_sdwa s[30:31], v56, v25 src0_sel:BYTE_1 src1_sel:DWORD
	v_lshrrev_b32_e32 v58, 14, v53
	v_lshrrev_b16_e32 v56, 7, v56
	v_cndmask_b32_e64 v59, 0, -1, s[30:31]
	v_bfe_i32 v57, v57, 0, 1
	v_lshlrev_b16_e32 v48, 8, v48
	v_bfe_i32 v56, v56, 0, 1
	v_lshlrev_b16_e32 v59, 8, v59
	v_lshlrev_b16_e32 v57, 8, v57
	v_bfe_i32 v58, v58, 0, 1
	v_or_b32_sdwa v60, v56, v59 dst_sel:DWORD dst_unused:UNUSED_PAD src0_sel:BYTE_0 src1_sel:DWORD
	v_or_b32_sdwa v61, v58, v57 dst_sel:WORD_1 dst_unused:UNUSED_PAD src0_sel:BYTE_0 src1_sel:DWORD
	v_lshlrev_b16_e32 v50, 8, v50
	v_or_b32_sdwa v60, v60, v61 dst_sel:DWORD dst_unused:UNUSED_PAD src0_sel:WORD_0 src1_sel:DWORD
	global_load_ushort v14, v[14:15], off
	s_waitcnt vmcnt(3)
	v_lshrrev_b32_e32 v16, v28, v16
	v_lshlrev_b32_e32 v16, 1, v16
	v_and_or_b32 v16, v16, 30, 1
	s_waitcnt vmcnt(2)
	v_xor_b32_e32 v46, v46, v55
	v_and_b32_e32 v55, 0xffffff00, v46
	v_sub_i16 v54, v55, v54 clamp
	v_lshlrev_b16_e32 v55, 8, v46
	v_sub_i16 v48, v55, v48 clamp
	v_perm_b32 v48, v48, v54, s24
	v_and_b32_sdwa v54, v46, s23 dst_sel:DWORD dst_unused:UNUSED_PAD src0_sel:WORD_1 src1_sel:DWORD
	v_lshlrev_b16_sdwa v46, v31, v46 dst_sel:DWORD dst_unused:UNUSED_PAD src0_sel:DWORD src1_sel:WORD_1
	v_sub_i16 v49, v54, v49 clamp
	v_sub_i16 v46, v46, v50 clamp
	v_perm_b32 v46, v46, v49, s24
	s_waitcnt vmcnt(1)
	v_xor_b32_e32 v47, v47, v60
	v_lshl_or_b32 v46, v46, 16, v48
	v_and_b32_e32 v48, 0xffffff00, v47
	v_lshlrev_b16_e32 v49, 8, v47
	v_lshlrev_b16_e32 v50, 8, v56
	v_sub_i16 v48, v48, v59 clamp
	v_sub_i16 v49, v49, v50 clamp
	v_perm_b32 v48, v49, v48, s24
	v_and_b32_sdwa v49, v47, s23 dst_sel:DWORD dst_unused:UNUSED_PAD src0_sel:WORD_1 src1_sel:DWORD
	v_lshlrev_b16_sdwa v47, v31, v47 dst_sel:DWORD dst_unused:UNUSED_PAD src0_sel:DWORD src1_sel:WORD_1
	v_lshlrev_b16_e32 v50, 8, v58
	v_sub_i16 v49, v49, v57 clamp
	v_sub_i16 v47, v47, v50 clamp
	v_perm_b32 v47, v47, v49, s24
	v_lshl_or_b32 v47, v47, 16, v48
	v_dot4_i32_i8 v45, v46, v9, v45
	v_dot4_i32_i8 v45, v47, v2, v45
	v_and_b32_e32 v46, 0xff, v51
	v_lshlrev_b32_e32 v47, 4, v52
	v_and_or_b32 v46, v47, s21, v46
	v_lshlrev_b32_e32 v46, 2, v46
	global_load_dword v46, v46, s[12:13]
	v_bfe_u32 v47, v51, 8, 8
	v_lshlrev_b32_e32 v48, 3, v52
	v_and_or_b32 v47, v48, s21, v47
	v_lshlrev_b32_e32 v47, 2, v47
	global_load_dword v47, v47, s[12:13]
	v_lshrrev_b32_e32 v48, 9, v53
	v_lshl_or_b32 v48, v44, 21, v48
	v_and_b32_e32 v49, 0x1800180, v48
	v_bfe_u32 v48, v48, 24, 1
	v_cmp_ne_u16_e32 vcc, 0, v48
	v_cmp_ne_u16_sdwa s[30:31], v49, v25 src0_sel:BYTE_1 src1_sel:DWORD
	v_lshrrev_b16_e32 v48, 7, v49
	v_lshrrev_b32_e32 v49, 18, v53
	v_cndmask_b32_e64 v50, 0, -1, s[30:31]
	v_cndmask_b32_e64 v55, 0, -1, vcc
	v_bfe_i32 v48, v48, 0, 1
	v_lshlrev_b16_e32 v50, 8, v50
	v_lshlrev_b16_e32 v55, 8, v55
	v_bfe_i32 v49, v49, 0, 1
	v_or_b32_sdwa v54, v48, v50 dst_sel:DWORD dst_unused:UNUSED_PAD src0_sel:BYTE_0 src1_sel:DWORD
	v_or_b32_sdwa v56, v49, v55 dst_sel:WORD_1 dst_unused:UNUSED_PAD src0_sel:BYTE_0 src1_sel:DWORD
	v_or_b32_sdwa v54, v54, v56 dst_sel:DWORD dst_unused:UNUSED_PAD src0_sel:WORD_0 src1_sel:DWORD
	v_lshrrev_b32_e32 v56, 13, v53
	v_lshl_or_b32 v44, v44, 17, v56
	v_and_b32_e32 v56, 0x1800180, v44
	v_bfe_u32 v44, v44, 24, 1
	v_cmp_ne_u16_e32 vcc, 0, v44
	v_cmp_ne_u16_sdwa s[30:31], v56, v25 src0_sel:BYTE_1 src1_sel:DWORD
	v_lshrrev_b16_e32 v44, 7, v56
	v_lshrrev_b32_e32 v56, 22, v53
	v_cndmask_b32_e64 v57, 0, -1, s[30:31]
	v_cndmask_b32_e64 v59, 0, -1, vcc
	v_lshlrev_b16_e32 v48, 8, v48
	v_bfe_i32 v44, v44, 0, 1
	v_lshlrev_b16_e32 v57, 8, v57
	v_lshlrev_b16_e32 v59, 8, v59
	v_bfe_i32 v56, v56, 0, 1
	v_or_b32_sdwa v58, v44, v57 dst_sel:DWORD dst_unused:UNUSED_PAD src0_sel:BYTE_0 src1_sel:DWORD
	v_or_b32_sdwa v60, v56, v59 dst_sel:WORD_1 dst_unused:UNUSED_PAD src0_sel:BYTE_0 src1_sel:DWORD
	v_lshlrev_b16_e32 v49, 8, v49
	v_or_b32_sdwa v58, v58, v60 dst_sel:DWORD dst_unused:UNUSED_PAD src0_sel:WORD_0 src1_sel:DWORD
	v_lshlrev_b16_e32 v44, 8, v44
	s_waitcnt vmcnt(2)
	v_cvt_f32_f16_e32 v14, v14
	v_mul_f32_e32 v14, v6, v14
	s_waitcnt vmcnt(1)
	v_xor_b32_e32 v46, v46, v54
	v_and_b32_e32 v54, 0xffffff00, v46
	v_sub_i16 v50, v54, v50 clamp
	v_lshlrev_b16_e32 v54, 8, v46
	v_sub_i16 v48, v54, v48 clamp
	v_perm_b32 v48, v48, v50, s24
	v_and_b32_sdwa v50, v46, s23 dst_sel:DWORD dst_unused:UNUSED_PAD src0_sel:WORD_1 src1_sel:DWORD
	v_lshlrev_b16_sdwa v46, v31, v46 dst_sel:DWORD dst_unused:UNUSED_PAD src0_sel:DWORD src1_sel:WORD_1
	v_sub_i16 v50, v50, v55 clamp
	v_sub_i16 v46, v46, v49 clamp
	v_perm_b32 v46, v46, v50, s24
	s_waitcnt vmcnt(0)
	v_xor_b32_e32 v47, v47, v58
	v_lshl_or_b32 v46, v46, 16, v48
	v_and_b32_e32 v48, 0xffffff00, v47
	v_lshlrev_b16_e32 v49, 8, v47
	v_sub_i16 v48, v48, v57 clamp
	v_sub_i16 v44, v49, v44 clamp
	v_perm_b32 v44, v44, v48, s24
	v_and_b32_sdwa v48, v47, s23 dst_sel:DWORD dst_unused:UNUSED_PAD src0_sel:WORD_1 src1_sel:DWORD
	v_lshlrev_b16_sdwa v47, v31, v47 dst_sel:DWORD dst_unused:UNUSED_PAD src0_sel:DWORD src1_sel:WORD_1
	v_lshlrev_b16_e32 v49, 8, v56
	v_sub_i16 v48, v48, v59 clamp
	v_sub_i16 v47, v47, v49 clamp
	v_perm_b32 v47, v47, v48, s24
	v_lshl_or_b32 v44, v47, 16, v44
	v_dot4_i32_i8 v45, v46, v3, v45
	v_dot4_i32_i8 v44, v44, v4, v45
	v_bfe_u32 v45, v51, 16, 8
	v_lshlrev_b32_e32 v46, 2, v52
	v_and_or_b32 v45, v46, s21, v45
	v_lshlrev_b32_e32 v45, 2, v45
	global_load_dword v45, v45, s[12:13]
	v_lshrrev_b32_e32 v46, 24, v51
	v_lshlrev_b32_e32 v47, 1, v52
	v_and_or_b32 v46, v47, s21, v46
	v_lshlrev_b32_e32 v46, 2, v46
	global_load_dword v46, v46, s[12:13]
	v_lshrrev_b32_e32 v47, 17, v53
	v_lshrrev_b32_e32 v48, 24, v53
	v_lshl_or_b32 v47, v48, 21, v47
	v_and_b32_e32 v48, 0x1800180, v47
	v_bfe_u32 v47, v47, 24, 1
	v_cmp_ne_u16_e32 vcc, 0, v47
	v_cmp_ne_u16_sdwa s[12:13], v48, v25 src0_sel:BYTE_1 src1_sel:DWORD
	v_lshrrev_b16_e32 v47, 7, v48
	v_lshrrev_b32_e32 v48, 26, v53
	v_cndmask_b32_e64 v49, 0, -1, s[12:13]
	v_cndmask_b32_e64 v51, 0, -1, vcc
	v_bfe_i32 v47, v47, 0, 1
	v_lshlrev_b16_e32 v49, 8, v49
	v_lshlrev_b16_e32 v51, 8, v51
	v_bfe_i32 v48, v48, 0, 1
	v_or_b32_sdwa v50, v47, v49 dst_sel:DWORD dst_unused:UNUSED_PAD src0_sel:BYTE_0 src1_sel:DWORD
	v_or_b32_sdwa v52, v48, v51 dst_sel:WORD_1 dst_unused:UNUSED_PAD src0_sel:BYTE_0 src1_sel:DWORD
	v_or_b32_sdwa v50, v50, v52 dst_sel:DWORD dst_unused:UNUSED_PAD src0_sel:WORD_0 src1_sel:DWORD
	v_lshrrev_b32_e32 v52, 21, v53
	v_lshrrev_b32_e32 v55, 31, v53
	v_lshrrev_b16_e32 v54, 8, v52
	v_cmp_ne_u16_e32 vcc, 0, v55
	v_lshrrev_b32_e32 v53, 30, v53
	v_lshrrev_b16_e32 v52, 7, v52
	v_bfe_i32 v54, v54, 0, 1
	v_cndmask_b32_e64 v56, 0, -1, vcc
	v_lshlrev_b16_e32 v47, 8, v47
	v_lshlrev_b16_e32 v54, 8, v54
	v_bfe_i32 v52, v52, 0, 1
	v_bfe_i32 v53, v53, 0, 1
	v_lshlrev_b16_e32 v56, 8, v56
	v_or_b32_sdwa v55, v52, v54 dst_sel:DWORD dst_unused:UNUSED_PAD src0_sel:BYTE_0 src1_sel:DWORD
	v_or_b32_sdwa v57, v53, v56 dst_sel:WORD_1 dst_unused:UNUSED_PAD src0_sel:BYTE_0 src1_sel:DWORD
	v_lshlrev_b16_e32 v48, 8, v48
	v_or_b32_sdwa v55, v55, v57 dst_sel:DWORD dst_unused:UNUSED_PAD src0_sel:WORD_0 src1_sel:DWORD
	s_waitcnt vmcnt(1)
	v_xor_b32_e32 v45, v45, v50
	v_and_b32_e32 v50, 0xffffff00, v45
	v_sub_i16 v49, v50, v49 clamp
	v_lshlrev_b16_e32 v50, 8, v45
	v_sub_i16 v47, v50, v47 clamp
	v_perm_b32 v47, v47, v49, s24
	v_and_b32_sdwa v49, v45, s23 dst_sel:DWORD dst_unused:UNUSED_PAD src0_sel:WORD_1 src1_sel:DWORD
	v_lshlrev_b16_sdwa v45, v31, v45 dst_sel:DWORD dst_unused:UNUSED_PAD src0_sel:DWORD src1_sel:WORD_1
	v_sub_i16 v49, v49, v51 clamp
	v_sub_i16 v45, v45, v48 clamp
	v_perm_b32 v45, v45, v49, s24
	s_waitcnt vmcnt(0)
	v_xor_b32_e32 v46, v46, v55
	v_lshl_or_b32 v45, v45, 16, v47
	v_and_b32_e32 v47, 0xffffff00, v46
	v_lshlrev_b16_e32 v48, 8, v46
	v_lshlrev_b16_e32 v49, 8, v52
	v_sub_i16 v47, v47, v54 clamp
	v_sub_i16 v48, v48, v49 clamp
	v_perm_b32 v47, v48, v47, s24
	v_and_b32_sdwa v48, v46, s23 dst_sel:DWORD dst_unused:UNUSED_PAD src0_sel:WORD_1 src1_sel:DWORD
	v_lshlrev_b16_sdwa v46, v31, v46 dst_sel:DWORD dst_unused:UNUSED_PAD src0_sel:DWORD src1_sel:WORD_1
	v_lshlrev_b16_e32 v49, 8, v53
	v_sub_i16 v48, v48, v56 clamp
	v_sub_i16 v46, v46, v49 clamp
	v_perm_b32 v46, v46, v48, s24
	v_lshl_or_b32 v46, v46, 16, v47
	v_dot4_i32_i8 v44, v45, v5, v44
	v_dot4_i32_i8 v44, v46, v32, v44
	v_mul_lo_u32 v16, v44, v16
	v_cvt_f32_i32_e32 v15, v16
	v_fmac_f32_e32 v21, v14, v15
	s_branch .LBB255_13
.LBB255_16:
	s_or_b64 exec, exec, s[14:15]
.LBB255_17:
	s_or_b64 exec, exec, s[18:19]
	s_load_dword s7, s[4:5], 0x30
	v_cmp_eq_u32_e64 s[10:11], 0, v1
	v_cmp_ne_u32_e32 vcc, 0, v1
	s_and_saveexec_b64 s[12:13], vcc
	s_cbranch_execz .LBB255_21
; %bb.18:
	s_and_b64 vcc, exec, s[16:17]
	s_cbranch_vccz .LBB255_20
; %bb.19:
	v_lshl_add_u32 v2, v1, 8, v18
	ds_write_b32 v2, v21
.LBB255_20:
	v_lshlrev_b32_e32 v1, 8, v1
	s_waitcnt lgkmcnt(0)
	s_movk_i32 s9, 0xff00
	v_add3_u32 v1, v1, v18, s9
	ds_write_b32 v1, v23
.LBB255_21:
	s_or_b64 exec, exec, s[12:13]
	s_waitcnt vmcnt(0) lgkmcnt(0)
	s_barrier
	s_and_saveexec_b64 s[12:13], s[10:11]
	s_cbranch_execz .LBB255_50
; %bb.22:
	ds_read_b32 v2, v18
	v_cmp_ne_u32_e64 s[10:11], 1, v22
	s_and_b64 vcc, exec, s[10:11]
	s_cbranch_vccnz .LBB255_24
; %bb.23:
	ds_read_b32 v1, v18 offset:256
	s_waitcnt lgkmcnt(0)
	v_add_f32_e32 v21, v21, v1
.LBB255_24:
	v_mbcnt_lo_u32_b32 v1, -1, 0
	v_mbcnt_hi_u32_b32 v3, -1, v1
	v_and_b32_e32 v1, 64, v3
	v_add_u32_e32 v4, 64, v1
	v_xor_b32_e32 v1, 32, v3
	v_cmp_lt_i32_e32 vcc, v1, v4
	v_cndmask_b32_e32 v1, v3, v1, vcc
	v_lshlrev_b32_e32 v1, 2, v1
	s_waitcnt lgkmcnt(0)
	v_add_f32_e32 v5, v23, v2
	ds_bpermute_b32 v6, v1, v5
	v_xor_b32_e32 v2, 16, v3
	v_cmp_lt_i32_e32 vcc, v2, v4
	v_cndmask_b32_e32 v2, v3, v2, vcc
	v_lshlrev_b32_e32 v2, 2, v2
	s_waitcnt lgkmcnt(0)
	v_add_f32_e32 v6, v5, v6
	ds_bpermute_b32 v7, v2, v6
	;; [unrolled: 7-line block ×6, first 2 shown]
	s_and_b64 vcc, exec, s[10:11]
	s_cbranch_vccnz .LBB255_26
; %bb.25:
	ds_bpermute_b32 v1, v1, v21
	s_waitcnt lgkmcnt(0)
	v_add_f32_e32 v1, v21, v1
	ds_bpermute_b32 v2, v2, v1
	s_waitcnt lgkmcnt(0)
	v_add_f32_e32 v1, v1, v2
	;; [unrolled: 3-line block ×6, first 2 shown]
.LBB255_26:
	v_cmp_eq_u32_e32 vcc, 0, v0
	s_and_b64 exec, exec, vcc
	s_cbranch_execz .LBB255_50
; %bb.27:
	s_waitcnt lgkmcnt(0)
	v_add_f32_e32 v0, v3, v4
	v_add_f32_e32 v1, v20, v0
	s_and_b64 vcc, exec, s[10:11]
	v_cndmask_b32_e64 v0, v0, v1, s[0:1]
	s_cbranch_vccnz .LBB255_49
; %bb.28:
	v_add_f32_e32 v1, v19, v21
	v_cndmask_b32_e64 v1, v21, v1, s[2:3]
	s_cmp_lt_i32 s7, 2
	s_mov_b64 s[0:1], 0
	s_cbranch_scc1 .LBB255_32
; %bb.29:
	s_cmp_gt_i32 s7, 2
	s_cbranch_scc0 .LBB255_33
; %bb.30:
	s_cmp_eq_u32 s7, 3
	s_cbranch_scc0 .LBB255_34
; %bb.31:
	v_max_f32_e32 v2, v1, v1
	v_min_f32_e32 v2, 0x40e00000, v2
	v_mul_f32_e32 v3, 0xbfd9db23, v2
	s_mov_b32 s2, 0x3fb8aa3b
	v_mul_f32_e32 v4, 0x3fb8aa3b, v3
	v_fma_f32 v5, v3, s2, -v4
	v_rndne_f32_e32 v6, v4
	v_fmac_f32_e32 v5, 0x32a5705f, v3
	v_sub_f32_e32 v4, v4, v6
	v_add_f32_e32 v4, v4, v5
	v_exp_f32_e32 v4, v4
	v_cvt_i32_f32_e32 v5, v6
	s_mov_b32 s2, 0xc2ce8ed0
	v_cmp_ngt_f32_e32 vcc, s2, v3
	s_mov_b32 s2, 0x42b17218
	v_ldexp_f32 v4, v4, v5
	v_cndmask_b32_e32 v4, 0, v4, vcc
	v_mov_b32_e32 v5, 0x7f800000
	v_cmp_nlt_f32_e32 vcc, s2, v3
	v_cndmask_b32_e32 v3, v5, v4, vcc
	v_add_f32_e32 v3, 1.0, v3
	v_div_scale_f32 v4, s[2:3], v3, v3, v2
	v_div_scale_f32 v5, vcc, v2, v3, v2
	s_mov_b64 s[2:3], 0
	v_rcp_f32_e32 v6, v4
	v_fma_f32 v7, -v4, v6, 1.0
	v_fmac_f32_e32 v6, v7, v6
	v_mul_f32_e32 v7, v5, v6
	v_fma_f32 v8, -v4, v7, v5
	v_fmac_f32_e32 v7, v8, v6
	v_fma_f32 v4, -v4, v7, v5
	v_div_fmas_f32 v4, v4, v6, v7
	v_max_f32_e32 v5, v0, v0
	v_min_f32_e32 v5, 0x40e00000, v5
	v_max_f32_e32 v5, 0xc0e00000, v5
	v_add_f32_e32 v5, 1.0, v5
	v_div_fixup_f32 v2, v4, v3, v2
	v_mul_f32_e32 v2, v5, v2
	s_branch .LBB255_35
.LBB255_32:
                                        ; implicit-def: $vgpr2
	s_mov_b64 s[2:3], 0
	s_cbranch_execnz .LBB255_39
	s_branch .LBB255_40
.LBB255_33:
	s_mov_b64 s[10:11], -1
	s_mov_b64 s[2:3], 0
                                        ; implicit-def: $vgpr2
	s_branch .LBB255_36
.LBB255_34:
	s_mov_b64 s[2:3], -1
                                        ; implicit-def: $vgpr2
.LBB255_35:
	s_mov_b64 s[10:11], 0
.LBB255_36:
	s_and_b64 vcc, exec, s[10:11]
	s_cbranch_vccz .LBB255_38
; %bb.37:
	v_mul_f32_e32 v2, 0xbfb8aa3b, v1
	s_mov_b32 s9, 0xbfb8aa3b
	v_rndne_f32_e32 v3, v2
	v_sub_f32_e32 v4, v2, v3
	v_fma_f32 v2, v1, s9, -v2
	v_fmac_f32_e32 v2, 0xb2a5705f, v1
	v_add_f32_e32 v2, v4, v2
	v_exp_f32_e32 v2, v2
	v_cvt_i32_f32_e32 v3, v3
	s_mov_b32 s9, 0x42ce8ed0
	v_cmp_nlt_f32_e32 vcc, s9, v1
	s_mov_b32 s9, 0xc2b17218
	v_ldexp_f32 v2, v2, v3
	v_cndmask_b32_e32 v2, 0, v2, vcc
	v_mov_b32_e32 v3, 0x7f800000
	v_cmp_ngt_f32_e32 vcc, s9, v1
	v_cndmask_b32_e32 v2, v3, v2, vcc
	v_add_f32_e32 v2, 1.0, v2
	v_div_scale_f32 v3, s[10:11], v2, v2, v1
	v_div_scale_f32 v4, vcc, v1, v2, v1
	v_rcp_f32_e32 v5, v3
	v_fma_f32 v6, -v3, v5, 1.0
	v_fmac_f32_e32 v5, v6, v5
	v_mul_f32_e32 v6, v4, v5
	v_fma_f32 v7, -v3, v6, v4
	v_fmac_f32_e32 v6, v7, v5
	v_fma_f32 v3, -v3, v6, v4
	v_div_fmas_f32 v3, v3, v5, v6
	v_div_fixup_f32 v2, v3, v2, v1
	v_mul_f32_e32 v2, v0, v2
.LBB255_38:
	s_branch .LBB255_40
.LBB255_39:
	s_cmp_lg_u32 s7, 1
	s_mov_b64 s[0:1], -1
	s_cselect_b64 s[2:3], -1, 0
.LBB255_40:
	s_andn2_b64 vcc, exec, s[2:3]
	s_cbranch_vccz .LBB255_42
; %bb.41:
	s_andn2_b64 vcc, exec, s[0:1]
	s_cbranch_vccz .LBB255_43
	s_branch .LBB255_48
.LBB255_42:
	v_mul_f32_e32 v2, v1, v0
	s_cbranch_execnz .LBB255_48
.LBB255_43:
	v_mul_f32_e32 v3, 0x3d372713, v1
	v_mul_f32_e32 v2, 0x3f4c422a, v1
	v_fma_f32 v3, v1, v3, 1.0
	v_mul_f32_e32 v2, v2, v3
	s_mov_b32 s0, 0x3f200000
	v_cmp_nlt_f32_e64 s[0:1], |v2|, s0
                                        ; implicit-def: $vgpr3
	s_and_saveexec_b64 s[2:3], s[0:1]
	s_xor_b64 s[0:1], exec, s[2:3]
	s_cbranch_execz .LBB255_45
; %bb.44:
	v_add_f32_e64 v3, |v2|, |v2|
	v_mul_f32_e32 v4, 0x3fb8aa3b, v3
	s_mov_b32 s2, 0x3fb8aa3b
	v_rndne_f32_e32 v5, v4
	v_sub_f32_e32 v6, v4, v5
	v_fma_f32 v4, v3, s2, -v4
	v_fmac_f32_e32 v4, 0x32a5705f, v3
	v_add_f32_e32 v4, v6, v4
	v_exp_f32_e32 v4, v4
	v_cvt_i32_f32_e32 v5, v5
	s_mov_b32 s2, 0xc2ce8ed0
	v_cmp_ngt_f32_e32 vcc, s2, v3
	s_mov_b32 s2, 0x42b17218
	v_ldexp_f32 v4, v4, v5
	v_cndmask_b32_e32 v4, 0, v4, vcc
	v_mov_b32_e32 v5, 0x7f800000
	v_cmp_nlt_f32_e32 vcc, s2, v3
	v_cndmask_b32_e32 v3, v5, v4, vcc
	v_add_f32_e32 v3, 1.0, v3
	v_rcp_f32_e32 v3, v3
	v_fma_f32 v3, v3, -2.0, 1.0
.LBB255_45:
	s_andn2_saveexec_b64 s[0:1], s[0:1]
	s_cbranch_execz .LBB255_47
; %bb.46:
	v_mul_f32_e32 v3, v2, v2
	v_mov_b32_e32 v4, 0x3ca908c9
	v_fmac_f32_e32 v4, 0xbbbac73d, v3
	v_mov_b32_e32 v5, 0xbd5c1c4e
	v_fmac_f32_e32 v5, v3, v4
	;; [unrolled: 2-line block ×4, first 2 shown]
	v_mul_f32_e64 v4, |v2|, v5
	v_fma_f32 v3, v3, v4, |v2|
.LBB255_47:
	s_or_b64 exec, exec, s[0:1]
	s_brev_b32 s0, -2
	v_bfi_b32 v2, s0, v3, v2
	v_mul_f32_e32 v1, 0.5, v1
	v_add_f32_e32 v2, 1.0, v2
	v_mul_f32_e32 v1, v1, v2
	v_mul_f32_e32 v2, v0, v1
.LBB255_48:
	v_mov_b32_e32 v0, v2
.LBB255_49:
	s_load_dwordx2 s[0:1], s[4:5], 0x38
	s_mul_i32 s3, s22, s34
	s_mul_i32 s2, s26, s8
	s_add_i32 s3, s3, s6
	s_add_i32 s2, s3, s2
	s_mov_b32 s3, 0
	s_lshl_b64 s[2:3], s[2:3], 2
	s_waitcnt lgkmcnt(0)
	s_add_u32 s0, s0, s2
	s_addc_u32 s1, s1, s3
	global_store_dword v18, v0, s[0:1]
.LBB255_50:
	s_endpgm
	.section	.rodata,"a",@progbits
	.p2align	6, 0x0
	.amdhsa_kernel _ZL13mul_mat_vec_qIL9ggml_type21ELi1ELb1ELb0EEvPKvS2_PKi31ggml_cuda_mm_fusion_args_devicePfj15HIP_vector_typeIjLj3EEjjjS8_jjjS8_jjjj
		.amdhsa_group_segment_fixed_size 512
		.amdhsa_private_segment_fixed_size 0
		.amdhsa_kernarg_size 144
		.amdhsa_user_sgpr_count 6
		.amdhsa_user_sgpr_private_segment_buffer 1
		.amdhsa_user_sgpr_dispatch_ptr 0
		.amdhsa_user_sgpr_queue_ptr 0
		.amdhsa_user_sgpr_kernarg_segment_ptr 1
		.amdhsa_user_sgpr_dispatch_id 0
		.amdhsa_user_sgpr_flat_scratch_init 0
		.amdhsa_user_sgpr_private_segment_size 0
		.amdhsa_uses_dynamic_stack 0
		.amdhsa_system_sgpr_private_segment_wavefront_offset 0
		.amdhsa_system_sgpr_workgroup_id_x 1
		.amdhsa_system_sgpr_workgroup_id_y 1
		.amdhsa_system_sgpr_workgroup_id_z 1
		.amdhsa_system_sgpr_workgroup_info 0
		.amdhsa_system_vgpr_workitem_id 1
		.amdhsa_next_free_vgpr 62
		.amdhsa_next_free_sgpr 42
		.amdhsa_reserve_vcc 1
		.amdhsa_reserve_flat_scratch 0
		.amdhsa_float_round_mode_32 0
		.amdhsa_float_round_mode_16_64 0
		.amdhsa_float_denorm_mode_32 3
		.amdhsa_float_denorm_mode_16_64 3
		.amdhsa_dx10_clamp 1
		.amdhsa_ieee_mode 1
		.amdhsa_fp16_overflow 0
		.amdhsa_exception_fp_ieee_invalid_op 0
		.amdhsa_exception_fp_denorm_src 0
		.amdhsa_exception_fp_ieee_div_zero 0
		.amdhsa_exception_fp_ieee_overflow 0
		.amdhsa_exception_fp_ieee_underflow 0
		.amdhsa_exception_fp_ieee_inexact 0
		.amdhsa_exception_int_div_zero 0
	.end_amdhsa_kernel
	.section	.text._ZL13mul_mat_vec_qIL9ggml_type21ELi1ELb1ELb0EEvPKvS2_PKi31ggml_cuda_mm_fusion_args_devicePfj15HIP_vector_typeIjLj3EEjjjS8_jjjS8_jjjj,"axG",@progbits,_ZL13mul_mat_vec_qIL9ggml_type21ELi1ELb1ELb0EEvPKvS2_PKi31ggml_cuda_mm_fusion_args_devicePfj15HIP_vector_typeIjLj3EEjjjS8_jjjS8_jjjj,comdat
.Lfunc_end255:
	.size	_ZL13mul_mat_vec_qIL9ggml_type21ELi1ELb1ELb0EEvPKvS2_PKi31ggml_cuda_mm_fusion_args_devicePfj15HIP_vector_typeIjLj3EEjjjS8_jjjS8_jjjj, .Lfunc_end255-_ZL13mul_mat_vec_qIL9ggml_type21ELi1ELb1ELb0EEvPKvS2_PKi31ggml_cuda_mm_fusion_args_devicePfj15HIP_vector_typeIjLj3EEjjjS8_jjjS8_jjjj
                                        ; -- End function
	.set _ZL13mul_mat_vec_qIL9ggml_type21ELi1ELb1ELb0EEvPKvS2_PKi31ggml_cuda_mm_fusion_args_devicePfj15HIP_vector_typeIjLj3EEjjjS8_jjjS8_jjjj.num_vgpr, 62
	.set _ZL13mul_mat_vec_qIL9ggml_type21ELi1ELb1ELb0EEvPKvS2_PKi31ggml_cuda_mm_fusion_args_devicePfj15HIP_vector_typeIjLj3EEjjjS8_jjjS8_jjjj.num_agpr, 0
	.set _ZL13mul_mat_vec_qIL9ggml_type21ELi1ELb1ELb0EEvPKvS2_PKi31ggml_cuda_mm_fusion_args_devicePfj15HIP_vector_typeIjLj3EEjjjS8_jjjS8_jjjj.numbered_sgpr, 42
	.set _ZL13mul_mat_vec_qIL9ggml_type21ELi1ELb1ELb0EEvPKvS2_PKi31ggml_cuda_mm_fusion_args_devicePfj15HIP_vector_typeIjLj3EEjjjS8_jjjS8_jjjj.num_named_barrier, 0
	.set _ZL13mul_mat_vec_qIL9ggml_type21ELi1ELb1ELb0EEvPKvS2_PKi31ggml_cuda_mm_fusion_args_devicePfj15HIP_vector_typeIjLj3EEjjjS8_jjjS8_jjjj.private_seg_size, 0
	.set _ZL13mul_mat_vec_qIL9ggml_type21ELi1ELb1ELb0EEvPKvS2_PKi31ggml_cuda_mm_fusion_args_devicePfj15HIP_vector_typeIjLj3EEjjjS8_jjjS8_jjjj.uses_vcc, 1
	.set _ZL13mul_mat_vec_qIL9ggml_type21ELi1ELb1ELb0EEvPKvS2_PKi31ggml_cuda_mm_fusion_args_devicePfj15HIP_vector_typeIjLj3EEjjjS8_jjjS8_jjjj.uses_flat_scratch, 0
	.set _ZL13mul_mat_vec_qIL9ggml_type21ELi1ELb1ELb0EEvPKvS2_PKi31ggml_cuda_mm_fusion_args_devicePfj15HIP_vector_typeIjLj3EEjjjS8_jjjS8_jjjj.has_dyn_sized_stack, 0
	.set _ZL13mul_mat_vec_qIL9ggml_type21ELi1ELb1ELb0EEvPKvS2_PKi31ggml_cuda_mm_fusion_args_devicePfj15HIP_vector_typeIjLj3EEjjjS8_jjjS8_jjjj.has_recursion, 0
	.set _ZL13mul_mat_vec_qIL9ggml_type21ELi1ELb1ELb0EEvPKvS2_PKi31ggml_cuda_mm_fusion_args_devicePfj15HIP_vector_typeIjLj3EEjjjS8_jjjS8_jjjj.has_indirect_call, 0
	.section	.AMDGPU.csdata,"",@progbits
; Kernel info:
; codeLenInByte = 6380
; TotalNumSgprs: 46
; NumVgprs: 62
; ScratchSize: 0
; MemoryBound: 0
; FloatMode: 240
; IeeeMode: 1
; LDSByteSize: 512 bytes/workgroup (compile time only)
; SGPRBlocks: 5
; VGPRBlocks: 15
; NumSGPRsForWavesPerEU: 46
; NumVGPRsForWavesPerEU: 62
; Occupancy: 4
; WaveLimiterHint : 0
; COMPUTE_PGM_RSRC2:SCRATCH_EN: 0
; COMPUTE_PGM_RSRC2:USER_SGPR: 6
; COMPUTE_PGM_RSRC2:TRAP_HANDLER: 0
; COMPUTE_PGM_RSRC2:TGID_X_EN: 1
; COMPUTE_PGM_RSRC2:TGID_Y_EN: 1
; COMPUTE_PGM_RSRC2:TGID_Z_EN: 1
; COMPUTE_PGM_RSRC2:TIDIG_COMP_CNT: 1
	.section	.text._ZL13mul_mat_vec_qIL9ggml_type21ELi1ELb0ELb0EEvPKvS2_PKi31ggml_cuda_mm_fusion_args_devicePfj15HIP_vector_typeIjLj3EEjjjS8_jjjS8_jjjj,"axG",@progbits,_ZL13mul_mat_vec_qIL9ggml_type21ELi1ELb0ELb0EEvPKvS2_PKi31ggml_cuda_mm_fusion_args_devicePfj15HIP_vector_typeIjLj3EEjjjS8_jjjS8_jjjj,comdat
	.globl	_ZL13mul_mat_vec_qIL9ggml_type21ELi1ELb0ELb0EEvPKvS2_PKi31ggml_cuda_mm_fusion_args_devicePfj15HIP_vector_typeIjLj3EEjjjS8_jjjS8_jjjj ; -- Begin function _ZL13mul_mat_vec_qIL9ggml_type21ELi1ELb0ELb0EEvPKvS2_PKi31ggml_cuda_mm_fusion_args_devicePfj15HIP_vector_typeIjLj3EEjjjS8_jjjS8_jjjj
	.p2align	8
	.type	_ZL13mul_mat_vec_qIL9ggml_type21ELi1ELb0ELb0EEvPKvS2_PKi31ggml_cuda_mm_fusion_args_devicePfj15HIP_vector_typeIjLj3EEjjjS8_jjjS8_jjjj,@function
_ZL13mul_mat_vec_qIL9ggml_type21ELi1ELb0ELb0EEvPKvS2_PKi31ggml_cuda_mm_fusion_args_devicePfj15HIP_vector_typeIjLj3EEjjjS8_jjjS8_jjjj: ; @_ZL13mul_mat_vec_qIL9ggml_type21ELi1ELb0ELb0EEvPKvS2_PKi31ggml_cuda_mm_fusion_args_devicePfj15HIP_vector_typeIjLj3EEjjjS8_jjjS8_jjjj
; %bb.0:
	s_load_dwordx2 s[0:1], s[4:5], 0x10
	s_load_dwordx4 s[16:19], s[4:5], 0x40
	s_mov_b32 s10, s7
	s_mov_b64 s[14:15], 0
	s_waitcnt lgkmcnt(0)
	s_cmp_lg_u64 s[0:1], 0
	s_cselect_b64 s[12:13], -1, 0
	s_cmp_eq_u64 s[0:1], 0
	s_cbranch_scc1 .LBB256_5
; %bb.1:
	s_mov_b32 s11, 0
	s_lshl_b64 s[2:3], s[10:11], 2
	s_add_u32 s0, s0, s2
	s_addc_u32 s1, s1, s3
	s_load_dword s9, s[0:1], 0x0
	s_nop 0
	s_load_dwordx4 s[0:3], s[4:5], 0x68
	s_load_dword s11, s[4:5], 0x50
	s_andn2_b64 vcc, exec, s[14:15]
	s_cbranch_vccnz .LBB256_3
.LBB256_2:
	s_load_dwordx2 s[14:15], s[4:5], 0x5c
	s_waitcnt lgkmcnt(0)
	s_mul_hi_u32 s7, s14, s10
	s_add_i32 s7, s10, s7
	s_lshr_b32 s9, s7, s15
.LBB256_3:
	s_load_dword s22, s[4:5], 0x78
	s_andn2_b64 vcc, exec, s[12:13]
	s_cbranch_vccnz .LBB256_6
; %bb.4:
	s_mul_hi_u32 s7, s17, s10
	s_add_i32 s7, s10, s7
	s_lshr_b32 s7, s7, s18
	s_mul_i32 s7, s7, s19
	s_sub_i32 s23, s10, s7
	s_branch .LBB256_7
.LBB256_5:
                                        ; implicit-def: $sgpr9
	s_load_dwordx4 s[0:3], s[4:5], 0x68
	s_load_dword s11, s[4:5], 0x50
	s_branch .LBB256_2
.LBB256_6:
	s_mov_b32 s23, s10
.LBB256_7:
	s_load_dwordx4 s[12:15], s[4:5], 0x80
	v_lshl_add_u32 v2, v1, 6, v0
	s_lshr_b32 s7, s16, 8
	v_lshrrev_b32_e32 v13, 3, v2
	v_cmp_gt_u32_e32 vcc, s7, v13
	v_mov_b32_e32 v12, 0
	s_and_saveexec_b64 s[20:21], vcc
	s_cbranch_execz .LBB256_11
; %bb.8:
	s_waitcnt lgkmcnt(0)
	s_mul_hi_u32 s3, s3, s8
	s_add_i32 s3, s8, s3
	s_lshr_b32 s3, s3, s22
	s_mul_i32 s11, s11, s6
	s_mul_i32 s3, s3, s12
	s_mul_i32 s0, s9, s0
	s_mul_i32 s1, s23, s1
	s_add_i32 s3, s3, s11
	s_add_i32 s3, s0, s3
	s_mul_hi_u32 s0, s1, 36
	s_mul_i32 s1, s1, 36
	v_lshrrev_b32_e32 v6, 3, v2
	v_mov_b32_e32 v2, s1
	v_mov_b32_e32 v3, s0
	s_movk_i32 s0, 0x120
	v_mad_u64_u32 v[2:3], s[0:1], v6, s0, v[2:3]
	s_mul_i32 s9, s13, s8
	s_load_dwordx4 s[16:19], s[4:5], 0x0
	v_mad_u64_u32 v[2:3], s[0:1], s9, 36, v[2:3]
	v_and_b32_e32 v15, 7, v0
	v_lshlrev_b32_e32 v4, 1, v0
	v_mad_u64_u32 v[2:3], s[0:1], v15, 36, v[2:3]
	v_and_b32_e32 v5, 14, v4
	v_bfe_u32 v16, v4, 2, 2
	s_waitcnt lgkmcnt(0)
	v_mov_b32_e32 v4, s19
	v_add_co_u32_e32 v2, vcc, s18, v2
	v_lshlrev_b32_e32 v8, 1, v5
	v_addc_co_u32_e32 v3, vcc, v4, v3, vcc
	v_and_b32_e32 v17, 4, v8
	v_add_co_u32_e32 v6, vcc, 32, v2
	v_lshlrev_b32_e32 v18, 1, v8
	v_mov_b32_e32 v8, s16
	v_mov_b32_e32 v14, 0
	v_addc_co_u32_e32 v7, vcc, 0, v3, vcc
	s_mov_b64 s[0:1], 0
	s_movk_i32 s9, 0x6e
	v_lshlrev_b32_e32 v19, 1, v5
	s_movk_i32 s11, 0x100
	s_movk_i32 s15, 0xff00
	s_mov_b32 s18, 0xc0c0105
	v_mov_b32_e32 v9, s17
	v_mov_b32_e32 v20, 8
	;; [unrolled: 1-line block ×3, first 2 shown]
.LBB256_9:                              ; =>This Inner Loop Header: Depth=1
	v_add_u32_e32 v2, s3, v13
	v_mad_i64_i32 v[10:11], s[12:13], v2, s9, v[8:9]
	s_getpc_b64 s[12:13]
	s_add_u32 s12, s12, _ZL9iq3s_grid@rel32@lo+4
	s_addc_u32 s13, s13, _ZL9iq3s_grid@rel32@hi+12
	v_add_u32_e32 v13, 16, v13
	v_add_co_u32_e32 v2, vcc, v10, v18
	v_addc_co_u32_e32 v3, vcc, 0, v11, vcc
	global_load_dwordx2 v[25:26], v[2:3], off offset:2
	v_add_co_u32_e32 v2, vcc, v10, v15
	v_addc_co_u32_e32 v3, vcc, 0, v11, vcc
	global_load_ubyte v27, v[2:3], off offset:66
	v_add_co_u32_e32 v2, vcc, v10, v19
	v_addc_co_u32_e32 v3, vcc, 0, v11, vcc
	global_load_dword v28, v[2:3], off offset:74
	s_waitcnt vmcnt(2)
	v_and_b32_e32 v2, 0xff, v25
	s_waitcnt vmcnt(1)
	v_lshlrev_b32_e32 v3, 8, v27
	v_and_or_b32 v2, v3, s11, v2
	v_lshlrev_b32_e32 v2, 2, v2
	global_load_dword v2, v2, s[12:13]
	v_bfe_u32 v3, v25, 8, 8
	v_lshlrev_b32_e32 v4, 7, v27
	v_and_or_b32 v3, v4, s11, v3
	v_lshlrev_b32_e32 v3, 2, v3
	global_load_dword v3, v3, s[12:13]
	s_waitcnt vmcnt(2)
	v_and_b32_e32 v4, 0xff, v28
	v_lshlrev_b32_e32 v5, 21, v28
	v_lshl_or_b32 v5, v4, 7, v5
	v_and_b32_e32 v21, 0x1800180, v5
	v_bfe_u32 v5, v5, 24, 1
	v_cmp_ne_u16_e32 vcc, 0, v5
	v_cmp_ne_u16_sdwa s[16:17], v21, v14 src0_sel:BYTE_1 src1_sel:DWORD
	v_lshrrev_b16_e32 v5, 7, v21
	v_lshrrev_b32_e32 v21, 2, v28
	v_cndmask_b32_e64 v22, 0, -1, s[16:17]
	v_cndmask_b32_e64 v24, 0, -1, vcc
	v_bfe_i32 v5, v5, 0, 1
	v_lshlrev_b16_e32 v22, 8, v22
	v_lshlrev_b16_e32 v24, 8, v24
	v_bfe_i32 v21, v21, 0, 1
	v_or_b32_sdwa v23, v5, v22 dst_sel:DWORD dst_unused:UNUSED_PAD src0_sel:BYTE_0 src1_sel:DWORD
	v_or_b32_sdwa v30, v21, v24 dst_sel:WORD_1 dst_unused:UNUSED_PAD src0_sel:BYTE_0 src1_sel:DWORD
	v_or_b32_sdwa v23, v23, v30 dst_sel:DWORD dst_unused:UNUSED_PAD src0_sel:WORD_0 src1_sel:DWORD
	v_lshlrev_b32_e32 v30, 17, v28
	v_lshl_or_b32 v4, v4, 3, v30
	v_and_b32_e32 v30, 0x1800180, v4
	v_bfe_u32 v4, v4, 24, 1
	v_cmp_ne_u16_e32 vcc, 0, v4
	v_cmp_ne_u16_sdwa s[16:17], v30, v14 src0_sel:BYTE_1 src1_sel:DWORD
	v_lshlrev_b16_e32 v5, 8, v5
	v_lshrrev_b16_e32 v4, 7, v30
	v_lshrrev_b32_e32 v30, 6, v28
	v_cndmask_b32_e64 v31, 0, -1, s[16:17]
	v_cndmask_b32_e64 v33, 0, -1, vcc
	v_bfe_i32 v4, v4, 0, 1
	v_lshlrev_b16_e32 v31, 8, v31
	v_lshlrev_b16_e32 v33, 8, v33
	v_bfe_i32 v30, v30, 0, 1
	v_lshlrev_b16_e32 v21, 8, v21
	v_or_b32_sdwa v32, v4, v31 dst_sel:DWORD dst_unused:UNUSED_PAD src0_sel:BYTE_0 src1_sel:DWORD
	v_or_b32_sdwa v34, v30, v33 dst_sel:WORD_1 dst_unused:UNUSED_PAD src0_sel:BYTE_0 src1_sel:DWORD
	v_or_b32_sdwa v32, v32, v34 dst_sel:DWORD dst_unused:UNUSED_PAD src0_sel:WORD_0 src1_sel:DWORD
	v_lshlrev_b16_e32 v4, 8, v4
	v_lshrrev_b32_e32 v37, 15, v28
	v_lshrrev_b32_e32 v38, 14, v28
	v_bfe_i32 v37, v37, 0, 1
	v_lshlrev_b16_e32 v37, 8, v37
	v_bfe_i32 v38, v38, 0, 1
	v_or_b32_sdwa v41, v38, v37 dst_sel:WORD_1 dst_unused:UNUSED_PAD src0_sel:BYTE_0 src1_sel:DWORD
	v_lshrrev_b32_e32 v29, 16, v28
	s_waitcnt vmcnt(1)
	v_xor_b32_e32 v2, v2, v23
	v_and_b32_e32 v23, 0xffffff00, v2
	v_sub_i16 v22, v23, v22 clamp
	v_lshlrev_b16_e32 v23, 8, v2
	v_sub_i16 v5, v23, v5 clamp
	v_perm_b32 v5, v5, v22, s18
	v_and_b32_sdwa v22, v2, s15 dst_sel:DWORD dst_unused:UNUSED_PAD src0_sel:WORD_1 src1_sel:DWORD
	v_lshlrev_b16_sdwa v2, v20, v2 dst_sel:DWORD dst_unused:UNUSED_PAD src0_sel:DWORD src1_sel:WORD_1
	v_sub_i16 v22, v22, v24 clamp
	v_sub_i16 v2, v2, v21 clamp
	v_perm_b32 v2, v2, v22, s18
	v_lshl_or_b32 v34, v2, 16, v5
	s_waitcnt vmcnt(0)
	v_xor_b32_e32 v2, v3, v32
	v_and_b32_e32 v3, 0xffffff00, v2
	v_lshlrev_b16_e32 v5, 8, v2
	v_sub_i16 v3, v3, v31 clamp
	v_sub_i16 v4, v5, v4 clamp
	v_perm_b32 v3, v4, v3, s18
	v_and_b32_sdwa v4, v2, s15 dst_sel:DWORD dst_unused:UNUSED_PAD src0_sel:WORD_1 src1_sel:DWORD
	v_lshlrev_b16_sdwa v2, v20, v2 dst_sel:DWORD dst_unused:UNUSED_PAD src0_sel:DWORD src1_sel:WORD_1
	v_lshlrev_b16_e32 v5, 8, v30
	v_sub_i16 v4, v4, v33 clamp
	v_sub_i16 v2, v2, v5 clamp
	v_perm_b32 v2, v2, v4, s18
	v_lshl_or_b32 v30, v2, 16, v3
	global_load_dwordx4 v[2:5], v[6:7], off offset:-32
	global_load_dword v31, v[6:7], off
	global_load_dwordx4 v[21:24], v[6:7], off offset:-16
	v_lshrrev_b32_e32 v32, 11, v28
	v_lshrrev_b32_e32 v33, 10, v28
	v_bfe_i32 v32, v32, 0, 1
	v_lshlrev_b16_e32 v32, 8, v32
	v_bfe_i32 v33, v33, 0, 1
	v_or_b32_sdwa v36, v33, v32 dst_sel:WORD_1 dst_unused:UNUSED_PAD src0_sel:BYTE_0 src1_sel:DWORD
	v_lshlrev_b16_e32 v33, 8, v33
	s_waitcnt vmcnt(2)
	v_dot4_i32_i8 v3, v34, v3, 0
	v_dot4_i32_i8 v3, v30, v4, v3
	v_bfe_u32 v4, v25, 16, 8
	v_lshlrev_b32_e32 v30, 6, v27
	v_and_or_b32 v4, v30, s11, v4
	v_lshlrev_b32_e32 v4, 2, v4
	global_load_dword v4, v4, s[12:13]
	v_lshrrev_b32_e32 v25, 24, v25
	v_lshlrev_b32_e32 v30, 5, v27
	v_and_or_b32 v25, v30, s11, v25
	v_lshlrev_b32_e32 v25, 2, v25
	global_load_dword v25, v25, s[12:13]
	v_lshrrev_b32_e32 v30, 1, v28
	v_and_b32_e32 v30, 0x180, v30
	v_cmp_ne_u16_sdwa s[16:17], v30, v14 src0_sel:BYTE_1 src1_sel:DWORD
	v_lshrrev_b16_e32 v30, 7, v30
	v_cndmask_b32_e64 v34, 0, -1, s[16:17]
	v_bfe_i32 v30, v30, 0, 1
	v_lshlrev_b16_e32 v34, 8, v34
	v_or_b32_sdwa v35, v30, v34 dst_sel:DWORD dst_unused:UNUSED_PAD src0_sel:BYTE_0 src1_sel:DWORD
	v_or_b32_sdwa v35, v35, v36 dst_sel:DWORD dst_unused:UNUSED_PAD src0_sel:WORD_0 src1_sel:DWORD
	v_lshrrev_b32_e32 v36, 5, v28
	v_and_b32_e32 v36, 0x180, v36
	v_cmp_ne_u16_sdwa s[16:17], v36, v14 src0_sel:BYTE_1 src1_sel:DWORD
	v_lshlrev_b16_e32 v30, 8, v30
	v_lshrrev_b16_e32 v36, 7, v36
	v_cndmask_b32_e64 v39, 0, -1, s[16:17]
	v_bfe_i32 v36, v36, 0, 1
	v_lshlrev_b16_e32 v39, 8, v39
	v_or_b32_sdwa v40, v36, v39 dst_sel:DWORD dst_unused:UNUSED_PAD src0_sel:BYTE_0 src1_sel:DWORD
	v_or_b32_sdwa v40, v40, v41 dst_sel:DWORD dst_unused:UNUSED_PAD src0_sel:WORD_0 src1_sel:DWORD
	v_cvt_f32_f16_e32 v2, v2
	s_waitcnt vmcnt(1)
	v_xor_b32_e32 v4, v4, v35
	v_and_b32_e32 v35, 0xffffff00, v4
	v_sub_i16 v34, v35, v34 clamp
	v_lshlrev_b16_e32 v35, 8, v4
	v_sub_i16 v30, v35, v30 clamp
	v_perm_b32 v30, v30, v34, s18
	v_and_b32_sdwa v34, v4, s15 dst_sel:DWORD dst_unused:UNUSED_PAD src0_sel:WORD_1 src1_sel:DWORD
	v_lshlrev_b16_sdwa v4, v20, v4 dst_sel:DWORD dst_unused:UNUSED_PAD src0_sel:DWORD src1_sel:WORD_1
	v_sub_i16 v32, v34, v32 clamp
	v_sub_i16 v4, v4, v33 clamp
	v_perm_b32 v4, v4, v32, s18
	v_lshl_or_b32 v4, v4, 16, v30
	s_waitcnt vmcnt(0)
	v_xor_b32_e32 v25, v25, v40
	v_and_b32_e32 v30, 0xffffff00, v25
	v_lshlrev_b16_e32 v32, 8, v25
	v_lshlrev_b16_e32 v33, 8, v36
	v_dot4_i32_i8 v3, v4, v5, v3
	v_and_b32_e32 v4, 0xff, v26
	v_lshlrev_b32_e32 v5, 4, v27
	v_sub_i16 v30, v30, v39 clamp
	v_sub_i16 v32, v32, v33 clamp
	v_and_or_b32 v4, v5, s11, v4
	v_perm_b32 v30, v32, v30, s18
	v_and_b32_sdwa v32, v25, s15 dst_sel:DWORD dst_unused:UNUSED_PAD src0_sel:WORD_1 src1_sel:DWORD
	v_lshlrev_b16_sdwa v25, v20, v25 dst_sel:DWORD dst_unused:UNUSED_PAD src0_sel:DWORD src1_sel:WORD_1
	v_lshlrev_b16_e32 v33, 8, v38
	v_lshlrev_b32_e32 v4, 2, v4
	v_sub_i16 v32, v32, v37 clamp
	v_sub_i16 v25, v25, v33 clamp
	global_load_dword v4, v4, s[12:13]
	v_perm_b32 v25, v25, v32, s18
	v_lshl_or_b32 v25, v25, 16, v30
	v_dot4_i32_i8 v3, v25, v21, v3
	v_bfe_u32 v5, v26, 8, 8
	v_lshlrev_b32_e32 v21, 3, v27
	v_and_or_b32 v5, v21, s11, v5
	v_lshlrev_b32_e32 v5, 2, v5
	global_load_dword v5, v5, s[12:13]
	v_lshrrev_b32_e32 v21, 9, v28
	v_lshl_or_b32 v21, v29, 21, v21
	v_and_b32_e32 v25, 0x1800180, v21
	v_bfe_u32 v21, v21, 24, 1
	v_cmp_ne_u16_e32 vcc, 0, v21
	v_cmp_ne_u16_sdwa s[16:17], v25, v14 src0_sel:BYTE_1 src1_sel:DWORD
	v_lshrrev_b16_e32 v21, 7, v25
	v_lshrrev_b32_e32 v25, 18, v28
	v_cndmask_b32_e64 v30, 0, -1, s[16:17]
	v_cndmask_b32_e64 v33, 0, -1, vcc
	v_bfe_i32 v21, v21, 0, 1
	v_lshlrev_b16_e32 v30, 8, v30
	v_lshlrev_b16_e32 v33, 8, v33
	v_bfe_i32 v25, v25, 0, 1
	v_or_b32_sdwa v32, v21, v30 dst_sel:DWORD dst_unused:UNUSED_PAD src0_sel:BYTE_0 src1_sel:DWORD
	v_or_b32_sdwa v34, v25, v33 dst_sel:WORD_1 dst_unused:UNUSED_PAD src0_sel:BYTE_0 src1_sel:DWORD
	v_or_b32_sdwa v32, v32, v34 dst_sel:DWORD dst_unused:UNUSED_PAD src0_sel:WORD_0 src1_sel:DWORD
	v_lshrrev_b32_e32 v34, 13, v28
	v_lshl_or_b32 v29, v29, 17, v34
	v_and_b32_e32 v34, 0x1800180, v29
	v_bfe_u32 v29, v29, 24, 1
	v_cmp_ne_u16_e32 vcc, 0, v29
	v_cmp_ne_u16_sdwa s[16:17], v34, v14 src0_sel:BYTE_1 src1_sel:DWORD
	v_lshrrev_b16_e32 v29, 7, v34
	v_lshrrev_b32_e32 v34, 22, v28
	v_cndmask_b32_e64 v35, 0, -1, s[16:17]
	v_cndmask_b32_e64 v37, 0, -1, vcc
	v_lshlrev_b16_e32 v21, 8, v21
	v_bfe_i32 v29, v29, 0, 1
	v_lshlrev_b16_e32 v35, 8, v35
	v_lshlrev_b16_e32 v37, 8, v37
	v_bfe_i32 v34, v34, 0, 1
	v_or_b32_sdwa v36, v29, v35 dst_sel:DWORD dst_unused:UNUSED_PAD src0_sel:BYTE_0 src1_sel:DWORD
	v_or_b32_sdwa v38, v34, v37 dst_sel:WORD_1 dst_unused:UNUSED_PAD src0_sel:BYTE_0 src1_sel:DWORD
	v_lshlrev_b16_e32 v25, 8, v25
	v_or_b32_sdwa v36, v36, v38 dst_sel:DWORD dst_unused:UNUSED_PAD src0_sel:WORD_0 src1_sel:DWORD
	v_lshlrev_b16_e32 v29, 8, v29
	s_waitcnt vmcnt(1)
	v_xor_b32_e32 v4, v4, v32
	v_and_b32_e32 v32, 0xffffff00, v4
	v_sub_i16 v30, v32, v30 clamp
	v_lshlrev_b16_e32 v32, 8, v4
	v_sub_i16 v21, v32, v21 clamp
	v_perm_b32 v21, v21, v30, s18
	v_and_b32_sdwa v30, v4, s15 dst_sel:DWORD dst_unused:UNUSED_PAD src0_sel:WORD_1 src1_sel:DWORD
	v_lshlrev_b16_sdwa v4, v20, v4 dst_sel:DWORD dst_unused:UNUSED_PAD src0_sel:DWORD src1_sel:WORD_1
	v_sub_i16 v30, v30, v33 clamp
	v_sub_i16 v4, v4, v25 clamp
	v_perm_b32 v4, v4, v30, s18
	s_waitcnt vmcnt(0)
	v_xor_b32_e32 v5, v5, v36
	v_lshl_or_b32 v4, v4, 16, v21
	v_and_b32_e32 v21, 0xffffff00, v5
	v_lshlrev_b16_e32 v25, 8, v5
	v_sub_i16 v21, v21, v35 clamp
	v_sub_i16 v25, v25, v29 clamp
	v_perm_b32 v21, v25, v21, s18
	v_and_b32_sdwa v25, v5, s15 dst_sel:DWORD dst_unused:UNUSED_PAD src0_sel:WORD_1 src1_sel:DWORD
	v_lshlrev_b16_sdwa v5, v20, v5 dst_sel:DWORD dst_unused:UNUSED_PAD src0_sel:DWORD src1_sel:WORD_1
	v_lshlrev_b16_e32 v29, 8, v34
	v_sub_i16 v25, v25, v37 clamp
	v_sub_i16 v5, v5, v29 clamp
	v_perm_b32 v5, v5, v25, s18
	v_lshl_or_b32 v5, v5, 16, v21
	v_dot4_i32_i8 v3, v4, v22, v3
	v_dot4_i32_i8 v3, v5, v23, v3
	v_bfe_u32 v4, v26, 16, 8
	v_lshlrev_b32_e32 v5, 2, v27
	v_and_or_b32 v4, v5, s11, v4
	v_lshlrev_b32_e32 v4, 2, v4
	global_load_dword v4, v4, s[12:13]
	v_lshrrev_b32_e32 v5, 24, v26
	v_lshlrev_b32_e32 v21, 1, v27
	v_and_or_b32 v5, v21, s11, v5
	v_lshlrev_b32_e32 v5, 2, v5
	global_load_dword v5, v5, s[12:13]
	v_lshrrev_b32_e32 v21, 17, v28
	v_lshrrev_b32_e32 v22, 24, v28
	v_lshl_or_b32 v21, v22, 21, v21
	v_and_b32_e32 v22, 0x1800180, v21
	v_bfe_u32 v21, v21, 24, 1
	v_cmp_ne_u16_e32 vcc, 0, v21
	v_cmp_ne_u16_sdwa s[12:13], v22, v14 src0_sel:BYTE_1 src1_sel:DWORD
	v_lshrrev_b16_e32 v21, 7, v22
	v_lshrrev_b32_e32 v22, 26, v28
	v_cndmask_b32_e64 v23, 0, -1, s[12:13]
	v_cndmask_b32_e64 v26, 0, -1, vcc
	v_bfe_i32 v21, v21, 0, 1
	v_lshlrev_b16_e32 v23, 8, v23
	v_lshlrev_b16_e32 v26, 8, v26
	v_bfe_i32 v22, v22, 0, 1
	v_or_b32_sdwa v25, v21, v23 dst_sel:DWORD dst_unused:UNUSED_PAD src0_sel:BYTE_0 src1_sel:DWORD
	v_or_b32_sdwa v27, v22, v26 dst_sel:WORD_1 dst_unused:UNUSED_PAD src0_sel:BYTE_0 src1_sel:DWORD
	v_or_b32_sdwa v25, v25, v27 dst_sel:DWORD dst_unused:UNUSED_PAD src0_sel:WORD_0 src1_sel:DWORD
	v_lshrrev_b32_e32 v27, 21, v28
	v_lshrrev_b32_e32 v30, 31, v28
	v_lshrrev_b16_e32 v29, 8, v27
	v_cmp_ne_u16_e32 vcc, 0, v30
	v_lshrrev_b32_e32 v28, 30, v28
	v_lshrrev_b16_e32 v27, 7, v27
	v_bfe_i32 v29, v29, 0, 1
	v_cndmask_b32_e64 v32, 0, -1, vcc
	v_lshlrev_b16_e32 v21, 8, v21
	v_lshlrev_b16_e32 v29, 8, v29
	v_bfe_i32 v27, v27, 0, 1
	v_bfe_i32 v28, v28, 0, 1
	v_lshlrev_b16_e32 v32, 8, v32
	v_or_b32_sdwa v30, v27, v29 dst_sel:DWORD dst_unused:UNUSED_PAD src0_sel:BYTE_0 src1_sel:DWORD
	v_or_b32_sdwa v33, v28, v32 dst_sel:WORD_1 dst_unused:UNUSED_PAD src0_sel:BYTE_0 src1_sel:DWORD
	v_lshlrev_b16_e32 v22, 8, v22
	v_or_b32_sdwa v30, v30, v33 dst_sel:DWORD dst_unused:UNUSED_PAD src0_sel:WORD_0 src1_sel:DWORD
	s_waitcnt vmcnt(1)
	v_xor_b32_e32 v4, v4, v25
	v_and_b32_e32 v25, 0xffffff00, v4
	v_sub_i16 v23, v25, v23 clamp
	v_lshlrev_b16_e32 v25, 8, v4
	v_sub_i16 v21, v25, v21 clamp
	v_perm_b32 v21, v21, v23, s18
	v_and_b32_sdwa v23, v4, s15 dst_sel:DWORD dst_unused:UNUSED_PAD src0_sel:WORD_1 src1_sel:DWORD
	v_lshlrev_b16_sdwa v4, v20, v4 dst_sel:DWORD dst_unused:UNUSED_PAD src0_sel:DWORD src1_sel:WORD_1
	v_sub_i16 v23, v23, v26 clamp
	v_sub_i16 v4, v4, v22 clamp
	v_perm_b32 v4, v4, v23, s18
	s_waitcnt vmcnt(0)
	v_xor_b32_e32 v5, v5, v30
	v_lshl_or_b32 v4, v4, 16, v21
	v_and_b32_e32 v21, 0xffffff00, v5
	v_lshlrev_b16_e32 v22, 8, v5
	v_lshlrev_b16_e32 v23, 8, v27
	v_sub_i16 v21, v21, v29 clamp
	v_sub_i16 v22, v22, v23 clamp
	v_perm_b32 v21, v22, v21, s18
	v_and_b32_sdwa v22, v5, s15 dst_sel:DWORD dst_unused:UNUSED_PAD src0_sel:WORD_1 src1_sel:DWORD
	v_lshlrev_b16_sdwa v5, v20, v5 dst_sel:DWORD dst_unused:UNUSED_PAD src0_sel:DWORD src1_sel:WORD_1
	v_lshlrev_b16_e32 v23, 8, v28
	v_sub_i16 v22, v22, v32 clamp
	v_sub_i16 v5, v5, v23 clamp
	v_perm_b32 v5, v5, v22, s18
	v_lshl_or_b32 v5, v5, 16, v21
	v_dot4_i32_i8 v3, v4, v24, v3
	v_add_co_u32_e32 v4, vcc, v10, v16
	v_dot4_i32_i8 v3, v5, v31, v3
	v_addc_co_u32_e32 v5, vcc, 0, v11, vcc
	global_load_ubyte v4, v[4:5], off offset:106
	v_add_co_u32_e32 v6, vcc, 0x1200, v6
	v_addc_co_u32_e32 v7, vcc, 0, v7, vcc
	v_cmp_le_u32_e32 vcc, s7, v13
	s_or_b64 s[0:1], vcc, s[0:1]
	s_waitcnt vmcnt(0)
	v_lshrrev_b32_e32 v4, v17, v4
	v_lshlrev_b32_e32 v4, 1, v4
	v_and_or_b32 v4, v4, 30, 1
	v_mul_lo_u32 v3, v3, v4
	global_load_ushort v4, v[10:11], off
	v_cvt_f32_i32_e32 v3, v3
	s_waitcnt vmcnt(0)
	v_cvt_f32_f16_e32 v4, v4
	v_mul_f32_e32 v2, v4, v2
	v_fmac_f32_e32 v12, v2, v3
	s_andn2_b64 exec, exec, s[0:1]
	s_cbranch_execnz .LBB256_9
; %bb.10:
	s_or_b64 exec, exec, s[0:1]
.LBB256_11:
	s_or_b64 exec, exec, s[20:21]
	v_cmp_eq_u32_e32 vcc, 0, v1
	s_waitcnt lgkmcnt(0)
	v_cmp_ne_u32_e64 s[0:1], 0, v1
	v_lshlrev_b32_e32 v2, 2, v0
	s_and_saveexec_b64 s[12:13], s[0:1]
; %bb.12:
	v_lshlrev_b32_e32 v1, 8, v1
	s_movk_i32 s0, 0xff00
	v_add3_u32 v1, v1, v2, s0
	ds_write_b32 v1, v12
; %bb.13:
	s_or_b64 exec, exec, s[12:13]
	s_waitcnt lgkmcnt(0)
	s_barrier
	s_and_saveexec_b64 s[0:1], vcc
	s_cbranch_execz .LBB256_16
; %bb.14:
	ds_read_b32 v1, v2
	v_mbcnt_lo_u32_b32 v2, -1, 0
	v_mbcnt_hi_u32_b32 v2, -1, v2
	v_and_b32_e32 v3, 64, v2
	v_add_u32_e32 v3, 64, v3
	v_xor_b32_e32 v4, 32, v2
	v_cmp_lt_i32_e32 vcc, v4, v3
	v_cndmask_b32_e32 v4, v2, v4, vcc
	v_lshlrev_b32_e32 v4, 2, v4
	s_waitcnt lgkmcnt(0)
	v_add_f32_e32 v1, v12, v1
	ds_bpermute_b32 v4, v4, v1
	v_xor_b32_e32 v5, 16, v2
	v_cmp_lt_i32_e32 vcc, v5, v3
	v_cndmask_b32_e32 v5, v2, v5, vcc
	v_lshlrev_b32_e32 v5, 2, v5
	s_waitcnt lgkmcnt(0)
	v_add_f32_e32 v1, v1, v4
	ds_bpermute_b32 v4, v5, v1
	;; [unrolled: 7-line block ×6, first 2 shown]
	s_mov_b32 s1, 0
	v_cmp_eq_u32_e32 vcc, 0, v0
	s_and_b64 exec, exec, vcc
	s_cbranch_execz .LBB256_16
; %bb.15:
	s_load_dwordx2 s[4:5], s[4:5], 0x38
	s_mul_i32 s0, s2, s10
	s_add_i32 s0, s0, s6
	s_mul_i32 s2, s14, s8
	s_add_i32 s0, s0, s2
	s_lshl_b64 s[0:1], s[0:1], 2
	s_waitcnt lgkmcnt(0)
	s_add_u32 s0, s4, s0
	v_add_f32_e32 v0, v1, v2
	s_addc_u32 s1, s5, s1
	v_mov_b32_e32 v1, 0
	global_store_dword v1, v0, s[0:1]
.LBB256_16:
	s_endpgm
	.section	.rodata,"a",@progbits
	.p2align	6, 0x0
	.amdhsa_kernel _ZL13mul_mat_vec_qIL9ggml_type21ELi1ELb0ELb0EEvPKvS2_PKi31ggml_cuda_mm_fusion_args_devicePfj15HIP_vector_typeIjLj3EEjjjS8_jjjS8_jjjj
		.amdhsa_group_segment_fixed_size 256
		.amdhsa_private_segment_fixed_size 0
		.amdhsa_kernarg_size 144
		.amdhsa_user_sgpr_count 6
		.amdhsa_user_sgpr_private_segment_buffer 1
		.amdhsa_user_sgpr_dispatch_ptr 0
		.amdhsa_user_sgpr_queue_ptr 0
		.amdhsa_user_sgpr_kernarg_segment_ptr 1
		.amdhsa_user_sgpr_dispatch_id 0
		.amdhsa_user_sgpr_flat_scratch_init 0
		.amdhsa_user_sgpr_private_segment_size 0
		.amdhsa_uses_dynamic_stack 0
		.amdhsa_system_sgpr_private_segment_wavefront_offset 0
		.amdhsa_system_sgpr_workgroup_id_x 1
		.amdhsa_system_sgpr_workgroup_id_y 1
		.amdhsa_system_sgpr_workgroup_id_z 1
		.amdhsa_system_sgpr_workgroup_info 0
		.amdhsa_system_vgpr_workitem_id 1
		.amdhsa_next_free_vgpr 42
		.amdhsa_next_free_sgpr 24
		.amdhsa_reserve_vcc 1
		.amdhsa_reserve_flat_scratch 0
		.amdhsa_float_round_mode_32 0
		.amdhsa_float_round_mode_16_64 0
		.amdhsa_float_denorm_mode_32 3
		.amdhsa_float_denorm_mode_16_64 3
		.amdhsa_dx10_clamp 1
		.amdhsa_ieee_mode 1
		.amdhsa_fp16_overflow 0
		.amdhsa_exception_fp_ieee_invalid_op 0
		.amdhsa_exception_fp_denorm_src 0
		.amdhsa_exception_fp_ieee_div_zero 0
		.amdhsa_exception_fp_ieee_overflow 0
		.amdhsa_exception_fp_ieee_underflow 0
		.amdhsa_exception_fp_ieee_inexact 0
		.amdhsa_exception_int_div_zero 0
	.end_amdhsa_kernel
	.section	.text._ZL13mul_mat_vec_qIL9ggml_type21ELi1ELb0ELb0EEvPKvS2_PKi31ggml_cuda_mm_fusion_args_devicePfj15HIP_vector_typeIjLj3EEjjjS8_jjjS8_jjjj,"axG",@progbits,_ZL13mul_mat_vec_qIL9ggml_type21ELi1ELb0ELb0EEvPKvS2_PKi31ggml_cuda_mm_fusion_args_devicePfj15HIP_vector_typeIjLj3EEjjjS8_jjjS8_jjjj,comdat
.Lfunc_end256:
	.size	_ZL13mul_mat_vec_qIL9ggml_type21ELi1ELb0ELb0EEvPKvS2_PKi31ggml_cuda_mm_fusion_args_devicePfj15HIP_vector_typeIjLj3EEjjjS8_jjjS8_jjjj, .Lfunc_end256-_ZL13mul_mat_vec_qIL9ggml_type21ELi1ELb0ELb0EEvPKvS2_PKi31ggml_cuda_mm_fusion_args_devicePfj15HIP_vector_typeIjLj3EEjjjS8_jjjS8_jjjj
                                        ; -- End function
	.set _ZL13mul_mat_vec_qIL9ggml_type21ELi1ELb0ELb0EEvPKvS2_PKi31ggml_cuda_mm_fusion_args_devicePfj15HIP_vector_typeIjLj3EEjjjS8_jjjS8_jjjj.num_vgpr, 42
	.set _ZL13mul_mat_vec_qIL9ggml_type21ELi1ELb0ELb0EEvPKvS2_PKi31ggml_cuda_mm_fusion_args_devicePfj15HIP_vector_typeIjLj3EEjjjS8_jjjS8_jjjj.num_agpr, 0
	.set _ZL13mul_mat_vec_qIL9ggml_type21ELi1ELb0ELb0EEvPKvS2_PKi31ggml_cuda_mm_fusion_args_devicePfj15HIP_vector_typeIjLj3EEjjjS8_jjjS8_jjjj.numbered_sgpr, 24
	.set _ZL13mul_mat_vec_qIL9ggml_type21ELi1ELb0ELb0EEvPKvS2_PKi31ggml_cuda_mm_fusion_args_devicePfj15HIP_vector_typeIjLj3EEjjjS8_jjjS8_jjjj.num_named_barrier, 0
	.set _ZL13mul_mat_vec_qIL9ggml_type21ELi1ELb0ELb0EEvPKvS2_PKi31ggml_cuda_mm_fusion_args_devicePfj15HIP_vector_typeIjLj3EEjjjS8_jjjS8_jjjj.private_seg_size, 0
	.set _ZL13mul_mat_vec_qIL9ggml_type21ELi1ELb0ELb0EEvPKvS2_PKi31ggml_cuda_mm_fusion_args_devicePfj15HIP_vector_typeIjLj3EEjjjS8_jjjS8_jjjj.uses_vcc, 1
	.set _ZL13mul_mat_vec_qIL9ggml_type21ELi1ELb0ELb0EEvPKvS2_PKi31ggml_cuda_mm_fusion_args_devicePfj15HIP_vector_typeIjLj3EEjjjS8_jjjS8_jjjj.uses_flat_scratch, 0
	.set _ZL13mul_mat_vec_qIL9ggml_type21ELi1ELb0ELb0EEvPKvS2_PKi31ggml_cuda_mm_fusion_args_devicePfj15HIP_vector_typeIjLj3EEjjjS8_jjjS8_jjjj.has_dyn_sized_stack, 0
	.set _ZL13mul_mat_vec_qIL9ggml_type21ELi1ELb0ELb0EEvPKvS2_PKi31ggml_cuda_mm_fusion_args_devicePfj15HIP_vector_typeIjLj3EEjjjS8_jjjS8_jjjj.has_recursion, 0
	.set _ZL13mul_mat_vec_qIL9ggml_type21ELi1ELb0ELb0EEvPKvS2_PKi31ggml_cuda_mm_fusion_args_devicePfj15HIP_vector_typeIjLj3EEjjjS8_jjjS8_jjjj.has_indirect_call, 0
	.section	.AMDGPU.csdata,"",@progbits
; Kernel info:
; codeLenInByte = 3000
; TotalNumSgprs: 28
; NumVgprs: 42
; ScratchSize: 0
; MemoryBound: 0
; FloatMode: 240
; IeeeMode: 1
; LDSByteSize: 256 bytes/workgroup (compile time only)
; SGPRBlocks: 3
; VGPRBlocks: 10
; NumSGPRsForWavesPerEU: 28
; NumVGPRsForWavesPerEU: 42
; Occupancy: 5
; WaveLimiterHint : 0
; COMPUTE_PGM_RSRC2:SCRATCH_EN: 0
; COMPUTE_PGM_RSRC2:USER_SGPR: 6
; COMPUTE_PGM_RSRC2:TRAP_HANDLER: 0
; COMPUTE_PGM_RSRC2:TGID_X_EN: 1
; COMPUTE_PGM_RSRC2:TGID_Y_EN: 1
; COMPUTE_PGM_RSRC2:TGID_Z_EN: 1
; COMPUTE_PGM_RSRC2:TIDIG_COMP_CNT: 1
	.section	.text._ZL13mul_mat_vec_qIL9ggml_type21ELi2ELb0ELb0EEvPKvS2_PKi31ggml_cuda_mm_fusion_args_devicePfj15HIP_vector_typeIjLj3EEjjjS8_jjjS8_jjjj,"axG",@progbits,_ZL13mul_mat_vec_qIL9ggml_type21ELi2ELb0ELb0EEvPKvS2_PKi31ggml_cuda_mm_fusion_args_devicePfj15HIP_vector_typeIjLj3EEjjjS8_jjjS8_jjjj,comdat
	.globl	_ZL13mul_mat_vec_qIL9ggml_type21ELi2ELb0ELb0EEvPKvS2_PKi31ggml_cuda_mm_fusion_args_devicePfj15HIP_vector_typeIjLj3EEjjjS8_jjjS8_jjjj ; -- Begin function _ZL13mul_mat_vec_qIL9ggml_type21ELi2ELb0ELb0EEvPKvS2_PKi31ggml_cuda_mm_fusion_args_devicePfj15HIP_vector_typeIjLj3EEjjjS8_jjjS8_jjjj
	.p2align	8
	.type	_ZL13mul_mat_vec_qIL9ggml_type21ELi2ELb0ELb0EEvPKvS2_PKi31ggml_cuda_mm_fusion_args_devicePfj15HIP_vector_typeIjLj3EEjjjS8_jjjS8_jjjj,@function
_ZL13mul_mat_vec_qIL9ggml_type21ELi2ELb0ELb0EEvPKvS2_PKi31ggml_cuda_mm_fusion_args_devicePfj15HIP_vector_typeIjLj3EEjjjS8_jjjS8_jjjj: ; @_ZL13mul_mat_vec_qIL9ggml_type21ELi2ELb0ELb0EEvPKvS2_PKi31ggml_cuda_mm_fusion_args_devicePfj15HIP_vector_typeIjLj3EEjjjS8_jjjS8_jjjj
; %bb.0:
	s_load_dword s9, s[4:5], 0x40
	s_load_dwordx4 s[0:3], s[4:5], 0x50
	s_load_dword s25, s[4:5], 0x60
	s_load_dwordx4 s[12:15], s[4:5], 0x68
	;; [unrolled: 2-line block ×3, first 2 shown]
	v_lshl_add_u32 v2, v1, 6, v0
	s_waitcnt lgkmcnt(0)
	s_lshr_b32 s9, s9, 8
	v_lshrrev_b32_e32 v20, 3, v2
	s_lshl_b32 s6, s6, 1
	v_cmp_gt_u32_e32 vcc, s9, v20
	v_mov_b32_e32 v17, 0
	v_mov_b32_e32 v18, 0
	;; [unrolled: 1-line block ×4, first 2 shown]
	s_and_saveexec_b64 s[10:11], vcc
	s_cbranch_execz .LBB257_4
; %bb.1:
	s_mul_hi_u32 s3, s3, s7
	s_add_i32 s3, s7, s3
	s_load_dwordx4 s[20:23], s[4:5], 0x0
	s_lshr_b32 s3, s3, s25
	s_mul_i32 s3, s3, s12
	s_mul_hi_u32 s12, s15, s8
	s_add_i32 s12, s8, s12
	s_lshr_b32 s12, s12, s24
	s_mul_i32 s19, s17, s8
	s_mul_i32 s15, s12, s16
	;; [unrolled: 1-line block ×3, first 2 shown]
	s_mul_hi_u32 s12, s19, 36
	s_waitcnt lgkmcnt(0)
	s_add_u32 s16, s22, s16
	s_addc_u32 s17, s23, s12
	s_mul_i32 s12, s13, s7
	s_mul_hi_u32 s13, s12, 36
	s_mul_i32 s12, s12, 36
	s_add_u32 s16, s16, s12
	s_addc_u32 s17, s17, s13
	v_lshlrev_b32_e32 v2, 1, v0
	v_and_b32_e32 v22, 7, v0
	v_and_b32_e32 v4, 14, v2
	v_mad_u64_u32 v[10:11], s[16:17], v22, 36, s[16:17]
	v_bfe_u32 v23, v2, 2, 2
	v_mov_b32_e32 v2, s12
	s_movk_i32 s16, 0x120
	v_mov_b32_e32 v3, s13
	v_mad_u64_u32 v[2:3], s[12:13], v20, s16, v[2:3]
	v_mov_b32_e32 v6, s23
	s_add_i32 s16, s6, 1
	v_mad_u64_u32 v[2:3], s[12:13], s19, 36, v[2:3]
	s_add_i32 s15, s15, s3
	v_lshlrev_b32_e32 v5, 1, v4
	v_mad_u64_u32 v[2:3], s[12:13], v22, 36, v[2:3]
	s_mul_i32 s3, s6, s0
	s_mul_i32 s0, s0, s16
	v_add_co_u32_e32 v2, vcc, s22, v2
	v_addc_co_u32_e32 v3, vcc, v6, v3, vcc
	v_add_co_u32_e32 v12, vcc, 32, v2
	v_mov_b32_e32 v14, s20
	v_mov_b32_e32 v21, 0
	v_and_b32_e32 v24, 4, v5
	s_add_i32 s3, s15, s3
	s_add_i32 s15, s15, s0
	v_lshl_add_u32 v25, v20, 3, s1
	v_addc_co_u32_e32 v13, vcc, 0, v3, vcc
	s_mov_b64 s[0:1], 0
	s_movk_i32 s16, 0x6e
	v_lshlrev_b32_e32 v26, 1, v5
	v_lshlrev_b32_e32 v27, 1, v4
	s_movk_i32 s17, 0x100
	s_movk_i32 s19, 0xff00
	s_mov_b32 s22, 0xc0c0105
	v_mov_b32_e32 v15, s21
	v_mov_b32_e32 v28, 8
	;; [unrolled: 1-line block ×6, first 2 shown]
.LBB257_2:                              ; =>This Inner Loop Header: Depth=1
	v_add_u32_e32 v29, s3, v20
	v_mad_i64_i32 v[38:39], s[12:13], v29, s16, v[14:15]
	global_load_dword v42, v[12:13], off
	global_load_dwordx4 v[2:5], v[12:13], off offset:-16
	global_load_dwordx4 v[6:9], v[12:13], off offset:-32
	s_getpc_b64 s[12:13]
	s_add_u32 s12, s12, _ZL9iq3s_grid@rel32@lo+4
	s_addc_u32 s13, s13, _ZL9iq3s_grid@rel32@hi+12
	v_add_co_u32_e32 v29, vcc, v38, v26
	v_addc_co_u32_e32 v30, vcc, 0, v39, vcc
	global_load_dwordx2 v[33:34], v[29:30], off offset:2
	v_add_co_u32_e32 v29, vcc, v38, v22
	v_addc_co_u32_e32 v30, vcc, 0, v39, vcc
	global_load_ubyte v35, v[29:30], off offset:66
	v_add_co_u32_e32 v29, vcc, v38, v27
	v_addc_co_u32_e32 v30, vcc, 0, v39, vcc
	global_load_dword v36, v[29:30], off offset:74
	s_waitcnt vmcnt(3)
	v_cvt_f32_f16_e32 v41, v6
	s_waitcnt vmcnt(2)
	v_and_b32_e32 v6, 0xff, v33
	s_waitcnt vmcnt(1)
	v_lshlrev_b32_e32 v29, 8, v35
	v_and_or_b32 v6, v29, s17, v6
	v_lshlrev_b32_e32 v6, 2, v6
	global_load_dword v6, v6, s[12:13]
	v_bfe_u32 v29, v33, 8, 8
	v_lshlrev_b32_e32 v30, 7, v35
	v_and_or_b32 v29, v30, s17, v29
	v_lshlrev_b32_e32 v29, 2, v29
	global_load_dword v29, v29, s[12:13]
	s_waitcnt vmcnt(2)
	v_and_b32_e32 v30, 0xff, v36
	v_lshlrev_b32_e32 v31, 21, v36
	v_lshl_or_b32 v31, v30, 7, v31
	v_and_b32_e32 v37, 0x1800180, v31
	v_bfe_u32 v31, v31, 24, 1
	v_cmp_ne_u16_e32 vcc, 0, v31
	v_cmp_ne_u16_sdwa s[20:21], v37, v21 src0_sel:BYTE_1 src1_sel:DWORD
	v_lshrrev_b16_e32 v31, 7, v37
	v_lshrrev_b32_e32 v37, 2, v36
	v_cndmask_b32_e64 v40, 0, -1, s[20:21]
	v_cndmask_b32_e64 v44, 0, -1, vcc
	v_bfe_i32 v31, v31, 0, 1
	v_lshlrev_b16_e32 v40, 8, v40
	v_lshlrev_b16_e32 v44, 8, v44
	v_bfe_i32 v37, v37, 0, 1
	v_or_b32_sdwa v43, v31, v40 dst_sel:DWORD dst_unused:UNUSED_PAD src0_sel:BYTE_0 src1_sel:DWORD
	v_or_b32_sdwa v45, v37, v44 dst_sel:WORD_1 dst_unused:UNUSED_PAD src0_sel:BYTE_0 src1_sel:DWORD
	v_or_b32_sdwa v43, v43, v45 dst_sel:DWORD dst_unused:UNUSED_PAD src0_sel:WORD_0 src1_sel:DWORD
	v_lshlrev_b32_e32 v45, 17, v36
	v_lshl_or_b32 v30, v30, 3, v45
	v_and_b32_e32 v45, 0x1800180, v30
	v_bfe_u32 v30, v30, 24, 1
	v_cmp_ne_u16_e32 vcc, 0, v30
	v_cmp_ne_u16_sdwa s[20:21], v45, v21 src0_sel:BYTE_1 src1_sel:DWORD
	v_lshrrev_b16_e32 v30, 7, v45
	v_lshrrev_b32_e32 v45, 6, v36
	v_cndmask_b32_e64 v46, 0, -1, s[20:21]
	v_cndmask_b32_e64 v48, 0, -1, vcc
	v_lshlrev_b16_e32 v31, 8, v31
	v_bfe_i32 v30, v30, 0, 1
	v_lshlrev_b16_e32 v46, 8, v46
	v_lshlrev_b16_e32 v48, 8, v48
	v_bfe_i32 v45, v45, 0, 1
	v_or_b32_sdwa v47, v30, v46 dst_sel:DWORD dst_unused:UNUSED_PAD src0_sel:BYTE_0 src1_sel:DWORD
	v_or_b32_sdwa v49, v45, v48 dst_sel:WORD_1 dst_unused:UNUSED_PAD src0_sel:BYTE_0 src1_sel:DWORD
	v_lshlrev_b16_e32 v37, 8, v37
	v_or_b32_sdwa v47, v47, v49 dst_sel:DWORD dst_unused:UNUSED_PAD src0_sel:WORD_0 src1_sel:DWORD
	v_lshlrev_b16_e32 v30, 8, v30
	v_lshrrev_b32_e32 v32, 16, v36
	s_waitcnt vmcnt(1)
	v_xor_b32_e32 v6, v6, v43
	v_and_b32_e32 v43, 0xffffff00, v6
	v_sub_i16 v40, v43, v40 clamp
	v_lshlrev_b16_e32 v43, 8, v6
	v_sub_i16 v31, v43, v31 clamp
	v_perm_b32 v31, v31, v40, s22
	v_and_b32_sdwa v40, v6, s19 dst_sel:DWORD dst_unused:UNUSED_PAD src0_sel:WORD_1 src1_sel:DWORD
	v_lshlrev_b16_sdwa v6, v28, v6 dst_sel:DWORD dst_unused:UNUSED_PAD src0_sel:DWORD src1_sel:WORD_1
	v_sub_i16 v40, v40, v44 clamp
	v_sub_i16 v6, v6, v37 clamp
	v_perm_b32 v6, v6, v40, s22
	s_waitcnt vmcnt(0)
	v_xor_b32_e32 v29, v29, v47
	v_lshl_or_b32 v6, v6, 16, v31
	v_and_b32_e32 v31, 0xffffff00, v29
	v_lshlrev_b16_e32 v37, 8, v29
	v_sub_i16 v31, v31, v46 clamp
	v_sub_i16 v30, v37, v30 clamp
	v_perm_b32 v30, v30, v31, s22
	v_and_b32_sdwa v31, v29, s19 dst_sel:DWORD dst_unused:UNUSED_PAD src0_sel:WORD_1 src1_sel:DWORD
	v_lshlrev_b16_sdwa v29, v28, v29 dst_sel:DWORD dst_unused:UNUSED_PAD src0_sel:DWORD src1_sel:WORD_1
	v_lshlrev_b16_e32 v37, 8, v45
	v_sub_i16 v31, v31, v48 clamp
	v_sub_i16 v29, v29, v37 clamp
	v_perm_b32 v29, v29, v31, s22
	v_lshl_or_b32 v29, v29, 16, v30
	v_dot4_i32_i8 v30, v6, v7, 0
	v_dot4_i32_i8 v37, v29, v8, v30
	v_bfe_u32 v30, v33, 16, 8
	v_lshlrev_b32_e32 v31, 6, v35
	v_and_or_b32 v30, v31, s17, v30
	v_lshlrev_b32_e32 v30, 2, v30
	global_load_dword v30, v30, s[12:13]
	v_lshrrev_b32_e32 v31, 24, v33
	v_lshlrev_b32_e32 v33, 5, v35
	v_and_or_b32 v31, v33, s17, v31
	v_lshlrev_b32_e32 v31, 2, v31
	global_load_dword v31, v31, s[12:13]
	v_lshrrev_b32_e32 v33, 1, v36
	v_and_b32_e32 v33, 0x180, v33
	v_lshrrev_b32_e32 v40, 11, v36
	v_cmp_ne_u16_sdwa s[20:21], v33, v21 src0_sel:BYTE_1 src1_sel:DWORD
	v_lshrrev_b32_e32 v43, 10, v36
	v_lshrrev_b16_e32 v33, 7, v33
	v_cndmask_b32_e64 v44, 0, -1, s[20:21]
	v_bfe_i32 v40, v40, 0, 1
	v_bfe_i32 v33, v33, 0, 1
	v_lshlrev_b16_e32 v44, 8, v44
	v_lshlrev_b16_e32 v40, 8, v40
	v_bfe_i32 v43, v43, 0, 1
	v_or_b32_sdwa v45, v33, v44 dst_sel:DWORD dst_unused:UNUSED_PAD src0_sel:BYTE_0 src1_sel:DWORD
	v_or_b32_sdwa v46, v43, v40 dst_sel:WORD_1 dst_unused:UNUSED_PAD src0_sel:BYTE_0 src1_sel:DWORD
	v_or_b32_sdwa v45, v45, v46 dst_sel:DWORD dst_unused:UNUSED_PAD src0_sel:WORD_0 src1_sel:DWORD
	v_lshrrev_b32_e32 v46, 5, v36
	v_and_b32_e32 v46, 0x180, v46
	v_lshrrev_b32_e32 v47, 15, v36
	v_cmp_ne_u16_sdwa s[20:21], v46, v21 src0_sel:BYTE_1 src1_sel:DWORD
	v_lshrrev_b32_e32 v48, 14, v36
	v_lshrrev_b16_e32 v46, 7, v46
	v_cndmask_b32_e64 v49, 0, -1, s[20:21]
	v_bfe_i32 v47, v47, 0, 1
	v_lshlrev_b16_e32 v33, 8, v33
	v_bfe_i32 v46, v46, 0, 1
	v_lshlrev_b16_e32 v49, 8, v49
	v_lshlrev_b16_e32 v47, 8, v47
	v_bfe_i32 v48, v48, 0, 1
	v_or_b32_sdwa v50, v46, v49 dst_sel:DWORD dst_unused:UNUSED_PAD src0_sel:BYTE_0 src1_sel:DWORD
	v_or_b32_sdwa v51, v48, v47 dst_sel:WORD_1 dst_unused:UNUSED_PAD src0_sel:BYTE_0 src1_sel:DWORD
	v_lshlrev_b16_e32 v43, 8, v43
	v_or_b32_sdwa v50, v50, v51 dst_sel:DWORD dst_unused:UNUSED_PAD src0_sel:WORD_0 src1_sel:DWORD
	s_waitcnt vmcnt(1)
	v_xor_b32_e32 v30, v30, v45
	v_and_b32_e32 v45, 0xffffff00, v30
	v_sub_i16 v44, v45, v44 clamp
	v_lshlrev_b16_e32 v45, 8, v30
	v_sub_i16 v33, v45, v33 clamp
	v_perm_b32 v33, v33, v44, s22
	v_and_b32_sdwa v44, v30, s19 dst_sel:DWORD dst_unused:UNUSED_PAD src0_sel:WORD_1 src1_sel:DWORD
	v_lshlrev_b16_sdwa v30, v28, v30 dst_sel:DWORD dst_unused:UNUSED_PAD src0_sel:DWORD src1_sel:WORD_1
	v_sub_i16 v40, v44, v40 clamp
	v_sub_i16 v30, v30, v43 clamp
	v_perm_b32 v30, v30, v40, s22
	s_waitcnt vmcnt(0)
	v_xor_b32_e32 v31, v31, v50
	v_lshl_or_b32 v30, v30, 16, v33
	v_and_b32_e32 v33, 0xffffff00, v31
	v_lshlrev_b16_e32 v40, 8, v31
	v_lshlrev_b16_e32 v43, 8, v46
	v_sub_i16 v33, v33, v49 clamp
	v_sub_i16 v40, v40, v43 clamp
	v_perm_b32 v33, v40, v33, s22
	v_and_b32_sdwa v40, v31, s19 dst_sel:DWORD dst_unused:UNUSED_PAD src0_sel:WORD_1 src1_sel:DWORD
	v_lshlrev_b16_sdwa v31, v28, v31 dst_sel:DWORD dst_unused:UNUSED_PAD src0_sel:DWORD src1_sel:WORD_1
	v_lshlrev_b16_e32 v43, 8, v48
	v_sub_i16 v40, v40, v47 clamp
	v_sub_i16 v31, v31, v43 clamp
	v_perm_b32 v31, v31, v40, s22
	v_lshl_or_b32 v31, v31, 16, v33
	v_dot4_i32_i8 v33, v30, v9, v37
	v_dot4_i32_i8 v37, v31, v2, v33
	v_and_b32_e32 v33, 0xff, v34
	v_lshlrev_b32_e32 v40, 4, v35
	v_and_or_b32 v33, v40, s17, v33
	v_lshlrev_b32_e32 v33, 2, v33
	global_load_dword v33, v33, s[12:13]
	v_bfe_u32 v40, v34, 8, 8
	v_lshlrev_b32_e32 v43, 3, v35
	v_and_or_b32 v40, v43, s17, v40
	v_lshlrev_b32_e32 v40, 2, v40
	global_load_dword v40, v40, s[12:13]
	v_lshrrev_b32_e32 v43, 9, v36
	v_lshl_or_b32 v43, v32, 21, v43
	v_and_b32_e32 v44, 0x1800180, v43
	v_bfe_u32 v43, v43, 24, 1
	v_cmp_ne_u16_e32 vcc, 0, v43
	v_cmp_ne_u16_sdwa s[20:21], v44, v21 src0_sel:BYTE_1 src1_sel:DWORD
	v_lshrrev_b16_e32 v43, 7, v44
	v_lshrrev_b32_e32 v44, 18, v36
	v_cndmask_b32_e64 v45, 0, -1, s[20:21]
	v_cndmask_b32_e64 v47, 0, -1, vcc
	v_bfe_i32 v43, v43, 0, 1
	v_lshlrev_b16_e32 v45, 8, v45
	v_lshlrev_b16_e32 v47, 8, v47
	v_bfe_i32 v44, v44, 0, 1
	v_or_b32_sdwa v46, v43, v45 dst_sel:DWORD dst_unused:UNUSED_PAD src0_sel:BYTE_0 src1_sel:DWORD
	v_or_b32_sdwa v48, v44, v47 dst_sel:WORD_1 dst_unused:UNUSED_PAD src0_sel:BYTE_0 src1_sel:DWORD
	v_or_b32_sdwa v46, v46, v48 dst_sel:DWORD dst_unused:UNUSED_PAD src0_sel:WORD_0 src1_sel:DWORD
	v_lshrrev_b32_e32 v48, 13, v36
	v_lshl_or_b32 v32, v32, 17, v48
	v_and_b32_e32 v48, 0x1800180, v32
	v_bfe_u32 v32, v32, 24, 1
	v_cmp_ne_u16_e32 vcc, 0, v32
	v_cmp_ne_u16_sdwa s[20:21], v48, v21 src0_sel:BYTE_1 src1_sel:DWORD
	v_lshrrev_b16_e32 v32, 7, v48
	v_lshrrev_b32_e32 v48, 22, v36
	v_bfe_i32 v49, v32, 0, 1
	v_cndmask_b32_e64 v32, 0, -1, s[20:21]
	v_cndmask_b32_e64 v51, 0, -1, vcc
	v_lshlrev_b16_e32 v50, 8, v32
	v_lshlrev_b16_e32 v51, 8, v51
	v_bfe_i32 v48, v48, 0, 1
	v_or_b32_sdwa v32, v49, v50 dst_sel:DWORD dst_unused:UNUSED_PAD src0_sel:BYTE_0 src1_sel:DWORD
	v_or_b32_sdwa v52, v48, v51 dst_sel:WORD_1 dst_unused:UNUSED_PAD src0_sel:BYTE_0 src1_sel:DWORD
	v_or_b32_sdwa v52, v32, v52 dst_sel:DWORD dst_unused:UNUSED_PAD src0_sel:WORD_0 src1_sel:DWORD
	v_lshlrev_b16_e32 v43, 8, v43
	v_lshlrev_b16_e32 v44, 8, v44
	s_waitcnt vmcnt(1)
	v_xor_b32_e32 v32, v33, v46
	v_and_b32_e32 v33, 0xffffff00, v32
	v_sub_i16 v33, v33, v45 clamp
	v_lshlrev_b16_e32 v45, 8, v32
	v_sub_i16 v43, v45, v43 clamp
	v_perm_b32 v33, v43, v33, s22
	v_and_b32_sdwa v43, v32, s19 dst_sel:DWORD dst_unused:UNUSED_PAD src0_sel:WORD_1 src1_sel:DWORD
	v_lshlrev_b16_sdwa v32, v28, v32 dst_sel:DWORD dst_unused:UNUSED_PAD src0_sel:DWORD src1_sel:WORD_1
	v_sub_i16 v43, v43, v47 clamp
	v_sub_i16 v32, v32, v44 clamp
	v_perm_b32 v32, v32, v43, s22
	v_lshl_or_b32 v32, v32, 16, v33
	s_waitcnt vmcnt(0)
	v_xor_b32_e32 v33, v40, v52
	v_and_b32_e32 v40, 0xffffff00, v33
	v_lshlrev_b16_e32 v43, 8, v33
	v_lshlrev_b16_e32 v44, 8, v49
	v_sub_i16 v40, v40, v50 clamp
	v_sub_i16 v43, v43, v44 clamp
	v_perm_b32 v40, v43, v40, s22
	v_and_b32_sdwa v43, v33, s19 dst_sel:DWORD dst_unused:UNUSED_PAD src0_sel:WORD_1 src1_sel:DWORD
	v_lshlrev_b16_sdwa v33, v28, v33 dst_sel:DWORD dst_unused:UNUSED_PAD src0_sel:DWORD src1_sel:WORD_1
	v_lshlrev_b16_e32 v44, 8, v48
	v_sub_i16 v43, v43, v51 clamp
	v_sub_i16 v33, v33, v44 clamp
	v_perm_b32 v33, v33, v43, s22
	v_lshl_or_b32 v33, v33, 16, v40
	v_bfe_u32 v40, v34, 16, 8
	v_lshlrev_b32_e32 v43, 2, v35
	v_and_or_b32 v40, v43, s17, v40
	v_lshlrev_b32_e32 v40, 2, v40
	global_load_dword v40, v40, s[12:13]
	v_lshrrev_b32_e32 v34, 24, v34
	v_lshlrev_b32_e32 v35, 1, v35
	v_and_or_b32 v34, v35, s17, v34
	v_lshlrev_b32_e32 v34, 2, v34
	global_load_dword v35, v34, s[12:13]
	v_lshrrev_b32_e32 v34, 17, v36
	v_lshrrev_b32_e32 v43, 24, v36
	v_lshl_or_b32 v34, v43, 21, v34
	v_and_b32_e32 v43, 0x1800180, v34
	v_bfe_u32 v34, v34, 24, 1
	v_cmp_ne_u16_e32 vcc, 0, v34
	v_cmp_ne_u16_sdwa s[20:21], v43, v21 src0_sel:BYTE_1 src1_sel:DWORD
	v_lshrrev_b16_e32 v34, 7, v43
	v_lshrrev_b32_e32 v43, 26, v36
	v_cndmask_b32_e64 v44, 0, -1, s[20:21]
	v_cndmask_b32_e64 v46, 0, -1, vcc
	v_bfe_i32 v34, v34, 0, 1
	v_lshlrev_b16_e32 v44, 8, v44
	v_lshlrev_b16_e32 v46, 8, v46
	v_bfe_i32 v43, v43, 0, 1
	v_or_b32_sdwa v45, v34, v44 dst_sel:DWORD dst_unused:UNUSED_PAD src0_sel:BYTE_0 src1_sel:DWORD
	v_or_b32_sdwa v47, v43, v46 dst_sel:WORD_1 dst_unused:UNUSED_PAD src0_sel:BYTE_0 src1_sel:DWORD
	v_or_b32_sdwa v45, v45, v47 dst_sel:DWORD dst_unused:UNUSED_PAD src0_sel:WORD_0 src1_sel:DWORD
	v_lshrrev_b32_e32 v47, 21, v36
	v_lshrrev_b32_e32 v49, 31, v36
	v_lshrrev_b16_e32 v48, 8, v47
	v_cmp_ne_u16_e32 vcc, 0, v49
	v_lshrrev_b32_e32 v36, 30, v36
	v_lshrrev_b16_e32 v47, 7, v47
	v_bfe_i32 v48, v48, 0, 1
	v_cndmask_b32_e64 v50, 0, -1, vcc
	v_lshlrev_b16_e32 v34, 8, v34
	v_lshlrev_b16_e32 v48, 8, v48
	v_bfe_i32 v47, v47, 0, 1
	v_bfe_i32 v36, v36, 0, 1
	v_lshlrev_b16_e32 v50, 8, v50
	v_or_b32_sdwa v49, v47, v48 dst_sel:DWORD dst_unused:UNUSED_PAD src0_sel:BYTE_0 src1_sel:DWORD
	v_or_b32_sdwa v51, v36, v50 dst_sel:WORD_1 dst_unused:UNUSED_PAD src0_sel:BYTE_0 src1_sel:DWORD
	v_lshlrev_b16_e32 v43, 8, v43
	v_or_b32_sdwa v49, v49, v51 dst_sel:DWORD dst_unused:UNUSED_PAD src0_sel:WORD_0 src1_sel:DWORD
	v_lshlrev_b16_e32 v36, 8, v36
	v_dot4_i32_i8 v37, v32, v3, v37
	v_dot4_i32_i8 v37, v33, v4, v37
	s_waitcnt vmcnt(1)
	v_xor_b32_e32 v40, v40, v45
	v_and_b32_e32 v45, 0xffffff00, v40
	v_sub_i16 v44, v45, v44 clamp
	v_lshlrev_b16_e32 v45, 8, v40
	v_sub_i16 v34, v45, v34 clamp
	v_perm_b32 v34, v34, v44, s22
	v_and_b32_sdwa v44, v40, s19 dst_sel:DWORD dst_unused:UNUSED_PAD src0_sel:WORD_1 src1_sel:DWORD
	v_lshlrev_b16_sdwa v40, v28, v40 dst_sel:DWORD dst_unused:UNUSED_PAD src0_sel:DWORD src1_sel:WORD_1
	v_sub_i16 v44, v44, v46 clamp
	v_sub_i16 v40, v40, v43 clamp
	v_perm_b32 v40, v40, v44, s22
	s_waitcnt vmcnt(0)
	v_xor_b32_e32 v35, v35, v49
	v_lshl_or_b32 v34, v40, 16, v34
	v_and_b32_e32 v40, 0xffffff00, v35
	v_lshlrev_b16_e32 v43, 8, v35
	v_lshlrev_b16_e32 v44, 8, v47
	v_sub_i16 v40, v40, v48 clamp
	v_sub_i16 v43, v43, v44 clamp
	v_perm_b32 v40, v43, v40, s22
	v_and_b32_sdwa v43, v35, s19 dst_sel:DWORD dst_unused:UNUSED_PAD src0_sel:WORD_1 src1_sel:DWORD
	v_lshlrev_b16_sdwa v35, v28, v35 dst_sel:DWORD dst_unused:UNUSED_PAD src0_sel:DWORD src1_sel:WORD_1
	v_sub_i16 v43, v43, v50 clamp
	v_sub_i16 v35, v35, v36 clamp
	v_perm_b32 v35, v35, v43, s22
	v_add_co_u32_e32 v43, vcc, v38, v23
	v_addc_co_u32_e32 v44, vcc, 0, v39, vcc
	v_lshl_or_b32 v36, v35, 16, v40
	v_dot4_i32_i8 v35, v34, v5, v37
	global_load_ubyte v37, v[43:44], off offset:106
	v_dot4_i32_i8 v35, v36, v42, v35
	s_waitcnt vmcnt(0)
	v_lshrrev_b32_e32 v37, v24, v37
	v_lshlrev_b32_e32 v37, 1, v37
	v_and_or_b32 v37, v37, 30, 1
	v_mul_lo_u32 v40, v35, v37
	global_load_ushort v35, v[38:39], off
	v_cvt_f32_i32_e32 v39, v40
	s_waitcnt vmcnt(0)
	v_cvt_f32_f16_e32 v35, v35
	v_mul_f32_e32 v38, v35, v41
	v_fmac_f32_e32 v19, v38, v39
	v_add_u32_e32 v38, s15, v20
	v_mad_i64_i32 v[43:44], s[20:21], v38, s16, v[14:15]
	v_add_u32_e32 v20, 16, v20
	v_add_co_u32_e32 v38, vcc, v43, v26
	v_addc_co_u32_e32 v39, vcc, 0, v44, vcc
	global_load_dwordx2 v[45:46], v[38:39], off offset:2
	v_add_co_u32_e32 v38, vcc, v43, v22
	v_addc_co_u32_e32 v39, vcc, 0, v44, vcc
	global_load_ubyte v47, v[38:39], off offset:66
	v_add_co_u32_e32 v38, vcc, v43, v27
	v_addc_co_u32_e32 v39, vcc, 0, v44, vcc
	global_load_dword v48, v[38:39], off offset:74
	s_waitcnt vmcnt(2)
	v_and_b32_e32 v38, 0xff, v45
	s_waitcnt vmcnt(1)
	v_lshlrev_b32_e32 v39, 8, v47
	v_and_or_b32 v38, v39, s17, v38
	v_lshlrev_b32_e32 v38, 2, v38
	global_load_dword v38, v38, s[12:13]
	v_bfe_u32 v39, v45, 8, 8
	v_lshlrev_b32_e32 v49, 7, v47
	v_and_or_b32 v39, v49, s17, v39
	v_lshlrev_b32_e32 v39, 2, v39
	global_load_dword v39, v39, s[12:13]
	s_waitcnt vmcnt(2)
	v_and_b32_e32 v49, 0xff, v48
	v_lshlrev_b32_e32 v50, 21, v48
	v_lshl_or_b32 v50, v49, 7, v50
	v_and_b32_e32 v51, 0x1800180, v50
	v_bfe_u32 v50, v50, 24, 1
	v_cmp_ne_u16_e32 vcc, 0, v50
	v_cmp_ne_u16_sdwa s[20:21], v51, v21 src0_sel:BYTE_1 src1_sel:DWORD
	v_lshrrev_b16_e32 v50, 7, v51
	v_lshrrev_b32_e32 v51, 2, v48
	v_cndmask_b32_e64 v52, 0, -1, s[20:21]
	v_cndmask_b32_e64 v54, 0, -1, vcc
	v_bfe_i32 v50, v50, 0, 1
	v_lshlrev_b16_e32 v52, 8, v52
	v_lshlrev_b16_e32 v54, 8, v54
	v_bfe_i32 v51, v51, 0, 1
	v_or_b32_sdwa v53, v50, v52 dst_sel:DWORD dst_unused:UNUSED_PAD src0_sel:BYTE_0 src1_sel:DWORD
	v_or_b32_sdwa v55, v51, v54 dst_sel:WORD_1 dst_unused:UNUSED_PAD src0_sel:BYTE_0 src1_sel:DWORD
	v_or_b32_sdwa v53, v53, v55 dst_sel:DWORD dst_unused:UNUSED_PAD src0_sel:WORD_0 src1_sel:DWORD
	v_lshlrev_b32_e32 v55, 17, v48
	v_lshl_or_b32 v49, v49, 3, v55
	v_and_b32_e32 v55, 0x1800180, v49
	v_bfe_u32 v49, v49, 24, 1
	v_cmp_ne_u16_e32 vcc, 0, v49
	v_cmp_ne_u16_sdwa s[20:21], v55, v21 src0_sel:BYTE_1 src1_sel:DWORD
	v_lshrrev_b16_e32 v49, 7, v55
	v_lshrrev_b32_e32 v55, 6, v48
	v_cndmask_b32_e64 v56, 0, -1, s[20:21]
	v_cndmask_b32_e64 v58, 0, -1, vcc
	v_lshlrev_b16_e32 v50, 8, v50
	v_bfe_i32 v49, v49, 0, 1
	v_lshlrev_b16_e32 v56, 8, v56
	v_lshlrev_b16_e32 v58, 8, v58
	v_bfe_i32 v55, v55, 0, 1
	v_or_b32_sdwa v57, v49, v56 dst_sel:DWORD dst_unused:UNUSED_PAD src0_sel:BYTE_0 src1_sel:DWORD
	v_or_b32_sdwa v59, v55, v58 dst_sel:WORD_1 dst_unused:UNUSED_PAD src0_sel:BYTE_0 src1_sel:DWORD
	v_lshlrev_b16_e32 v51, 8, v51
	v_or_b32_sdwa v57, v57, v59 dst_sel:DWORD dst_unused:UNUSED_PAD src0_sel:WORD_0 src1_sel:DWORD
	v_lshlrev_b16_e32 v49, 8, v49
	v_lshrrev_b32_e32 v40, 16, v48
	s_waitcnt vmcnt(1)
	v_xor_b32_e32 v38, v38, v53
	v_and_b32_e32 v53, 0xffffff00, v38
	v_sub_i16 v52, v53, v52 clamp
	v_lshlrev_b16_e32 v53, 8, v38
	v_sub_i16 v50, v53, v50 clamp
	v_perm_b32 v50, v50, v52, s22
	v_and_b32_sdwa v52, v38, s19 dst_sel:DWORD dst_unused:UNUSED_PAD src0_sel:WORD_1 src1_sel:DWORD
	v_lshlrev_b16_sdwa v38, v28, v38 dst_sel:DWORD dst_unused:UNUSED_PAD src0_sel:DWORD src1_sel:WORD_1
	v_sub_i16 v52, v52, v54 clamp
	v_sub_i16 v38, v38, v51 clamp
	v_perm_b32 v38, v38, v52, s22
	s_waitcnt vmcnt(0)
	v_xor_b32_e32 v39, v39, v57
	v_lshl_or_b32 v38, v38, 16, v50
	v_and_b32_e32 v50, 0xffffff00, v39
	v_lshlrev_b16_e32 v51, 8, v39
	v_sub_i16 v50, v50, v56 clamp
	v_sub_i16 v49, v51, v49 clamp
	v_perm_b32 v49, v49, v50, s22
	v_and_b32_sdwa v50, v39, s19 dst_sel:DWORD dst_unused:UNUSED_PAD src0_sel:WORD_1 src1_sel:DWORD
	v_lshlrev_b16_sdwa v39, v28, v39 dst_sel:DWORD dst_unused:UNUSED_PAD src0_sel:DWORD src1_sel:WORD_1
	v_lshlrev_b16_e32 v51, 8, v55
	v_sub_i16 v50, v50, v58 clamp
	v_sub_i16 v39, v39, v51 clamp
	v_perm_b32 v39, v39, v50, s22
	v_lshl_or_b32 v39, v39, 16, v49
	v_dot4_i32_i8 v7, v38, v7, 0
	v_dot4_i32_i8 v49, v39, v8, v7
	v_bfe_u32 v7, v45, 16, 8
	v_lshlrev_b32_e32 v8, 6, v47
	v_and_or_b32 v7, v8, s17, v7
	v_lshlrev_b32_e32 v7, 2, v7
	global_load_dword v7, v7, s[12:13]
	v_lshrrev_b32_e32 v8, 24, v45
	v_lshlrev_b32_e32 v45, 5, v47
	v_and_or_b32 v8, v45, s17, v8
	v_lshlrev_b32_e32 v8, 2, v8
	global_load_dword v8, v8, s[12:13]
	v_lshrrev_b32_e32 v45, 1, v48
	v_and_b32_e32 v45, 0x180, v45
	v_lshrrev_b32_e32 v50, 11, v48
	v_cmp_ne_u16_sdwa s[20:21], v45, v21 src0_sel:BYTE_1 src1_sel:DWORD
	v_lshrrev_b32_e32 v51, 10, v48
	v_lshrrev_b16_e32 v45, 7, v45
	v_cndmask_b32_e64 v52, 0, -1, s[20:21]
	v_bfe_i32 v50, v50, 0, 1
	v_bfe_i32 v45, v45, 0, 1
	v_lshlrev_b16_e32 v52, 8, v52
	v_lshlrev_b16_e32 v50, 8, v50
	v_bfe_i32 v51, v51, 0, 1
	v_or_b32_sdwa v53, v45, v52 dst_sel:DWORD dst_unused:UNUSED_PAD src0_sel:BYTE_0 src1_sel:DWORD
	v_or_b32_sdwa v54, v51, v50 dst_sel:WORD_1 dst_unused:UNUSED_PAD src0_sel:BYTE_0 src1_sel:DWORD
	v_or_b32_sdwa v53, v53, v54 dst_sel:DWORD dst_unused:UNUSED_PAD src0_sel:WORD_0 src1_sel:DWORD
	v_lshrrev_b32_e32 v54, 5, v48
	v_and_b32_e32 v54, 0x180, v54
	v_lshrrev_b32_e32 v55, 15, v48
	v_cmp_ne_u16_sdwa s[20:21], v54, v21 src0_sel:BYTE_1 src1_sel:DWORD
	v_lshrrev_b32_e32 v56, 14, v48
	v_lshrrev_b16_e32 v54, 7, v54
	v_cndmask_b32_e64 v57, 0, -1, s[20:21]
	v_bfe_i32 v55, v55, 0, 1
	v_lshlrev_b16_e32 v45, 8, v45
	v_bfe_i32 v54, v54, 0, 1
	v_lshlrev_b16_e32 v57, 8, v57
	v_lshlrev_b16_e32 v55, 8, v55
	v_bfe_i32 v56, v56, 0, 1
	v_or_b32_sdwa v58, v54, v57 dst_sel:DWORD dst_unused:UNUSED_PAD src0_sel:BYTE_0 src1_sel:DWORD
	v_or_b32_sdwa v59, v56, v55 dst_sel:WORD_1 dst_unused:UNUSED_PAD src0_sel:BYTE_0 src1_sel:DWORD
	v_lshlrev_b16_e32 v51, 8, v51
	v_or_b32_sdwa v58, v58, v59 dst_sel:DWORD dst_unused:UNUSED_PAD src0_sel:WORD_0 src1_sel:DWORD
	s_waitcnt vmcnt(1)
	v_xor_b32_e32 v7, v7, v53
	v_and_b32_e32 v53, 0xffffff00, v7
	v_sub_i16 v52, v53, v52 clamp
	v_lshlrev_b16_e32 v53, 8, v7
	v_sub_i16 v45, v53, v45 clamp
	v_perm_b32 v45, v45, v52, s22
	v_and_b32_sdwa v52, v7, s19 dst_sel:DWORD dst_unused:UNUSED_PAD src0_sel:WORD_1 src1_sel:DWORD
	v_lshlrev_b16_sdwa v7, v28, v7 dst_sel:DWORD dst_unused:UNUSED_PAD src0_sel:DWORD src1_sel:WORD_1
	v_sub_i16 v50, v52, v50 clamp
	v_sub_i16 v7, v7, v51 clamp
	v_perm_b32 v7, v7, v50, s22
	s_waitcnt vmcnt(0)
	v_xor_b32_e32 v8, v8, v58
	v_lshl_or_b32 v7, v7, 16, v45
	v_and_b32_e32 v45, 0xffffff00, v8
	v_lshlrev_b16_e32 v50, 8, v8
	v_lshlrev_b16_e32 v51, 8, v54
	v_sub_i16 v45, v45, v57 clamp
	v_sub_i16 v50, v50, v51 clamp
	v_perm_b32 v45, v50, v45, s22
	v_and_b32_sdwa v50, v8, s19 dst_sel:DWORD dst_unused:UNUSED_PAD src0_sel:WORD_1 src1_sel:DWORD
	v_lshlrev_b16_sdwa v8, v28, v8 dst_sel:DWORD dst_unused:UNUSED_PAD src0_sel:DWORD src1_sel:WORD_1
	v_lshlrev_b16_e32 v51, 8, v56
	v_sub_i16 v50, v50, v55 clamp
	v_sub_i16 v8, v8, v51 clamp
	v_perm_b32 v8, v8, v50, s22
	v_lshl_or_b32 v8, v8, 16, v45
	v_dot4_i32_i8 v9, v7, v9, v49
	v_dot4_i32_i8 v2, v8, v2, v9
	v_and_b32_e32 v9, 0xff, v46
	v_lshlrev_b32_e32 v45, 4, v47
	v_and_or_b32 v9, v45, s17, v9
	v_lshlrev_b32_e32 v9, 2, v9
	global_load_dword v9, v9, s[12:13]
	v_bfe_u32 v45, v46, 8, 8
	v_lshlrev_b32_e32 v49, 3, v47
	v_and_or_b32 v45, v49, s17, v45
	v_lshlrev_b32_e32 v45, 2, v45
	global_load_dword v45, v45, s[12:13]
	v_lshrrev_b32_e32 v49, 9, v48
	v_lshl_or_b32 v49, v40, 21, v49
	v_and_b32_e32 v50, 0x1800180, v49
	v_bfe_u32 v49, v49, 24, 1
	v_cmp_ne_u16_e32 vcc, 0, v49
	v_cmp_ne_u16_sdwa s[20:21], v50, v21 src0_sel:BYTE_1 src1_sel:DWORD
	v_lshrrev_b16_e32 v49, 7, v50
	v_lshrrev_b32_e32 v50, 18, v48
	v_cndmask_b32_e64 v51, 0, -1, s[20:21]
	v_cndmask_b32_e64 v53, 0, -1, vcc
	v_bfe_i32 v49, v49, 0, 1
	v_lshlrev_b16_e32 v51, 8, v51
	v_lshlrev_b16_e32 v53, 8, v53
	v_bfe_i32 v50, v50, 0, 1
	v_or_b32_sdwa v52, v49, v51 dst_sel:DWORD dst_unused:UNUSED_PAD src0_sel:BYTE_0 src1_sel:DWORD
	v_or_b32_sdwa v54, v50, v53 dst_sel:WORD_1 dst_unused:UNUSED_PAD src0_sel:BYTE_0 src1_sel:DWORD
	v_or_b32_sdwa v52, v52, v54 dst_sel:DWORD dst_unused:UNUSED_PAD src0_sel:WORD_0 src1_sel:DWORD
	v_lshrrev_b32_e32 v54, 13, v48
	v_lshl_or_b32 v40, v40, 17, v54
	v_and_b32_e32 v54, 0x1800180, v40
	v_bfe_u32 v40, v40, 24, 1
	v_cmp_ne_u16_e32 vcc, 0, v40
	v_cmp_ne_u16_sdwa s[20:21], v54, v21 src0_sel:BYTE_1 src1_sel:DWORD
	v_lshrrev_b16_e32 v40, 7, v54
	v_lshrrev_b32_e32 v54, 22, v48
	v_cndmask_b32_e64 v55, 0, -1, s[20:21]
	v_cndmask_b32_e64 v57, 0, -1, vcc
	v_lshlrev_b16_e32 v49, 8, v49
	v_bfe_i32 v40, v40, 0, 1
	v_lshlrev_b16_e32 v55, 8, v55
	v_lshlrev_b16_e32 v57, 8, v57
	v_bfe_i32 v54, v54, 0, 1
	v_or_b32_sdwa v56, v40, v55 dst_sel:DWORD dst_unused:UNUSED_PAD src0_sel:BYTE_0 src1_sel:DWORD
	v_or_b32_sdwa v58, v54, v57 dst_sel:WORD_1 dst_unused:UNUSED_PAD src0_sel:BYTE_0 src1_sel:DWORD
	v_lshlrev_b16_e32 v50, 8, v50
	v_or_b32_sdwa v56, v56, v58 dst_sel:DWORD dst_unused:UNUSED_PAD src0_sel:WORD_0 src1_sel:DWORD
	v_lshlrev_b16_e32 v40, 8, v40
	s_waitcnt vmcnt(1)
	v_xor_b32_e32 v9, v9, v52
	v_and_b32_e32 v52, 0xffffff00, v9
	v_sub_i16 v51, v52, v51 clamp
	v_lshlrev_b16_e32 v52, 8, v9
	v_sub_i16 v49, v52, v49 clamp
	v_perm_b32 v49, v49, v51, s22
	v_and_b32_sdwa v51, v9, s19 dst_sel:DWORD dst_unused:UNUSED_PAD src0_sel:WORD_1 src1_sel:DWORD
	v_lshlrev_b16_sdwa v9, v28, v9 dst_sel:DWORD dst_unused:UNUSED_PAD src0_sel:DWORD src1_sel:WORD_1
	v_sub_i16 v51, v51, v53 clamp
	v_sub_i16 v9, v9, v50 clamp
	v_perm_b32 v9, v9, v51, s22
	s_waitcnt vmcnt(0)
	v_xor_b32_e32 v45, v45, v56
	v_lshl_or_b32 v9, v9, 16, v49
	v_and_b32_e32 v49, 0xffffff00, v45
	v_lshlrev_b16_e32 v50, 8, v45
	v_sub_i16 v49, v49, v55 clamp
	v_sub_i16 v40, v50, v40 clamp
	v_perm_b32 v40, v40, v49, s22
	v_and_b32_sdwa v49, v45, s19 dst_sel:DWORD dst_unused:UNUSED_PAD src0_sel:WORD_1 src1_sel:DWORD
	v_lshlrev_b16_sdwa v45, v28, v45 dst_sel:DWORD dst_unused:UNUSED_PAD src0_sel:DWORD src1_sel:WORD_1
	v_lshlrev_b16_e32 v50, 8, v54
	v_sub_i16 v49, v49, v57 clamp
	v_sub_i16 v45, v45, v50 clamp
	v_perm_b32 v45, v45, v49, s22
	v_lshl_or_b32 v40, v45, 16, v40
	v_dot4_i32_i8 v2, v9, v3, v2
	v_dot4_i32_i8 v2, v40, v4, v2
	v_bfe_u32 v3, v46, 16, 8
	v_lshlrev_b32_e32 v4, 2, v47
	v_and_or_b32 v3, v4, s17, v3
	v_lshlrev_b32_e32 v3, 2, v3
	global_load_dword v3, v3, s[12:13]
	v_lshrrev_b32_e32 v4, 24, v46
	v_lshlrev_b32_e32 v45, 1, v47
	v_and_or_b32 v4, v45, s17, v4
	v_lshlrev_b32_e32 v4, 2, v4
	global_load_dword v4, v4, s[12:13]
	v_lshrrev_b32_e32 v45, 17, v48
	v_lshrrev_b32_e32 v46, 24, v48
	v_lshl_or_b32 v45, v46, 21, v45
	v_and_b32_e32 v46, 0x1800180, v45
	v_bfe_u32 v45, v45, 24, 1
	v_cmp_ne_u16_e32 vcc, 0, v45
	v_cmp_ne_u16_sdwa s[12:13], v46, v21 src0_sel:BYTE_1 src1_sel:DWORD
	v_lshrrev_b16_e32 v45, 7, v46
	v_lshrrev_b32_e32 v46, 26, v48
	v_cndmask_b32_e64 v47, 0, -1, s[12:13]
	v_cndmask_b32_e64 v50, 0, -1, vcc
	v_bfe_i32 v45, v45, 0, 1
	v_lshlrev_b16_e32 v47, 8, v47
	v_lshlrev_b16_e32 v50, 8, v50
	v_bfe_i32 v46, v46, 0, 1
	v_or_b32_sdwa v49, v45, v47 dst_sel:DWORD dst_unused:UNUSED_PAD src0_sel:BYTE_0 src1_sel:DWORD
	v_or_b32_sdwa v51, v46, v50 dst_sel:WORD_1 dst_unused:UNUSED_PAD src0_sel:BYTE_0 src1_sel:DWORD
	v_or_b32_sdwa v49, v49, v51 dst_sel:DWORD dst_unused:UNUSED_PAD src0_sel:WORD_0 src1_sel:DWORD
	v_lshrrev_b32_e32 v51, 21, v48
	v_lshrrev_b32_e32 v53, 31, v48
	v_lshrrev_b16_e32 v52, 8, v51
	v_cmp_ne_u16_e32 vcc, 0, v53
	v_lshrrev_b32_e32 v48, 30, v48
	v_lshrrev_b16_e32 v51, 7, v51
	v_bfe_i32 v52, v52, 0, 1
	v_cndmask_b32_e64 v54, 0, -1, vcc
	v_lshlrev_b16_e32 v45, 8, v45
	v_lshlrev_b16_e32 v52, 8, v52
	v_bfe_i32 v51, v51, 0, 1
	v_bfe_i32 v48, v48, 0, 1
	v_lshlrev_b16_e32 v54, 8, v54
	v_or_b32_sdwa v53, v51, v52 dst_sel:DWORD dst_unused:UNUSED_PAD src0_sel:BYTE_0 src1_sel:DWORD
	v_or_b32_sdwa v55, v48, v54 dst_sel:WORD_1 dst_unused:UNUSED_PAD src0_sel:BYTE_0 src1_sel:DWORD
	v_lshlrev_b16_e32 v46, 8, v46
	v_or_b32_sdwa v53, v53, v55 dst_sel:DWORD dst_unused:UNUSED_PAD src0_sel:WORD_0 src1_sel:DWORD
	s_waitcnt vmcnt(1)
	v_xor_b32_e32 v3, v3, v49
	v_and_b32_e32 v49, 0xffffff00, v3
	v_sub_i16 v47, v49, v47 clamp
	v_lshlrev_b16_e32 v49, 8, v3
	v_sub_i16 v45, v49, v45 clamp
	v_perm_b32 v45, v45, v47, s22
	v_and_b32_sdwa v47, v3, s19 dst_sel:DWORD dst_unused:UNUSED_PAD src0_sel:WORD_1 src1_sel:DWORD
	v_lshlrev_b16_sdwa v3, v28, v3 dst_sel:DWORD dst_unused:UNUSED_PAD src0_sel:DWORD src1_sel:WORD_1
	v_sub_i16 v47, v47, v50 clamp
	v_sub_i16 v3, v3, v46 clamp
	v_perm_b32 v3, v3, v47, s22
	s_waitcnt vmcnt(0)
	v_xor_b32_e32 v4, v4, v53
	v_lshl_or_b32 v3, v3, 16, v45
	v_and_b32_e32 v45, 0xffffff00, v4
	v_lshlrev_b16_e32 v46, 8, v4
	v_lshlrev_b16_e32 v47, 8, v51
	v_sub_i16 v45, v45, v52 clamp
	v_sub_i16 v46, v46, v47 clamp
	v_perm_b32 v45, v46, v45, s22
	v_and_b32_sdwa v46, v4, s19 dst_sel:DWORD dst_unused:UNUSED_PAD src0_sel:WORD_1 src1_sel:DWORD
	v_lshlrev_b16_sdwa v4, v28, v4 dst_sel:DWORD dst_unused:UNUSED_PAD src0_sel:DWORD src1_sel:WORD_1
	v_lshlrev_b16_e32 v47, 8, v48
	v_sub_i16 v46, v46, v54 clamp
	v_sub_i16 v4, v4, v47 clamp
	v_perm_b32 v4, v4, v46, s22
	v_lshl_or_b32 v4, v4, 16, v45
	v_add_co_u32_e32 v45, vcc, v43, v23
	v_addc_co_u32_e32 v46, vcc, 0, v44, vcc
	v_dot4_i32_i8 v2, v3, v5, v2
	global_load_ubyte v5, v[45:46], off offset:106
	v_dot4_i32_i8 v2, v4, v42, v2
	v_mad_u64_u32 v[49:50], s[12:13], v25, 36, v[10:11]
	v_add_co_u32_e32 v12, vcc, 0x1200, v12
	v_addc_co_u32_e32 v13, vcc, 0, v13, vcc
	v_cmp_le_u32_e32 vcc, s9, v20
	v_add_u32_e32 v25, 0x80, v25
	s_or_b64 s[0:1], vcc, s[0:1]
	s_waitcnt vmcnt(0)
	v_lshrrev_b32_e32 v5, v24, v5
	v_lshlrev_b32_e32 v5, 1, v5
	v_and_or_b32 v5, v5, 30, 1
	v_mul_lo_u32 v42, v2, v5
	global_load_ushort v2, v[43:44], off
	v_cvt_f32_i32_e32 v42, v42
	s_waitcnt vmcnt(0)
	v_cvt_f32_f16_e32 v2, v2
	v_mul_f32_e32 v41, v2, v41
	v_fmac_f32_e32 v18, v41, v42
	global_load_dword v51, v[49:50], off offset:32
	global_load_dwordx4 v[41:44], v[49:50], off offset:16
	global_load_dwordx4 v[45:48], v[49:50], off
	s_waitcnt vmcnt(0)
	v_dot4_i32_i8 v6, v6, v46, 0
	v_dot4_i32_i8 v6, v29, v47, v6
	;; [unrolled: 1-line block ×8, first 2 shown]
	v_mul_lo_u32 v6, v6, v37
	v_cvt_f32_f16_e32 v45, v45
	v_cvt_f32_i32_e32 v6, v6
	v_mul_f32_e32 v29, v35, v45
	v_mul_f32_e32 v2, v2, v45
	v_fmac_f32_e32 v17, v29, v6
	v_dot4_i32_i8 v6, v38, v46, 0
	v_dot4_i32_i8 v6, v39, v47, v6
	;; [unrolled: 1-line block ×8, first 2 shown]
	v_mul_lo_u32 v3, v3, v5
	v_cvt_f32_i32_e32 v3, v3
	v_fmac_f32_e32 v16, v2, v3
	s_andn2_b64 exec, exec, s[0:1]
	s_cbranch_execnz .LBB257_2
; %bb.3:
	s_or_b64 exec, exec, s[0:1]
.LBB257_4:
	s_or_b64 exec, exec, s[10:11]
	v_cmp_eq_u32_e32 vcc, 0, v1
	v_cmp_ne_u32_e64 s[0:1], 0, v1
	v_lshlrev_b32_e32 v2, 2, v0
	s_and_saveexec_b64 s[10:11], s[0:1]
	s_cbranch_execz .LBB257_6
; %bb.5:
	v_lshl_or_b32 v1, v1, 10, v2
	v_add_u32_e32 v1, 0xfffffc00, v1
	ds_write2st64_b32 v1, v19, v18 offset1:1
	ds_write2st64_b32 v1, v17, v16 offset0:2 offset1:3
.LBB257_6:
	s_or_b64 exec, exec, s[10:11]
	s_waitcnt lgkmcnt(0)
	s_barrier
	s_and_saveexec_b64 s[0:1], vcc
	s_cbranch_execz .LBB257_11
; %bb.7:
	v_mbcnt_lo_u32_b32 v1, -1, 0
	v_mbcnt_hi_u32_b32 v7, -1, v1
	ds_read2st64_b32 v[5:6], v2 offset1:1
	v_and_b32_e32 v1, 64, v7
	v_add_u32_e32 v8, 64, v1
	v_xor_b32_e32 v1, 32, v7
	v_cmp_lt_i32_e32 vcc, v1, v8
	v_cndmask_b32_e32 v1, v7, v1, vcc
	v_lshlrev_b32_e32 v1, 2, v1
	s_waitcnt lgkmcnt(0)
	v_add_f32_e32 v10, v5, v19
	v_add_f32_e32 v6, v6, v18
	ds_bpermute_b32 v11, v1, v10
	ds_bpermute_b32 v12, v1, v6
	v_xor_b32_e32 v3, 16, v7
	v_cmp_lt_i32_e32 vcc, v3, v8
	v_cndmask_b32_e32 v3, v7, v3, vcc
	v_lshlrev_b32_e32 v3, 2, v3
	s_waitcnt lgkmcnt(1)
	v_add_f32_e32 v10, v10, v11
	s_waitcnt lgkmcnt(0)
	v_add_f32_e32 v6, v6, v12
	ds_bpermute_b32 v11, v3, v10
	ds_bpermute_b32 v12, v3, v6
	v_xor_b32_e32 v4, 8, v7
	v_cmp_lt_i32_e32 vcc, v4, v8
	v_cndmask_b32_e32 v4, v7, v4, vcc
	v_lshlrev_b32_e32 v4, 2, v4
	s_waitcnt lgkmcnt(1)
	v_add_f32_e32 v10, v10, v11
	s_waitcnt lgkmcnt(0)
	;; [unrolled: 10-line block ×3, first 2 shown]
	v_add_f32_e32 v12, v12, v13
	ds_bpermute_b32 v11, v5, v10
	ds_bpermute_b32 v13, v5, v12
	v_xor_b32_e32 v9, 2, v7
	v_cmp_lt_i32_e32 vcc, v9, v8
	v_cndmask_b32_e32 v9, v7, v9, vcc
	v_lshlrev_b32_e32 v6, 2, v9
	v_xor_b32_e32 v9, 1, v7
	v_cmp_lt_i32_e32 vcc, v9, v8
	s_waitcnt lgkmcnt(1)
	v_add_f32_e32 v8, v10, v11
	s_waitcnt lgkmcnt(0)
	v_add_f32_e32 v11, v12, v13
	ds_bpermute_b32 v10, v6, v8
	ds_bpermute_b32 v12, v6, v11
	s_load_dwordx2 s[0:1], s[4:5], 0x38
	v_cndmask_b32_e32 v7, v7, v9, vcc
	s_mul_i32 s4, s14, s7
	v_lshlrev_b32_e32 v9, 2, v7
	s_waitcnt lgkmcnt(0)
	v_add_f32_e32 v7, v8, v10
	v_add_f32_e32 v10, v11, v12
	s_mul_i32 s3, s18, s8
	s_add_i32 s4, s4, s6
	ds_bpermute_b32 v8, v9, v7
	ds_bpermute_b32 v11, v9, v10
	s_add_i32 s4, s4, s3
	s_mov_b32 s5, 0
	s_lshl_b64 s[4:5], s[4:5], 2
	s_add_u32 s4, s0, s4
	v_add_u32_e32 v12, s6, v0
	s_addc_u32 s5, s1, s5
	v_cmp_gt_u32_e32 vcc, 2, v0
	v_cmp_gt_u32_e64 s[0:1], s2, v12
	s_and_b64 s[0:1], vcc, s[0:1]
	s_waitcnt lgkmcnt(1)
	v_add_f32_e32 v7, v7, v8
	s_waitcnt lgkmcnt(0)
	v_add_f32_e32 v8, v10, v11
	s_and_saveexec_b64 s[6:7], s[0:1]
	s_cbranch_execz .LBB257_9
; %bb.8:
	v_cmp_eq_u32_e32 vcc, 1, v0
	v_cndmask_b32_e32 v10, v7, v8, vcc
	v_cmp_eq_u32_e32 vcc, 2, v0
	v_cndmask_b32_e32 v10, v10, v17, vcc
	;; [unrolled: 2-line block ×3, first 2 shown]
	global_store_dword v2, v10, s[4:5]
.LBB257_9:
	s_or_b64 exec, exec, s[6:7]
	ds_read2st64_b32 v[10:11], v2 offset0:2 offset1:3
	s_waitcnt lgkmcnt(0)
	v_add_f32_e32 v2, v10, v17
	v_add_f32_e32 v10, v11, v16
	ds_bpermute_b32 v11, v1, v2
	ds_bpermute_b32 v1, v1, v10
	s_waitcnt lgkmcnt(1)
	v_add_f32_e32 v2, v2, v11
	s_waitcnt lgkmcnt(0)
	v_add_f32_e32 v1, v10, v1
	ds_bpermute_b32 v10, v3, v2
	ds_bpermute_b32 v3, v3, v1
	s_waitcnt lgkmcnt(1)
	v_add_f32_e32 v2, v2, v10
	s_waitcnt lgkmcnt(0)
	v_add_f32_e32 v1, v1, v3
	ds_bpermute_b32 v3, v4, v2
	ds_bpermute_b32 v4, v4, v1
	s_waitcnt lgkmcnt(1)
	v_add_f32_e32 v2, v2, v3
	s_waitcnt lgkmcnt(0)
	v_add_f32_e32 v1, v1, v4
	ds_bpermute_b32 v3, v5, v2
	ds_bpermute_b32 v4, v5, v1
	s_waitcnt lgkmcnt(1)
	v_add_f32_e32 v2, v2, v3
	s_waitcnt lgkmcnt(0)
	v_add_f32_e32 v3, v1, v4
	ds_bpermute_b32 v1, v6, v2
	ds_bpermute_b32 v4, v6, v3
	s_waitcnt lgkmcnt(1)
	v_add_f32_e32 v1, v2, v1
	s_waitcnt lgkmcnt(0)
	v_add_f32_e32 v2, v3, v4
	ds_bpermute_b32 v3, v9, v1
	ds_bpermute_b32 v4, v9, v2
	s_and_b64 exec, exec, s[0:1]
	s_cbranch_execz .LBB257_11
; %bb.10:
	s_waitcnt lgkmcnt(1)
	v_add_f32_e32 v1, v1, v3
	v_add_u32_e32 v3, 2, v0
	v_cmp_eq_u32_e32 vcc, 1, v3
	s_waitcnt lgkmcnt(0)
	v_add_f32_e32 v2, v2, v4
	v_cndmask_b32_e32 v4, v7, v8, vcc
	v_cmp_eq_u32_e32 vcc, 2, v3
	v_cndmask_b32_e32 v1, v4, v1, vcc
	v_cmp_eq_u32_e32 vcc, 3, v3
	v_cndmask_b32_e32 v2, v1, v2, vcc
	v_add_u32_e32 v0, s2, v0
	v_mov_b32_e32 v1, 0
	v_lshlrev_b64 v[0:1], 2, v[0:1]
	v_mov_b32_e32 v3, s5
	v_add_co_u32_e32 v0, vcc, s4, v0
	v_addc_co_u32_e32 v1, vcc, v3, v1, vcc
	global_store_dword v[0:1], v2, off
.LBB257_11:
	s_endpgm
	.section	.rodata,"a",@progbits
	.p2align	6, 0x0
	.amdhsa_kernel _ZL13mul_mat_vec_qIL9ggml_type21ELi2ELb0ELb0EEvPKvS2_PKi31ggml_cuda_mm_fusion_args_devicePfj15HIP_vector_typeIjLj3EEjjjS8_jjjS8_jjjj
		.amdhsa_group_segment_fixed_size 1024
		.amdhsa_private_segment_fixed_size 0
		.amdhsa_kernarg_size 144
		.amdhsa_user_sgpr_count 6
		.amdhsa_user_sgpr_private_segment_buffer 1
		.amdhsa_user_sgpr_dispatch_ptr 0
		.amdhsa_user_sgpr_queue_ptr 0
		.amdhsa_user_sgpr_kernarg_segment_ptr 1
		.amdhsa_user_sgpr_dispatch_id 0
		.amdhsa_user_sgpr_flat_scratch_init 0
		.amdhsa_user_sgpr_private_segment_size 0
		.amdhsa_uses_dynamic_stack 0
		.amdhsa_system_sgpr_private_segment_wavefront_offset 0
		.amdhsa_system_sgpr_workgroup_id_x 1
		.amdhsa_system_sgpr_workgroup_id_y 1
		.amdhsa_system_sgpr_workgroup_id_z 1
		.amdhsa_system_sgpr_workgroup_info 0
		.amdhsa_system_vgpr_workitem_id 1
		.amdhsa_next_free_vgpr 60
		.amdhsa_next_free_sgpr 26
		.amdhsa_reserve_vcc 1
		.amdhsa_reserve_flat_scratch 0
		.amdhsa_float_round_mode_32 0
		.amdhsa_float_round_mode_16_64 0
		.amdhsa_float_denorm_mode_32 3
		.amdhsa_float_denorm_mode_16_64 3
		.amdhsa_dx10_clamp 1
		.amdhsa_ieee_mode 1
		.amdhsa_fp16_overflow 0
		.amdhsa_exception_fp_ieee_invalid_op 0
		.amdhsa_exception_fp_denorm_src 0
		.amdhsa_exception_fp_ieee_div_zero 0
		.amdhsa_exception_fp_ieee_overflow 0
		.amdhsa_exception_fp_ieee_underflow 0
		.amdhsa_exception_fp_ieee_inexact 0
		.amdhsa_exception_int_div_zero 0
	.end_amdhsa_kernel
	.section	.text._ZL13mul_mat_vec_qIL9ggml_type21ELi2ELb0ELb0EEvPKvS2_PKi31ggml_cuda_mm_fusion_args_devicePfj15HIP_vector_typeIjLj3EEjjjS8_jjjS8_jjjj,"axG",@progbits,_ZL13mul_mat_vec_qIL9ggml_type21ELi2ELb0ELb0EEvPKvS2_PKi31ggml_cuda_mm_fusion_args_devicePfj15HIP_vector_typeIjLj3EEjjjS8_jjjS8_jjjj,comdat
.Lfunc_end257:
	.size	_ZL13mul_mat_vec_qIL9ggml_type21ELi2ELb0ELb0EEvPKvS2_PKi31ggml_cuda_mm_fusion_args_devicePfj15HIP_vector_typeIjLj3EEjjjS8_jjjS8_jjjj, .Lfunc_end257-_ZL13mul_mat_vec_qIL9ggml_type21ELi2ELb0ELb0EEvPKvS2_PKi31ggml_cuda_mm_fusion_args_devicePfj15HIP_vector_typeIjLj3EEjjjS8_jjjS8_jjjj
                                        ; -- End function
	.set _ZL13mul_mat_vec_qIL9ggml_type21ELi2ELb0ELb0EEvPKvS2_PKi31ggml_cuda_mm_fusion_args_devicePfj15HIP_vector_typeIjLj3EEjjjS8_jjjS8_jjjj.num_vgpr, 60
	.set _ZL13mul_mat_vec_qIL9ggml_type21ELi2ELb0ELb0EEvPKvS2_PKi31ggml_cuda_mm_fusion_args_devicePfj15HIP_vector_typeIjLj3EEjjjS8_jjjS8_jjjj.num_agpr, 0
	.set _ZL13mul_mat_vec_qIL9ggml_type21ELi2ELb0ELb0EEvPKvS2_PKi31ggml_cuda_mm_fusion_args_devicePfj15HIP_vector_typeIjLj3EEjjjS8_jjjS8_jjjj.numbered_sgpr, 26
	.set _ZL13mul_mat_vec_qIL9ggml_type21ELi2ELb0ELb0EEvPKvS2_PKi31ggml_cuda_mm_fusion_args_devicePfj15HIP_vector_typeIjLj3EEjjjS8_jjjS8_jjjj.num_named_barrier, 0
	.set _ZL13mul_mat_vec_qIL9ggml_type21ELi2ELb0ELb0EEvPKvS2_PKi31ggml_cuda_mm_fusion_args_devicePfj15HIP_vector_typeIjLj3EEjjjS8_jjjS8_jjjj.private_seg_size, 0
	.set _ZL13mul_mat_vec_qIL9ggml_type21ELi2ELb0ELb0EEvPKvS2_PKi31ggml_cuda_mm_fusion_args_devicePfj15HIP_vector_typeIjLj3EEjjjS8_jjjS8_jjjj.uses_vcc, 1
	.set _ZL13mul_mat_vec_qIL9ggml_type21ELi2ELb0ELb0EEvPKvS2_PKi31ggml_cuda_mm_fusion_args_devicePfj15HIP_vector_typeIjLj3EEjjjS8_jjjS8_jjjj.uses_flat_scratch, 0
	.set _ZL13mul_mat_vec_qIL9ggml_type21ELi2ELb0ELb0EEvPKvS2_PKi31ggml_cuda_mm_fusion_args_devicePfj15HIP_vector_typeIjLj3EEjjjS8_jjjS8_jjjj.has_dyn_sized_stack, 0
	.set _ZL13mul_mat_vec_qIL9ggml_type21ELi2ELb0ELb0EEvPKvS2_PKi31ggml_cuda_mm_fusion_args_devicePfj15HIP_vector_typeIjLj3EEjjjS8_jjjS8_jjjj.has_recursion, 0
	.set _ZL13mul_mat_vec_qIL9ggml_type21ELi2ELb0ELb0EEvPKvS2_PKi31ggml_cuda_mm_fusion_args_devicePfj15HIP_vector_typeIjLj3EEjjjS8_jjjS8_jjjj.has_indirect_call, 0
	.section	.AMDGPU.csdata,"",@progbits
; Kernel info:
; codeLenInByte = 5700
; TotalNumSgprs: 30
; NumVgprs: 60
; ScratchSize: 0
; MemoryBound: 0
; FloatMode: 240
; IeeeMode: 1
; LDSByteSize: 1024 bytes/workgroup (compile time only)
; SGPRBlocks: 3
; VGPRBlocks: 14
; NumSGPRsForWavesPerEU: 30
; NumVGPRsForWavesPerEU: 60
; Occupancy: 4
; WaveLimiterHint : 0
; COMPUTE_PGM_RSRC2:SCRATCH_EN: 0
; COMPUTE_PGM_RSRC2:USER_SGPR: 6
; COMPUTE_PGM_RSRC2:TRAP_HANDLER: 0
; COMPUTE_PGM_RSRC2:TGID_X_EN: 1
; COMPUTE_PGM_RSRC2:TGID_Y_EN: 1
; COMPUTE_PGM_RSRC2:TGID_Z_EN: 1
; COMPUTE_PGM_RSRC2:TIDIG_COMP_CNT: 1
	.section	.text._ZL13mul_mat_vec_qIL9ggml_type21ELi3ELb0ELb0EEvPKvS2_PKi31ggml_cuda_mm_fusion_args_devicePfj15HIP_vector_typeIjLj3EEjjjS8_jjjS8_jjjj,"axG",@progbits,_ZL13mul_mat_vec_qIL9ggml_type21ELi3ELb0ELb0EEvPKvS2_PKi31ggml_cuda_mm_fusion_args_devicePfj15HIP_vector_typeIjLj3EEjjjS8_jjjS8_jjjj,comdat
	.globl	_ZL13mul_mat_vec_qIL9ggml_type21ELi3ELb0ELb0EEvPKvS2_PKi31ggml_cuda_mm_fusion_args_devicePfj15HIP_vector_typeIjLj3EEjjjS8_jjjS8_jjjj ; -- Begin function _ZL13mul_mat_vec_qIL9ggml_type21ELi3ELb0ELb0EEvPKvS2_PKi31ggml_cuda_mm_fusion_args_devicePfj15HIP_vector_typeIjLj3EEjjjS8_jjjS8_jjjj
	.p2align	8
	.type	_ZL13mul_mat_vec_qIL9ggml_type21ELi3ELb0ELb0EEvPKvS2_PKi31ggml_cuda_mm_fusion_args_devicePfj15HIP_vector_typeIjLj3EEjjjS8_jjjS8_jjjj,@function
_ZL13mul_mat_vec_qIL9ggml_type21ELi3ELb0ELb0EEvPKvS2_PKi31ggml_cuda_mm_fusion_args_devicePfj15HIP_vector_typeIjLj3EEjjjS8_jjjS8_jjjj: ; @_ZL13mul_mat_vec_qIL9ggml_type21ELi3ELb0ELb0EEvPKvS2_PKi31ggml_cuda_mm_fusion_args_devicePfj15HIP_vector_typeIjLj3EEjjjS8_jjjS8_jjjj
; %bb.0:
	s_load_dword s9, s[4:5], 0x40
	s_load_dwordx4 s[0:3], s[4:5], 0x50
	s_load_dword s25, s[4:5], 0x60
	s_load_dwordx4 s[12:15], s[4:5], 0x68
	;; [unrolled: 2-line block ×3, first 2 shown]
	v_lshl_add_u32 v2, v1, 6, v0
	s_waitcnt lgkmcnt(0)
	s_lshr_b32 s9, s9, 8
	v_lshrrev_b32_e32 v24, 3, v2
	v_mov_b32_e32 v19, 0
	s_lshl_b32 s6, s6, 1
	v_cmp_gt_u32_e32 vcc, s9, v24
	v_mov_b32_e32 v20, v19
	v_mov_b32_e32 v21, v19
	;; [unrolled: 1-line block ×5, first 2 shown]
	s_and_saveexec_b64 s[10:11], vcc
	s_cbranch_execz .LBB258_4
; %bb.1:
	s_mul_hi_u32 s3, s3, s7
	s_add_i32 s3, s7, s3
	s_load_dwordx4 s[20:23], s[4:5], 0x0
	s_lshr_b32 s3, s3, s25
	s_mul_i32 s3, s3, s12
	s_mul_hi_u32 s12, s15, s8
	s_add_i32 s12, s8, s12
	s_lshr_b32 s12, s12, s24
	s_mul_i32 s19, s17, s8
	s_mul_i32 s15, s12, s16
	;; [unrolled: 1-line block ×3, first 2 shown]
	s_mul_hi_u32 s12, s19, 36
	s_waitcnt lgkmcnt(0)
	s_add_u32 s16, s22, s16
	s_addc_u32 s17, s23, s12
	s_mul_i32 s12, s13, s7
	s_mul_hi_u32 s13, s12, 36
	s_mul_i32 s12, s12, 36
	s_add_u32 s16, s16, s12
	s_addc_u32 s17, s17, s13
	v_lshlrev_b32_e32 v2, 1, v0
	v_and_b32_e32 v26, 7, v0
	v_and_b32_e32 v4, 14, v2
	v_mad_u64_u32 v[10:11], s[16:17], v26, 36, s[16:17]
	v_bfe_u32 v27, v2, 2, 2
	v_mov_b32_e32 v2, s12
	s_movk_i32 s17, 0x120
	v_mov_b32_e32 v3, s13
	v_mad_u64_u32 v[2:3], s[12:13], v24, s17, v[2:3]
	v_lshlrev_b32_e32 v6, 3, v24
	v_add_u32_e32 v29, s1, v6
	v_mad_u64_u32 v[2:3], s[12:13], s19, 36, v[2:3]
	v_lshl_add_u32 v30, s1, 1, v6
	v_mov_b32_e32 v6, s23
	v_mad_u64_u32 v[2:3], s[12:13], v26, 36, v[2:3]
	s_add_i32 s16, s6, 1
	s_add_i32 s15, s15, s3
	v_add_co_u32_e32 v2, vcc, s22, v2
	v_addc_co_u32_e32 v3, vcc, v6, v3, vcc
	v_lshlrev_b32_e32 v5, 1, v4
	s_mul_i32 s3, s6, s0
	s_mul_i32 s0, s0, s16
	v_add_co_u32_e32 v12, vcc, 32, v2
	v_mov_b32_e32 v14, s20
	v_mov_b32_e32 v25, 0
	v_and_b32_e32 v28, 4, v5
	s_add_i32 s3, s15, s3
	s_add_i32 s15, s15, s0
	v_addc_co_u32_e32 v13, vcc, 0, v3, vcc
	s_mov_b64 s[0:1], 0
	s_movk_i32 s16, 0x6e
	v_lshlrev_b32_e32 v31, 1, v5
	v_lshlrev_b32_e32 v32, 1, v4
	s_movk_i32 s17, 0x100
	s_movk_i32 s19, 0xff00
	s_mov_b32 s22, 0xc0c0105
	v_mov_b32_e32 v33, 8
	v_mov_b32_e32 v18, 0
	;; [unrolled: 1-line block ×8, first 2 shown]
.LBB258_2:                              ; =>This Inner Loop Header: Depth=1
	v_add_u32_e32 v16, s3, v24
	v_mad_i64_i32 v[16:17], s[12:13], v16, s16, v[14:15]
	global_load_dword v46, v[12:13], off
	global_load_dwordx4 v[2:5], v[12:13], off offset:-16
	global_load_dwordx4 v[6:9], v[12:13], off offset:-32
	s_getpc_b64 s[12:13]
	s_add_u32 s12, s12, _ZL9iq3s_grid@rel32@lo+4
	s_addc_u32 s13, s13, _ZL9iq3s_grid@rel32@hi+12
	v_add_co_u32_e32 v34, vcc, v16, v31
	v_addc_co_u32_e32 v35, vcc, 0, v17, vcc
	global_load_dwordx2 v[38:39], v[34:35], off offset:2
	v_add_co_u32_e32 v34, vcc, v16, v26
	v_addc_co_u32_e32 v35, vcc, 0, v17, vcc
	global_load_ubyte v40, v[34:35], off offset:66
	v_add_co_u32_e32 v34, vcc, v16, v32
	v_addc_co_u32_e32 v35, vcc, 0, v17, vcc
	global_load_dword v41, v[34:35], off offset:74
	s_waitcnt vmcnt(3)
	v_cvt_f32_f16_e32 v43, v6
	s_waitcnt vmcnt(2)
	v_and_b32_e32 v6, 0xff, v38
	s_waitcnt vmcnt(1)
	v_lshlrev_b32_e32 v34, 8, v40
	v_and_or_b32 v6, v34, s17, v6
	v_lshlrev_b32_e32 v6, 2, v6
	global_load_dword v6, v6, s[12:13]
	v_bfe_u32 v34, v38, 8, 8
	v_lshlrev_b32_e32 v35, 7, v40
	v_and_or_b32 v34, v35, s17, v34
	v_lshlrev_b32_e32 v34, 2, v34
	global_load_dword v34, v34, s[12:13]
	s_waitcnt vmcnt(2)
	v_and_b32_e32 v35, 0xff, v41
	v_lshlrev_b32_e32 v36, 21, v41
	v_lshl_or_b32 v36, v35, 7, v36
	v_and_b32_e32 v42, 0x1800180, v36
	v_bfe_u32 v36, v36, 24, 1
	v_cmp_ne_u16_e32 vcc, 0, v36
	v_cmp_ne_u16_sdwa s[20:21], v42, v25 src0_sel:BYTE_1 src1_sel:DWORD
	v_lshrrev_b16_e32 v36, 7, v42
	v_lshrrev_b32_e32 v42, 2, v41
	v_cndmask_b32_e64 v44, 0, -1, s[20:21]
	v_cndmask_b32_e64 v47, 0, -1, vcc
	v_bfe_i32 v36, v36, 0, 1
	v_lshlrev_b16_e32 v44, 8, v44
	v_lshlrev_b16_e32 v47, 8, v47
	v_bfe_i32 v42, v42, 0, 1
	v_or_b32_sdwa v45, v36, v44 dst_sel:DWORD dst_unused:UNUSED_PAD src0_sel:BYTE_0 src1_sel:DWORD
	v_or_b32_sdwa v48, v42, v47 dst_sel:WORD_1 dst_unused:UNUSED_PAD src0_sel:BYTE_0 src1_sel:DWORD
	v_or_b32_sdwa v45, v45, v48 dst_sel:DWORD dst_unused:UNUSED_PAD src0_sel:WORD_0 src1_sel:DWORD
	v_lshlrev_b32_e32 v48, 17, v41
	v_lshl_or_b32 v35, v35, 3, v48
	v_and_b32_e32 v48, 0x1800180, v35
	v_bfe_u32 v35, v35, 24, 1
	v_cmp_ne_u16_e32 vcc, 0, v35
	v_cmp_ne_u16_sdwa s[20:21], v48, v25 src0_sel:BYTE_1 src1_sel:DWORD
	v_lshrrev_b16_e32 v35, 7, v48
	v_lshrrev_b32_e32 v48, 6, v41
	v_cndmask_b32_e64 v49, 0, -1, s[20:21]
	v_cndmask_b32_e64 v51, 0, -1, vcc
	v_lshlrev_b16_e32 v36, 8, v36
	v_bfe_i32 v35, v35, 0, 1
	v_lshlrev_b16_e32 v49, 8, v49
	v_lshlrev_b16_e32 v51, 8, v51
	v_bfe_i32 v48, v48, 0, 1
	v_or_b32_sdwa v50, v35, v49 dst_sel:DWORD dst_unused:UNUSED_PAD src0_sel:BYTE_0 src1_sel:DWORD
	v_or_b32_sdwa v52, v48, v51 dst_sel:WORD_1 dst_unused:UNUSED_PAD src0_sel:BYTE_0 src1_sel:DWORD
	v_lshlrev_b16_e32 v42, 8, v42
	v_or_b32_sdwa v50, v50, v52 dst_sel:DWORD dst_unused:UNUSED_PAD src0_sel:WORD_0 src1_sel:DWORD
	v_lshlrev_b16_e32 v35, 8, v35
	v_lshrrev_b32_e32 v37, 16, v41
	s_waitcnt vmcnt(1)
	v_xor_b32_e32 v6, v6, v45
	v_and_b32_e32 v45, 0xffffff00, v6
	v_sub_i16 v44, v45, v44 clamp
	v_lshlrev_b16_e32 v45, 8, v6
	v_sub_i16 v36, v45, v36 clamp
	v_perm_b32 v36, v36, v44, s22
	v_and_b32_sdwa v44, v6, s19 dst_sel:DWORD dst_unused:UNUSED_PAD src0_sel:WORD_1 src1_sel:DWORD
	v_lshlrev_b16_sdwa v6, v33, v6 dst_sel:DWORD dst_unused:UNUSED_PAD src0_sel:DWORD src1_sel:WORD_1
	v_sub_i16 v44, v44, v47 clamp
	v_sub_i16 v6, v6, v42 clamp
	v_perm_b32 v6, v6, v44, s22
	s_waitcnt vmcnt(0)
	v_xor_b32_e32 v34, v34, v50
	v_lshl_or_b32 v6, v6, 16, v36
	v_and_b32_e32 v36, 0xffffff00, v34
	v_lshlrev_b16_e32 v42, 8, v34
	v_sub_i16 v36, v36, v49 clamp
	v_sub_i16 v35, v42, v35 clamp
	v_perm_b32 v35, v35, v36, s22
	v_and_b32_sdwa v36, v34, s19 dst_sel:DWORD dst_unused:UNUSED_PAD src0_sel:WORD_1 src1_sel:DWORD
	v_lshlrev_b16_sdwa v34, v33, v34 dst_sel:DWORD dst_unused:UNUSED_PAD src0_sel:DWORD src1_sel:WORD_1
	v_lshlrev_b16_e32 v42, 8, v48
	v_sub_i16 v36, v36, v51 clamp
	v_sub_i16 v34, v34, v42 clamp
	v_perm_b32 v34, v34, v36, s22
	v_lshl_or_b32 v34, v34, 16, v35
	v_dot4_i32_i8 v35, v6, v7, 0
	v_dot4_i32_i8 v42, v34, v8, v35
	v_bfe_u32 v35, v38, 16, 8
	v_lshlrev_b32_e32 v36, 6, v40
	v_and_or_b32 v35, v36, s17, v35
	v_lshlrev_b32_e32 v35, 2, v35
	global_load_dword v35, v35, s[12:13]
	v_lshrrev_b32_e32 v36, 24, v38
	v_lshlrev_b32_e32 v38, 5, v40
	v_and_or_b32 v36, v38, s17, v36
	v_lshlrev_b32_e32 v36, 2, v36
	global_load_dword v36, v36, s[12:13]
	v_lshrrev_b32_e32 v38, 1, v41
	v_and_b32_e32 v38, 0x180, v38
	v_lshrrev_b32_e32 v44, 11, v41
	v_cmp_ne_u16_sdwa s[20:21], v38, v25 src0_sel:BYTE_1 src1_sel:DWORD
	v_lshrrev_b32_e32 v45, 10, v41
	v_lshrrev_b16_e32 v38, 7, v38
	v_cndmask_b32_e64 v47, 0, -1, s[20:21]
	v_bfe_i32 v44, v44, 0, 1
	v_bfe_i32 v38, v38, 0, 1
	v_lshlrev_b16_e32 v47, 8, v47
	v_lshlrev_b16_e32 v44, 8, v44
	v_bfe_i32 v45, v45, 0, 1
	v_or_b32_sdwa v48, v38, v47 dst_sel:DWORD dst_unused:UNUSED_PAD src0_sel:BYTE_0 src1_sel:DWORD
	v_or_b32_sdwa v49, v45, v44 dst_sel:WORD_1 dst_unused:UNUSED_PAD src0_sel:BYTE_0 src1_sel:DWORD
	v_or_b32_sdwa v48, v48, v49 dst_sel:DWORD dst_unused:UNUSED_PAD src0_sel:WORD_0 src1_sel:DWORD
	v_lshrrev_b32_e32 v49, 5, v41
	v_and_b32_e32 v49, 0x180, v49
	v_lshrrev_b32_e32 v50, 15, v41
	v_cmp_ne_u16_sdwa s[20:21], v49, v25 src0_sel:BYTE_1 src1_sel:DWORD
	v_lshrrev_b32_e32 v51, 14, v41
	v_lshrrev_b16_e32 v49, 7, v49
	v_cndmask_b32_e64 v52, 0, -1, s[20:21]
	v_bfe_i32 v50, v50, 0, 1
	v_lshlrev_b16_e32 v38, 8, v38
	v_bfe_i32 v49, v49, 0, 1
	v_lshlrev_b16_e32 v52, 8, v52
	v_lshlrev_b16_e32 v50, 8, v50
	v_bfe_i32 v51, v51, 0, 1
	v_or_b32_sdwa v53, v49, v52 dst_sel:DWORD dst_unused:UNUSED_PAD src0_sel:BYTE_0 src1_sel:DWORD
	v_or_b32_sdwa v54, v51, v50 dst_sel:WORD_1 dst_unused:UNUSED_PAD src0_sel:BYTE_0 src1_sel:DWORD
	v_lshlrev_b16_e32 v45, 8, v45
	v_or_b32_sdwa v53, v53, v54 dst_sel:DWORD dst_unused:UNUSED_PAD src0_sel:WORD_0 src1_sel:DWORD
	s_waitcnt vmcnt(1)
	v_xor_b32_e32 v35, v35, v48
	v_and_b32_e32 v48, 0xffffff00, v35
	v_sub_i16 v47, v48, v47 clamp
	v_lshlrev_b16_e32 v48, 8, v35
	v_sub_i16 v38, v48, v38 clamp
	v_perm_b32 v38, v38, v47, s22
	v_and_b32_sdwa v47, v35, s19 dst_sel:DWORD dst_unused:UNUSED_PAD src0_sel:WORD_1 src1_sel:DWORD
	v_lshlrev_b16_sdwa v35, v33, v35 dst_sel:DWORD dst_unused:UNUSED_PAD src0_sel:DWORD src1_sel:WORD_1
	v_sub_i16 v44, v47, v44 clamp
	v_sub_i16 v35, v35, v45 clamp
	v_perm_b32 v35, v35, v44, s22
	s_waitcnt vmcnt(0)
	v_xor_b32_e32 v36, v36, v53
	v_lshl_or_b32 v35, v35, 16, v38
	v_and_b32_e32 v38, 0xffffff00, v36
	v_lshlrev_b16_e32 v44, 8, v36
	v_lshlrev_b16_e32 v45, 8, v49
	v_sub_i16 v38, v38, v52 clamp
	v_sub_i16 v44, v44, v45 clamp
	v_perm_b32 v38, v44, v38, s22
	v_and_b32_sdwa v44, v36, s19 dst_sel:DWORD dst_unused:UNUSED_PAD src0_sel:WORD_1 src1_sel:DWORD
	v_lshlrev_b16_sdwa v36, v33, v36 dst_sel:DWORD dst_unused:UNUSED_PAD src0_sel:DWORD src1_sel:WORD_1
	v_lshlrev_b16_e32 v45, 8, v51
	v_sub_i16 v44, v44, v50 clamp
	v_sub_i16 v36, v36, v45 clamp
	v_perm_b32 v36, v36, v44, s22
	v_lshl_or_b32 v36, v36, 16, v38
	v_dot4_i32_i8 v38, v35, v9, v42
	v_dot4_i32_i8 v42, v36, v2, v38
	v_and_b32_e32 v38, 0xff, v39
	v_lshlrev_b32_e32 v44, 4, v40
	v_and_or_b32 v38, v44, s17, v38
	v_lshlrev_b32_e32 v38, 2, v38
	global_load_dword v38, v38, s[12:13]
	v_bfe_u32 v44, v39, 8, 8
	v_lshlrev_b32_e32 v45, 3, v40
	v_and_or_b32 v44, v45, s17, v44
	v_lshlrev_b32_e32 v44, 2, v44
	global_load_dword v44, v44, s[12:13]
	v_lshrrev_b32_e32 v45, 9, v41
	v_lshl_or_b32 v45, v37, 21, v45
	v_and_b32_e32 v47, 0x1800180, v45
	v_bfe_u32 v45, v45, 24, 1
	v_cmp_ne_u16_e32 vcc, 0, v45
	v_cmp_ne_u16_sdwa s[20:21], v47, v25 src0_sel:BYTE_1 src1_sel:DWORD
	v_lshrrev_b16_e32 v45, 7, v47
	v_lshrrev_b32_e32 v47, 18, v41
	v_cndmask_b32_e64 v48, 0, -1, s[20:21]
	v_cndmask_b32_e64 v50, 0, -1, vcc
	v_bfe_i32 v45, v45, 0, 1
	v_lshlrev_b16_e32 v48, 8, v48
	v_lshlrev_b16_e32 v50, 8, v50
	v_bfe_i32 v47, v47, 0, 1
	v_or_b32_sdwa v49, v45, v48 dst_sel:DWORD dst_unused:UNUSED_PAD src0_sel:BYTE_0 src1_sel:DWORD
	v_or_b32_sdwa v51, v47, v50 dst_sel:WORD_1 dst_unused:UNUSED_PAD src0_sel:BYTE_0 src1_sel:DWORD
	v_or_b32_sdwa v49, v49, v51 dst_sel:DWORD dst_unused:UNUSED_PAD src0_sel:WORD_0 src1_sel:DWORD
	v_lshrrev_b32_e32 v51, 13, v41
	v_lshl_or_b32 v37, v37, 17, v51
	v_and_b32_e32 v51, 0x1800180, v37
	v_bfe_u32 v37, v37, 24, 1
	v_cmp_ne_u16_e32 vcc, 0, v37
	v_cmp_ne_u16_sdwa s[20:21], v51, v25 src0_sel:BYTE_1 src1_sel:DWORD
	v_lshrrev_b16_e32 v37, 7, v51
	v_lshrrev_b32_e32 v51, 22, v41
	v_bfe_i32 v52, v37, 0, 1
	v_cndmask_b32_e64 v37, 0, -1, s[20:21]
	v_cndmask_b32_e64 v54, 0, -1, vcc
	v_lshlrev_b16_e32 v53, 8, v37
	v_lshlrev_b16_e32 v54, 8, v54
	v_bfe_i32 v51, v51, 0, 1
	v_or_b32_sdwa v37, v52, v53 dst_sel:DWORD dst_unused:UNUSED_PAD src0_sel:BYTE_0 src1_sel:DWORD
	v_or_b32_sdwa v55, v51, v54 dst_sel:WORD_1 dst_unused:UNUSED_PAD src0_sel:BYTE_0 src1_sel:DWORD
	v_or_b32_sdwa v55, v37, v55 dst_sel:DWORD dst_unused:UNUSED_PAD src0_sel:WORD_0 src1_sel:DWORD
	v_lshlrev_b16_e32 v45, 8, v45
	v_lshlrev_b16_e32 v47, 8, v47
	s_waitcnt vmcnt(1)
	v_xor_b32_e32 v37, v38, v49
	v_and_b32_e32 v38, 0xffffff00, v37
	v_sub_i16 v38, v38, v48 clamp
	v_lshlrev_b16_e32 v48, 8, v37
	v_sub_i16 v45, v48, v45 clamp
	v_perm_b32 v38, v45, v38, s22
	v_and_b32_sdwa v45, v37, s19 dst_sel:DWORD dst_unused:UNUSED_PAD src0_sel:WORD_1 src1_sel:DWORD
	v_lshlrev_b16_sdwa v37, v33, v37 dst_sel:DWORD dst_unused:UNUSED_PAD src0_sel:DWORD src1_sel:WORD_1
	v_sub_i16 v45, v45, v50 clamp
	v_sub_i16 v37, v37, v47 clamp
	v_perm_b32 v37, v37, v45, s22
	v_lshl_or_b32 v37, v37, 16, v38
	s_waitcnt vmcnt(0)
	v_xor_b32_e32 v38, v44, v55
	v_and_b32_e32 v44, 0xffffff00, v38
	v_lshlrev_b16_e32 v45, 8, v38
	v_lshlrev_b16_e32 v47, 8, v52
	v_sub_i16 v44, v44, v53 clamp
	v_sub_i16 v45, v45, v47 clamp
	v_perm_b32 v44, v45, v44, s22
	v_and_b32_sdwa v45, v38, s19 dst_sel:DWORD dst_unused:UNUSED_PAD src0_sel:WORD_1 src1_sel:DWORD
	v_lshlrev_b16_sdwa v38, v33, v38 dst_sel:DWORD dst_unused:UNUSED_PAD src0_sel:DWORD src1_sel:WORD_1
	v_lshlrev_b16_e32 v47, 8, v51
	v_sub_i16 v45, v45, v54 clamp
	v_sub_i16 v38, v38, v47 clamp
	v_perm_b32 v38, v38, v45, s22
	v_lshl_or_b32 v38, v38, 16, v44
	v_bfe_u32 v44, v39, 16, 8
	v_lshlrev_b32_e32 v45, 2, v40
	v_and_or_b32 v44, v45, s17, v44
	v_lshlrev_b32_e32 v44, 2, v44
	global_load_dword v44, v44, s[12:13]
	v_lshrrev_b32_e32 v39, 24, v39
	v_lshlrev_b32_e32 v40, 1, v40
	v_and_or_b32 v39, v40, s17, v39
	v_lshlrev_b32_e32 v39, 2, v39
	global_load_dword v40, v39, s[12:13]
	v_lshrrev_b32_e32 v39, 17, v41
	v_lshrrev_b32_e32 v45, 24, v41
	v_lshl_or_b32 v39, v45, 21, v39
	v_and_b32_e32 v45, 0x1800180, v39
	v_bfe_u32 v39, v39, 24, 1
	v_cmp_ne_u16_e32 vcc, 0, v39
	v_cmp_ne_u16_sdwa s[20:21], v45, v25 src0_sel:BYTE_1 src1_sel:DWORD
	v_lshrrev_b16_e32 v39, 7, v45
	v_lshrrev_b32_e32 v45, 26, v41
	v_cndmask_b32_e64 v47, 0, -1, s[20:21]
	v_cndmask_b32_e64 v49, 0, -1, vcc
	v_bfe_i32 v39, v39, 0, 1
	v_lshlrev_b16_e32 v47, 8, v47
	v_lshlrev_b16_e32 v49, 8, v49
	v_bfe_i32 v45, v45, 0, 1
	v_or_b32_sdwa v48, v39, v47 dst_sel:DWORD dst_unused:UNUSED_PAD src0_sel:BYTE_0 src1_sel:DWORD
	v_or_b32_sdwa v50, v45, v49 dst_sel:WORD_1 dst_unused:UNUSED_PAD src0_sel:BYTE_0 src1_sel:DWORD
	v_or_b32_sdwa v48, v48, v50 dst_sel:DWORD dst_unused:UNUSED_PAD src0_sel:WORD_0 src1_sel:DWORD
	v_lshrrev_b32_e32 v50, 21, v41
	v_lshrrev_b32_e32 v52, 31, v41
	v_lshrrev_b16_e32 v51, 8, v50
	v_cmp_ne_u16_e32 vcc, 0, v52
	v_lshrrev_b32_e32 v41, 30, v41
	v_lshrrev_b16_e32 v50, 7, v50
	v_bfe_i32 v51, v51, 0, 1
	v_cndmask_b32_e64 v53, 0, -1, vcc
	v_lshlrev_b16_e32 v39, 8, v39
	v_lshlrev_b16_e32 v51, 8, v51
	v_bfe_i32 v50, v50, 0, 1
	v_bfe_i32 v41, v41, 0, 1
	v_lshlrev_b16_e32 v53, 8, v53
	v_or_b32_sdwa v52, v50, v51 dst_sel:DWORD dst_unused:UNUSED_PAD src0_sel:BYTE_0 src1_sel:DWORD
	v_or_b32_sdwa v54, v41, v53 dst_sel:WORD_1 dst_unused:UNUSED_PAD src0_sel:BYTE_0 src1_sel:DWORD
	v_lshlrev_b16_e32 v45, 8, v45
	v_or_b32_sdwa v52, v52, v54 dst_sel:DWORD dst_unused:UNUSED_PAD src0_sel:WORD_0 src1_sel:DWORD
	v_lshlrev_b16_e32 v41, 8, v41
	v_dot4_i32_i8 v42, v37, v3, v42
	v_dot4_i32_i8 v42, v38, v4, v42
	s_waitcnt vmcnt(1)
	v_xor_b32_e32 v44, v44, v48
	v_and_b32_e32 v48, 0xffffff00, v44
	v_sub_i16 v47, v48, v47 clamp
	v_lshlrev_b16_e32 v48, 8, v44
	v_sub_i16 v39, v48, v39 clamp
	v_perm_b32 v39, v39, v47, s22
	v_and_b32_sdwa v47, v44, s19 dst_sel:DWORD dst_unused:UNUSED_PAD src0_sel:WORD_1 src1_sel:DWORD
	v_lshlrev_b16_sdwa v44, v33, v44 dst_sel:DWORD dst_unused:UNUSED_PAD src0_sel:DWORD src1_sel:WORD_1
	v_sub_i16 v47, v47, v49 clamp
	v_sub_i16 v44, v44, v45 clamp
	v_perm_b32 v44, v44, v47, s22
	s_waitcnt vmcnt(0)
	v_xor_b32_e32 v40, v40, v52
	v_lshl_or_b32 v39, v44, 16, v39
	v_and_b32_e32 v44, 0xffffff00, v40
	v_lshlrev_b16_e32 v45, 8, v40
	v_lshlrev_b16_e32 v47, 8, v50
	v_sub_i16 v44, v44, v51 clamp
	v_sub_i16 v45, v45, v47 clamp
	v_perm_b32 v44, v45, v44, s22
	v_and_b32_sdwa v45, v40, s19 dst_sel:DWORD dst_unused:UNUSED_PAD src0_sel:WORD_1 src1_sel:DWORD
	v_lshlrev_b16_sdwa v40, v33, v40 dst_sel:DWORD dst_unused:UNUSED_PAD src0_sel:DWORD src1_sel:WORD_1
	v_sub_i16 v45, v45, v53 clamp
	v_sub_i16 v40, v40, v41 clamp
	v_perm_b32 v40, v40, v45, s22
	v_lshl_or_b32 v40, v40, 16, v44
	v_dot4_i32_i8 v41, v39, v5, v42
	v_dot4_i32_i8 v44, v40, v46, v41
	v_add_co_u32_e32 v41, vcc, v16, v27
	v_addc_co_u32_e32 v42, vcc, 0, v17, vcc
	global_load_ubyte v41, v[41:42], off offset:106
	s_nop 0
	global_load_ushort v16, v[16:17], off
	s_waitcnt vmcnt(1)
	v_lshrrev_b32_e32 v41, v28, v41
	v_lshlrev_b32_e32 v41, 1, v41
	v_and_or_b32 v41, v41, 30, 1
	v_mul_lo_u32 v44, v44, v41
	s_waitcnt vmcnt(0)
	v_cvt_f32_f16_e32 v42, v16
	v_cvt_f32_i32_e32 v17, v44
	v_mul_f32_e32 v16, v42, v43
	v_fmac_f32_e32 v23, v16, v17
	v_add_u32_e32 v16, s15, v24
	v_mad_i64_i32 v[16:17], s[20:21], v16, s16, v[14:15]
	v_add_u32_e32 v24, 16, v24
	v_add_co_u32_e32 v44, vcc, v16, v31
	v_addc_co_u32_e32 v45, vcc, 0, v17, vcc
	global_load_dwordx2 v[47:48], v[44:45], off offset:2
	v_add_co_u32_e32 v44, vcc, v16, v26
	v_addc_co_u32_e32 v45, vcc, 0, v17, vcc
	global_load_ubyte v49, v[44:45], off offset:66
	v_add_co_u32_e32 v44, vcc, v16, v32
	v_addc_co_u32_e32 v45, vcc, 0, v17, vcc
	global_load_dword v50, v[44:45], off offset:74
	s_waitcnt vmcnt(2)
	v_and_b32_e32 v44, 0xff, v47
	s_waitcnt vmcnt(1)
	v_lshlrev_b32_e32 v45, 8, v49
	v_and_or_b32 v44, v45, s17, v44
	v_lshlrev_b32_e32 v44, 2, v44
	global_load_dword v44, v44, s[12:13]
	v_bfe_u32 v45, v47, 8, 8
	v_lshlrev_b32_e32 v52, 7, v49
	v_and_or_b32 v45, v52, s17, v45
	v_lshlrev_b32_e32 v45, 2, v45
	global_load_dword v45, v45, s[12:13]
	s_waitcnt vmcnt(2)
	v_and_b32_e32 v52, 0xff, v50
	v_lshlrev_b32_e32 v53, 21, v50
	v_lshl_or_b32 v53, v52, 7, v53
	v_and_b32_e32 v54, 0x1800180, v53
	v_bfe_u32 v53, v53, 24, 1
	v_cmp_ne_u16_e32 vcc, 0, v53
	v_cmp_ne_u16_sdwa s[20:21], v54, v25 src0_sel:BYTE_1 src1_sel:DWORD
	v_lshrrev_b16_e32 v53, 7, v54
	v_lshrrev_b32_e32 v54, 2, v50
	v_cndmask_b32_e64 v55, 0, -1, s[20:21]
	v_cndmask_b32_e64 v57, 0, -1, vcc
	v_bfe_i32 v53, v53, 0, 1
	v_lshlrev_b16_e32 v55, 8, v55
	v_lshlrev_b16_e32 v57, 8, v57
	v_bfe_i32 v54, v54, 0, 1
	v_or_b32_sdwa v56, v53, v55 dst_sel:DWORD dst_unused:UNUSED_PAD src0_sel:BYTE_0 src1_sel:DWORD
	v_or_b32_sdwa v58, v54, v57 dst_sel:WORD_1 dst_unused:UNUSED_PAD src0_sel:BYTE_0 src1_sel:DWORD
	v_or_b32_sdwa v56, v56, v58 dst_sel:DWORD dst_unused:UNUSED_PAD src0_sel:WORD_0 src1_sel:DWORD
	v_lshlrev_b32_e32 v58, 17, v50
	v_lshl_or_b32 v52, v52, 3, v58
	v_and_b32_e32 v58, 0x1800180, v52
	v_bfe_u32 v52, v52, 24, 1
	v_cmp_ne_u16_e32 vcc, 0, v52
	v_cmp_ne_u16_sdwa s[20:21], v58, v25 src0_sel:BYTE_1 src1_sel:DWORD
	v_lshrrev_b16_e32 v52, 7, v58
	v_lshrrev_b32_e32 v58, 6, v50
	v_cndmask_b32_e64 v59, 0, -1, s[20:21]
	v_cndmask_b32_e64 v61, 0, -1, vcc
	v_lshlrev_b16_e32 v53, 8, v53
	v_bfe_i32 v52, v52, 0, 1
	v_lshlrev_b16_e32 v59, 8, v59
	v_lshlrev_b16_e32 v61, 8, v61
	v_bfe_i32 v58, v58, 0, 1
	v_or_b32_sdwa v60, v52, v59 dst_sel:DWORD dst_unused:UNUSED_PAD src0_sel:BYTE_0 src1_sel:DWORD
	v_or_b32_sdwa v62, v58, v61 dst_sel:WORD_1 dst_unused:UNUSED_PAD src0_sel:BYTE_0 src1_sel:DWORD
	v_lshlrev_b16_e32 v54, 8, v54
	v_or_b32_sdwa v60, v60, v62 dst_sel:DWORD dst_unused:UNUSED_PAD src0_sel:WORD_0 src1_sel:DWORD
	v_lshlrev_b16_e32 v52, 8, v52
	v_lshrrev_b32_e32 v51, 16, v50
	s_waitcnt vmcnt(1)
	v_xor_b32_e32 v44, v44, v56
	v_and_b32_e32 v56, 0xffffff00, v44
	v_sub_i16 v55, v56, v55 clamp
	v_lshlrev_b16_e32 v56, 8, v44
	v_sub_i16 v53, v56, v53 clamp
	v_perm_b32 v53, v53, v55, s22
	v_and_b32_sdwa v55, v44, s19 dst_sel:DWORD dst_unused:UNUSED_PAD src0_sel:WORD_1 src1_sel:DWORD
	v_lshlrev_b16_sdwa v44, v33, v44 dst_sel:DWORD dst_unused:UNUSED_PAD src0_sel:DWORD src1_sel:WORD_1
	v_sub_i16 v55, v55, v57 clamp
	v_sub_i16 v44, v44, v54 clamp
	v_perm_b32 v44, v44, v55, s22
	s_waitcnt vmcnt(0)
	v_xor_b32_e32 v45, v45, v60
	v_lshl_or_b32 v44, v44, 16, v53
	v_and_b32_e32 v53, 0xffffff00, v45
	v_lshlrev_b16_e32 v54, 8, v45
	v_sub_i16 v53, v53, v59 clamp
	v_sub_i16 v52, v54, v52 clamp
	v_perm_b32 v52, v52, v53, s22
	v_and_b32_sdwa v53, v45, s19 dst_sel:DWORD dst_unused:UNUSED_PAD src0_sel:WORD_1 src1_sel:DWORD
	v_lshlrev_b16_sdwa v45, v33, v45 dst_sel:DWORD dst_unused:UNUSED_PAD src0_sel:DWORD src1_sel:WORD_1
	v_lshlrev_b16_e32 v54, 8, v58
	v_sub_i16 v53, v53, v61 clamp
	v_sub_i16 v45, v45, v54 clamp
	v_perm_b32 v45, v45, v53, s22
	v_lshl_or_b32 v45, v45, 16, v52
	v_dot4_i32_i8 v7, v44, v7, 0
	v_dot4_i32_i8 v52, v45, v8, v7
	v_bfe_u32 v7, v47, 16, 8
	v_lshlrev_b32_e32 v8, 6, v49
	v_and_or_b32 v7, v8, s17, v7
	v_lshlrev_b32_e32 v7, 2, v7
	global_load_dword v7, v7, s[12:13]
	v_lshrrev_b32_e32 v8, 24, v47
	v_lshlrev_b32_e32 v47, 5, v49
	v_and_or_b32 v8, v47, s17, v8
	v_lshlrev_b32_e32 v8, 2, v8
	global_load_dword v8, v8, s[12:13]
	v_lshrrev_b32_e32 v47, 1, v50
	v_and_b32_e32 v47, 0x180, v47
	v_lshrrev_b32_e32 v53, 11, v50
	v_cmp_ne_u16_sdwa s[20:21], v47, v25 src0_sel:BYTE_1 src1_sel:DWORD
	v_lshrrev_b32_e32 v54, 10, v50
	v_lshrrev_b16_e32 v47, 7, v47
	v_cndmask_b32_e64 v55, 0, -1, s[20:21]
	v_bfe_i32 v53, v53, 0, 1
	v_bfe_i32 v47, v47, 0, 1
	v_lshlrev_b16_e32 v55, 8, v55
	v_lshlrev_b16_e32 v53, 8, v53
	v_bfe_i32 v54, v54, 0, 1
	v_or_b32_sdwa v56, v47, v55 dst_sel:DWORD dst_unused:UNUSED_PAD src0_sel:BYTE_0 src1_sel:DWORD
	v_or_b32_sdwa v57, v54, v53 dst_sel:WORD_1 dst_unused:UNUSED_PAD src0_sel:BYTE_0 src1_sel:DWORD
	v_or_b32_sdwa v56, v56, v57 dst_sel:DWORD dst_unused:UNUSED_PAD src0_sel:WORD_0 src1_sel:DWORD
	v_lshrrev_b32_e32 v57, 5, v50
	v_and_b32_e32 v57, 0x180, v57
	v_lshrrev_b32_e32 v58, 15, v50
	v_cmp_ne_u16_sdwa s[20:21], v57, v25 src0_sel:BYTE_1 src1_sel:DWORD
	v_lshrrev_b32_e32 v59, 14, v50
	v_lshrrev_b16_e32 v57, 7, v57
	v_cndmask_b32_e64 v60, 0, -1, s[20:21]
	v_bfe_i32 v58, v58, 0, 1
	v_lshlrev_b16_e32 v47, 8, v47
	v_bfe_i32 v57, v57, 0, 1
	v_lshlrev_b16_e32 v60, 8, v60
	v_lshlrev_b16_e32 v58, 8, v58
	v_bfe_i32 v59, v59, 0, 1
	v_or_b32_sdwa v61, v57, v60 dst_sel:DWORD dst_unused:UNUSED_PAD src0_sel:BYTE_0 src1_sel:DWORD
	v_or_b32_sdwa v62, v59, v58 dst_sel:WORD_1 dst_unused:UNUSED_PAD src0_sel:BYTE_0 src1_sel:DWORD
	v_lshlrev_b16_e32 v54, 8, v54
	v_or_b32_sdwa v61, v61, v62 dst_sel:DWORD dst_unused:UNUSED_PAD src0_sel:WORD_0 src1_sel:DWORD
	s_waitcnt vmcnt(1)
	v_xor_b32_e32 v7, v7, v56
	v_and_b32_e32 v56, 0xffffff00, v7
	v_sub_i16 v55, v56, v55 clamp
	v_lshlrev_b16_e32 v56, 8, v7
	v_sub_i16 v47, v56, v47 clamp
	v_perm_b32 v47, v47, v55, s22
	v_and_b32_sdwa v55, v7, s19 dst_sel:DWORD dst_unused:UNUSED_PAD src0_sel:WORD_1 src1_sel:DWORD
	v_lshlrev_b16_sdwa v7, v33, v7 dst_sel:DWORD dst_unused:UNUSED_PAD src0_sel:DWORD src1_sel:WORD_1
	v_sub_i16 v53, v55, v53 clamp
	v_sub_i16 v7, v7, v54 clamp
	v_perm_b32 v7, v7, v53, s22
	s_waitcnt vmcnt(0)
	v_xor_b32_e32 v8, v8, v61
	v_lshl_or_b32 v7, v7, 16, v47
	v_and_b32_e32 v47, 0xffffff00, v8
	v_lshlrev_b16_e32 v53, 8, v8
	v_lshlrev_b16_e32 v54, 8, v57
	v_sub_i16 v47, v47, v60 clamp
	v_sub_i16 v53, v53, v54 clamp
	v_perm_b32 v47, v53, v47, s22
	v_and_b32_sdwa v53, v8, s19 dst_sel:DWORD dst_unused:UNUSED_PAD src0_sel:WORD_1 src1_sel:DWORD
	v_lshlrev_b16_sdwa v8, v33, v8 dst_sel:DWORD dst_unused:UNUSED_PAD src0_sel:DWORD src1_sel:WORD_1
	v_lshlrev_b16_e32 v54, 8, v59
	v_sub_i16 v53, v53, v58 clamp
	v_sub_i16 v8, v8, v54 clamp
	v_perm_b32 v8, v8, v53, s22
	v_lshl_or_b32 v8, v8, 16, v47
	v_dot4_i32_i8 v9, v7, v9, v52
	v_dot4_i32_i8 v47, v8, v2, v9
	v_and_b32_e32 v2, 0xff, v48
	v_lshlrev_b32_e32 v9, 4, v49
	v_and_or_b32 v2, v9, s17, v2
	v_lshlrev_b32_e32 v2, 2, v2
	global_load_dword v2, v2, s[12:13]
	v_bfe_u32 v9, v48, 8, 8
	v_lshlrev_b32_e32 v52, 3, v49
	v_and_or_b32 v9, v52, s17, v9
	v_lshlrev_b32_e32 v9, 2, v9
	global_load_dword v9, v9, s[12:13]
	v_lshrrev_b32_e32 v52, 9, v50
	v_lshl_or_b32 v52, v51, 21, v52
	v_and_b32_e32 v53, 0x1800180, v52
	v_bfe_u32 v52, v52, 24, 1
	v_cmp_ne_u16_e32 vcc, 0, v52
	v_cmp_ne_u16_sdwa s[20:21], v53, v25 src0_sel:BYTE_1 src1_sel:DWORD
	v_lshrrev_b16_e32 v52, 7, v53
	v_lshrrev_b32_e32 v53, 18, v50
	v_cndmask_b32_e64 v54, 0, -1, s[20:21]
	v_cndmask_b32_e64 v56, 0, -1, vcc
	v_bfe_i32 v52, v52, 0, 1
	v_lshlrev_b16_e32 v54, 8, v54
	v_lshlrev_b16_e32 v56, 8, v56
	v_bfe_i32 v53, v53, 0, 1
	v_or_b32_sdwa v55, v52, v54 dst_sel:DWORD dst_unused:UNUSED_PAD src0_sel:BYTE_0 src1_sel:DWORD
	v_or_b32_sdwa v57, v53, v56 dst_sel:WORD_1 dst_unused:UNUSED_PAD src0_sel:BYTE_0 src1_sel:DWORD
	v_or_b32_sdwa v55, v55, v57 dst_sel:DWORD dst_unused:UNUSED_PAD src0_sel:WORD_0 src1_sel:DWORD
	v_lshrrev_b32_e32 v57, 13, v50
	v_lshl_or_b32 v51, v51, 17, v57
	v_and_b32_e32 v57, 0x1800180, v51
	v_bfe_u32 v51, v51, 24, 1
	v_cmp_ne_u16_e32 vcc, 0, v51
	v_cmp_ne_u16_sdwa s[20:21], v57, v25 src0_sel:BYTE_1 src1_sel:DWORD
	v_lshrrev_b16_e32 v51, 7, v57
	v_lshrrev_b32_e32 v57, 22, v50
	v_cndmask_b32_e64 v58, 0, -1, s[20:21]
	v_cndmask_b32_e64 v60, 0, -1, vcc
	v_lshlrev_b16_e32 v52, 8, v52
	v_bfe_i32 v51, v51, 0, 1
	v_lshlrev_b16_e32 v58, 8, v58
	v_lshlrev_b16_e32 v60, 8, v60
	v_bfe_i32 v57, v57, 0, 1
	v_or_b32_sdwa v59, v51, v58 dst_sel:DWORD dst_unused:UNUSED_PAD src0_sel:BYTE_0 src1_sel:DWORD
	v_or_b32_sdwa v61, v57, v60 dst_sel:WORD_1 dst_unused:UNUSED_PAD src0_sel:BYTE_0 src1_sel:DWORD
	v_lshlrev_b16_e32 v53, 8, v53
	v_or_b32_sdwa v59, v59, v61 dst_sel:DWORD dst_unused:UNUSED_PAD src0_sel:WORD_0 src1_sel:DWORD
	v_lshlrev_b16_e32 v51, 8, v51
	s_waitcnt vmcnt(1)
	v_xor_b32_e32 v2, v2, v55
	v_and_b32_e32 v55, 0xffffff00, v2
	v_sub_i16 v54, v55, v54 clamp
	v_lshlrev_b16_e32 v55, 8, v2
	v_sub_i16 v52, v55, v52 clamp
	v_perm_b32 v52, v52, v54, s22
	v_and_b32_sdwa v54, v2, s19 dst_sel:DWORD dst_unused:UNUSED_PAD src0_sel:WORD_1 src1_sel:DWORD
	v_lshlrev_b16_sdwa v2, v33, v2 dst_sel:DWORD dst_unused:UNUSED_PAD src0_sel:DWORD src1_sel:WORD_1
	v_sub_i16 v54, v54, v56 clamp
	v_sub_i16 v2, v2, v53 clamp
	v_perm_b32 v2, v2, v54, s22
	s_waitcnt vmcnt(0)
	v_xor_b32_e32 v9, v9, v59
	v_lshl_or_b32 v2, v2, 16, v52
	v_and_b32_e32 v52, 0xffffff00, v9
	v_lshlrev_b16_e32 v53, 8, v9
	v_sub_i16 v52, v52, v58 clamp
	v_sub_i16 v51, v53, v51 clamp
	v_perm_b32 v51, v51, v52, s22
	v_and_b32_sdwa v52, v9, s19 dst_sel:DWORD dst_unused:UNUSED_PAD src0_sel:WORD_1 src1_sel:DWORD
	v_lshlrev_b16_sdwa v9, v33, v9 dst_sel:DWORD dst_unused:UNUSED_PAD src0_sel:DWORD src1_sel:WORD_1
	v_lshlrev_b16_e32 v53, 8, v57
	v_sub_i16 v52, v52, v60 clamp
	v_sub_i16 v9, v9, v53 clamp
	v_perm_b32 v9, v9, v52, s22
	v_lshl_or_b32 v9, v9, 16, v51
	v_dot4_i32_i8 v3, v2, v3, v47
	v_dot4_i32_i8 v47, v9, v4, v3
	v_bfe_u32 v3, v48, 16, 8
	v_lshlrev_b32_e32 v4, 2, v49
	v_and_or_b32 v3, v4, s17, v3
	v_lshlrev_b32_e32 v3, 2, v3
	global_load_dword v3, v3, s[12:13]
	v_lshrrev_b32_e32 v4, 24, v48
	v_lshlrev_b32_e32 v48, 1, v49
	v_and_or_b32 v4, v48, s17, v4
	v_lshlrev_b32_e32 v4, 2, v4
	global_load_dword v4, v4, s[12:13]
	v_lshrrev_b32_e32 v48, 17, v50
	v_lshrrev_b32_e32 v49, 24, v50
	v_lshl_or_b32 v48, v49, 21, v48
	v_and_b32_e32 v49, 0x1800180, v48
	v_bfe_u32 v48, v48, 24, 1
	v_cmp_ne_u16_e32 vcc, 0, v48
	v_cmp_ne_u16_sdwa s[12:13], v49, v25 src0_sel:BYTE_1 src1_sel:DWORD
	v_lshrrev_b16_e32 v48, 7, v49
	v_lshrrev_b32_e32 v49, 26, v50
	v_cndmask_b32_e64 v51, 0, -1, s[12:13]
	v_cndmask_b32_e64 v53, 0, -1, vcc
	v_bfe_i32 v48, v48, 0, 1
	v_lshlrev_b16_e32 v51, 8, v51
	v_lshlrev_b16_e32 v53, 8, v53
	v_bfe_i32 v49, v49, 0, 1
	v_or_b32_sdwa v52, v48, v51 dst_sel:DWORD dst_unused:UNUSED_PAD src0_sel:BYTE_0 src1_sel:DWORD
	v_or_b32_sdwa v54, v49, v53 dst_sel:WORD_1 dst_unused:UNUSED_PAD src0_sel:BYTE_0 src1_sel:DWORD
	v_or_b32_sdwa v52, v52, v54 dst_sel:DWORD dst_unused:UNUSED_PAD src0_sel:WORD_0 src1_sel:DWORD
	v_lshrrev_b32_e32 v54, 21, v50
	v_lshrrev_b32_e32 v56, 31, v50
	v_lshrrev_b16_e32 v55, 8, v54
	v_cmp_ne_u16_e32 vcc, 0, v56
	v_lshrrev_b32_e32 v50, 30, v50
	v_lshrrev_b16_e32 v54, 7, v54
	v_bfe_i32 v55, v55, 0, 1
	v_cndmask_b32_e64 v57, 0, -1, vcc
	v_lshlrev_b16_e32 v48, 8, v48
	v_lshlrev_b16_e32 v55, 8, v55
	v_bfe_i32 v54, v54, 0, 1
	v_bfe_i32 v50, v50, 0, 1
	v_lshlrev_b16_e32 v57, 8, v57
	v_or_b32_sdwa v56, v54, v55 dst_sel:DWORD dst_unused:UNUSED_PAD src0_sel:BYTE_0 src1_sel:DWORD
	v_or_b32_sdwa v58, v50, v57 dst_sel:WORD_1 dst_unused:UNUSED_PAD src0_sel:BYTE_0 src1_sel:DWORD
	v_lshlrev_b16_e32 v49, 8, v49
	v_or_b32_sdwa v56, v56, v58 dst_sel:DWORD dst_unused:UNUSED_PAD src0_sel:WORD_0 src1_sel:DWORD
	v_lshlrev_b16_e32 v50, 8, v50
	s_waitcnt vmcnt(1)
	v_xor_b32_e32 v3, v3, v52
	v_and_b32_e32 v52, 0xffffff00, v3
	v_sub_i16 v51, v52, v51 clamp
	v_lshlrev_b16_e32 v52, 8, v3
	v_sub_i16 v48, v52, v48 clamp
	v_perm_b32 v48, v48, v51, s22
	v_and_b32_sdwa v51, v3, s19 dst_sel:DWORD dst_unused:UNUSED_PAD src0_sel:WORD_1 src1_sel:DWORD
	v_lshlrev_b16_sdwa v3, v33, v3 dst_sel:DWORD dst_unused:UNUSED_PAD src0_sel:DWORD src1_sel:WORD_1
	v_sub_i16 v51, v51, v53 clamp
	v_sub_i16 v3, v3, v49 clamp
	v_perm_b32 v3, v3, v51, s22
	s_waitcnt vmcnt(0)
	v_xor_b32_e32 v4, v4, v56
	v_lshl_or_b32 v3, v3, 16, v48
	v_and_b32_e32 v48, 0xffffff00, v4
	v_lshlrev_b16_e32 v49, 8, v4
	v_lshlrev_b16_e32 v51, 8, v54
	v_sub_i16 v48, v48, v55 clamp
	v_sub_i16 v49, v49, v51 clamp
	v_perm_b32 v48, v49, v48, s22
	v_and_b32_sdwa v49, v4, s19 dst_sel:DWORD dst_unused:UNUSED_PAD src0_sel:WORD_1 src1_sel:DWORD
	v_lshlrev_b16_sdwa v4, v33, v4 dst_sel:DWORD dst_unused:UNUSED_PAD src0_sel:DWORD src1_sel:WORD_1
	v_sub_i16 v49, v49, v57 clamp
	v_sub_i16 v4, v4, v50 clamp
	v_perm_b32 v4, v4, v49, s22
	v_lshl_or_b32 v4, v4, 16, v48
	v_dot4_i32_i8 v5, v3, v5, v47
	v_dot4_i32_i8 v5, v4, v46, v5
	v_add_co_u32_e32 v46, vcc, v16, v27
	v_addc_co_u32_e32 v47, vcc, 0, v17, vcc
	global_load_ubyte v46, v[46:47], off offset:106
	v_add_co_u32_e32 v12, vcc, 0x1200, v12
	v_addc_co_u32_e32 v13, vcc, 0, v13, vcc
	v_cmp_le_u32_e32 vcc, s9, v24
	s_or_b64 s[0:1], vcc, s[0:1]
	s_waitcnt vmcnt(0)
	v_lshrrev_b32_e32 v46, v28, v46
	v_lshlrev_b32_e32 v46, 1, v46
	v_and_or_b32 v46, v46, 30, 1
	v_mul_lo_u32 v47, v5, v46
	global_load_ushort v5, v[16:17], off
	v_cvt_f32_i32_e32 v17, v47
	s_waitcnt vmcnt(0)
	v_cvt_f32_f16_e32 v5, v5
	v_mul_f32_e32 v16, v5, v43
	v_fmac_f32_e32 v22, v16, v17
	v_mad_u64_u32 v[16:17], s[12:13], v29, 36, v[10:11]
	global_load_dword v43, v[16:17], off offset:32
	global_load_dwordx4 v[47:50], v[16:17], off offset:16
	global_load_dwordx4 v[51:54], v[16:17], off
	v_add_u32_e32 v29, 0x80, v29
	s_waitcnt vmcnt(0)
	v_dot4_i32_i8 v17, v6, v52, 0
	v_dot4_i32_i8 v17, v34, v53, v17
	v_dot4_i32_i8 v17, v35, v54, v17
	v_dot4_i32_i8 v17, v36, v47, v17
	v_dot4_i32_i8 v17, v37, v48, v17
	v_dot4_i32_i8 v17, v38, v49, v17
	v_dot4_i32_i8 v17, v39, v50, v17
	v_dot4_i32_i8 v17, v40, v43, v17
	v_mul_lo_u32 v17, v17, v41
	v_cvt_f32_f16_e32 v16, v51
	v_cvt_f32_i32_e32 v17, v17
	v_mul_f32_e32 v51, v42, v16
	v_mul_f32_e32 v16, v5, v16
	v_fmac_f32_e32 v21, v51, v17
	v_dot4_i32_i8 v17, v44, v52, 0
	v_dot4_i32_i8 v17, v45, v53, v17
	;; [unrolled: 1-line block ×8, first 2 shown]
	v_mul_lo_u32 v17, v17, v46
	v_cvt_f32_i32_e32 v17, v17
	v_fmac_f32_e32 v20, v16, v17
	v_mad_u64_u32 v[16:17], s[12:13], v30, 36, v[10:11]
	global_load_dword v43, v[16:17], off offset:32
	global_load_dwordx4 v[47:50], v[16:17], off offset:16
	global_load_dwordx4 v[51:54], v[16:17], off
	v_add_u32_e32 v30, 0x80, v30
	s_waitcnt vmcnt(0)
	v_dot4_i32_i8 v6, v6, v52, 0
	v_dot4_i32_i8 v6, v34, v53, v6
	;; [unrolled: 1-line block ×8, first 2 shown]
	v_mul_lo_u32 v6, v6, v41
	v_cvt_f32_f16_e32 v16, v51
	v_cvt_f32_i32_e32 v6, v6
	v_mul_f32_e32 v17, v42, v16
	v_fmac_f32_e32 v19, v17, v6
	v_dot4_i32_i8 v6, v44, v52, 0
	v_dot4_i32_i8 v6, v45, v53, v6
	;; [unrolled: 1-line block ×8, first 2 shown]
	v_mul_lo_u32 v2, v2, v46
	v_mul_f32_e32 v3, v5, v16
	v_cvt_f32_i32_e32 v2, v2
	v_fmac_f32_e32 v18, v3, v2
	s_andn2_b64 exec, exec, s[0:1]
	s_cbranch_execnz .LBB258_2
; %bb.3:
	s_or_b64 exec, exec, s[0:1]
.LBB258_4:
	s_or_b64 exec, exec, s[10:11]
	v_cmp_eq_u32_e32 vcc, 0, v1
	v_cmp_ne_u32_e64 s[0:1], 0, v1
	s_and_saveexec_b64 s[10:11], s[0:1]
	s_cbranch_execz .LBB258_6
; %bb.5:
	v_mul_u32_u24_e32 v1, 0x600, v1
	v_lshl_or_b32 v1, v0, 2, v1
	v_add_u32_e32 v1, 0xfffffa00, v1
	ds_write2st64_b32 v1, v23, v22 offset1:1
	ds_write2st64_b32 v1, v21, v20 offset0:2 offset1:3
	ds_write2st64_b32 v1, v19, v18 offset0:4 offset1:5
.LBB258_6:
	s_or_b64 exec, exec, s[10:11]
	s_waitcnt lgkmcnt(0)
	s_barrier
	s_and_saveexec_b64 s[0:1], vcc
	s_cbranch_execz .LBB258_13
; %bb.7:
	v_lshlrev_b32_e32 v3, 2, v0
	v_mbcnt_lo_u32_b32 v1, -1, 0
	v_mbcnt_hi_u32_b32 v7, -1, v1
	ds_read2st64_b32 v[5:6], v3 offset1:1
	v_and_b32_e32 v1, 64, v7
	v_add_u32_e32 v8, 64, v1
	v_xor_b32_e32 v1, 32, v7
	v_cmp_lt_i32_e32 vcc, v1, v8
	v_cndmask_b32_e32 v1, v7, v1, vcc
	v_lshlrev_b32_e32 v1, 2, v1
	s_waitcnt lgkmcnt(0)
	v_add_f32_e32 v10, v5, v23
	v_add_f32_e32 v6, v6, v22
	ds_bpermute_b32 v11, v1, v10
	ds_bpermute_b32 v12, v1, v6
	v_xor_b32_e32 v2, 16, v7
	v_cmp_lt_i32_e32 vcc, v2, v8
	v_cndmask_b32_e32 v2, v7, v2, vcc
	v_lshlrev_b32_e32 v2, 2, v2
	s_waitcnt lgkmcnt(1)
	v_add_f32_e32 v10, v10, v11
	s_waitcnt lgkmcnt(0)
	v_add_f32_e32 v6, v6, v12
	ds_bpermute_b32 v11, v2, v10
	ds_bpermute_b32 v12, v2, v6
	v_xor_b32_e32 v4, 8, v7
	v_cmp_lt_i32_e32 vcc, v4, v8
	v_cndmask_b32_e32 v4, v7, v4, vcc
	v_lshlrev_b32_e32 v4, 2, v4
	s_waitcnt lgkmcnt(1)
	v_add_f32_e32 v10, v10, v11
	s_waitcnt lgkmcnt(0)
	;; [unrolled: 10-line block ×3, first 2 shown]
	v_add_f32_e32 v12, v12, v13
	ds_bpermute_b32 v11, v5, v10
	ds_bpermute_b32 v13, v5, v12
	v_xor_b32_e32 v9, 2, v7
	v_cmp_lt_i32_e32 vcc, v9, v8
	v_cndmask_b32_e32 v9, v7, v9, vcc
	v_lshlrev_b32_e32 v6, 2, v9
	v_xor_b32_e32 v9, 1, v7
	v_cmp_lt_i32_e32 vcc, v9, v8
	s_waitcnt lgkmcnt(1)
	v_add_f32_e32 v8, v10, v11
	s_waitcnt lgkmcnt(0)
	v_add_f32_e32 v11, v12, v13
	ds_bpermute_b32 v10, v6, v8
	ds_bpermute_b32 v12, v6, v11
	s_load_dwordx2 s[0:1], s[4:5], 0x38
	v_cndmask_b32_e32 v7, v7, v9, vcc
	s_mul_i32 s4, s14, s7
	v_lshlrev_b32_e32 v9, 2, v7
	s_waitcnt lgkmcnt(0)
	v_add_f32_e32 v7, v8, v10
	v_add_f32_e32 v10, v11, v12
	s_mul_i32 s3, s18, s8
	s_add_i32 s4, s4, s6
	ds_bpermute_b32 v8, v9, v7
	ds_bpermute_b32 v11, v9, v10
	s_add_i32 s4, s4, s3
	s_mov_b32 s5, 0
	s_lshl_b64 s[4:5], s[4:5], 2
	s_add_u32 s4, s0, s4
	v_add_u32_e32 v12, s6, v0
	s_addc_u32 s5, s1, s5
	v_cmp_gt_u32_e32 vcc, 2, v0
	v_cmp_gt_u32_e64 s[0:1], s2, v12
	s_and_b64 s[0:1], vcc, s[0:1]
	s_waitcnt lgkmcnt(1)
	v_add_f32_e32 v7, v7, v8
	s_waitcnt lgkmcnt(0)
	v_add_f32_e32 v8, v10, v11
	s_and_saveexec_b64 s[6:7], s[0:1]
	s_cbranch_execz .LBB258_9
; %bb.8:
	v_cmp_eq_u32_e32 vcc, 1, v0
	v_cndmask_b32_e32 v10, v7, v8, vcc
	v_cmp_eq_u32_e32 vcc, 2, v0
	v_cndmask_b32_e32 v10, v10, v21, vcc
	;; [unrolled: 2-line block ×5, first 2 shown]
	global_store_dword v3, v10, s[4:5]
.LBB258_9:
	s_or_b64 exec, exec, s[6:7]
	ds_read2st64_b32 v[10:11], v3 offset0:2 offset1:3
	s_waitcnt lgkmcnt(0)
	v_add_f32_e32 v10, v10, v21
	v_add_f32_e32 v11, v11, v20
	ds_bpermute_b32 v12, v1, v10
	ds_bpermute_b32 v13, v1, v11
	s_waitcnt lgkmcnt(1)
	v_add_f32_e32 v10, v10, v12
	s_waitcnt lgkmcnt(0)
	v_add_f32_e32 v11, v11, v13
	ds_bpermute_b32 v12, v2, v10
	ds_bpermute_b32 v13, v2, v11
	s_waitcnt lgkmcnt(1)
	v_add_f32_e32 v10, v10, v12
	s_waitcnt lgkmcnt(0)
	;; [unrolled: 6-line block ×6, first 2 shown]
	v_add_f32_e32 v10, v12, v13
	s_and_saveexec_b64 s[6:7], s[0:1]
	s_cbranch_execz .LBB258_11
; %bb.10:
	v_add_u32_e32 v12, 2, v0
	v_cmp_eq_u32_e32 vcc, 1, v12
	v_cndmask_b32_e32 v13, v7, v8, vcc
	v_cmp_eq_u32_e32 vcc, 2, v12
	v_cndmask_b32_e32 v13, v13, v11, vcc
	;; [unrolled: 2-line block ×5, first 2 shown]
	v_add_u32_e32 v12, s2, v0
	v_mov_b32_e32 v13, 0
	v_lshlrev_b64 v[12:13], 2, v[12:13]
	v_mov_b32_e32 v15, s5
	v_add_co_u32_e32 v12, vcc, s4, v12
	v_addc_co_u32_e32 v13, vcc, v15, v13, vcc
	global_store_dword v[12:13], v14, off
.LBB258_11:
	s_or_b64 exec, exec, s[6:7]
	ds_read2st64_b32 v[12:13], v3 offset0:4 offset1:5
	s_waitcnt lgkmcnt(0)
	v_add_f32_e32 v3, v12, v19
	v_add_f32_e32 v12, v13, v18
	ds_bpermute_b32 v13, v1, v3
	ds_bpermute_b32 v1, v1, v12
	s_waitcnt lgkmcnt(1)
	v_add_f32_e32 v3, v3, v13
	s_waitcnt lgkmcnt(0)
	v_add_f32_e32 v1, v12, v1
	ds_bpermute_b32 v12, v2, v3
	ds_bpermute_b32 v2, v2, v1
	s_waitcnt lgkmcnt(1)
	v_add_f32_e32 v3, v3, v12
	s_waitcnt lgkmcnt(0)
	;; [unrolled: 6-line block ×5, first 2 shown]
	v_add_f32_e32 v2, v3, v4
	ds_bpermute_b32 v3, v9, v1
	ds_bpermute_b32 v4, v9, v2
	s_and_b64 exec, exec, s[0:1]
	s_cbranch_execz .LBB258_13
; %bb.12:
	s_waitcnt lgkmcnt(1)
	v_add_f32_e32 v1, v1, v3
	v_add_u32_e32 v3, 4, v0
	v_cmp_eq_u32_e32 vcc, 1, v3
	s_waitcnt lgkmcnt(0)
	v_add_f32_e32 v2, v2, v4
	v_cndmask_b32_e32 v4, v7, v8, vcc
	v_cmp_eq_u32_e32 vcc, 2, v3
	v_cndmask_b32_e32 v4, v4, v11, vcc
	v_cmp_eq_u32_e32 vcc, 3, v3
	;; [unrolled: 2-line block ×4, first 2 shown]
	v_cndmask_b32_e32 v2, v1, v2, vcc
	v_lshl_or_b32 v0, s2, 1, v0
	v_mov_b32_e32 v1, 0
	v_lshlrev_b64 v[0:1], 2, v[0:1]
	v_mov_b32_e32 v3, s5
	v_add_co_u32_e32 v0, vcc, s4, v0
	v_addc_co_u32_e32 v1, vcc, v3, v1, vcc
	global_store_dword v[0:1], v2, off
.LBB258_13:
	s_endpgm
	.section	.rodata,"a",@progbits
	.p2align	6, 0x0
	.amdhsa_kernel _ZL13mul_mat_vec_qIL9ggml_type21ELi3ELb0ELb0EEvPKvS2_PKi31ggml_cuda_mm_fusion_args_devicePfj15HIP_vector_typeIjLj3EEjjjS8_jjjS8_jjjj
		.amdhsa_group_segment_fixed_size 1536
		.amdhsa_private_segment_fixed_size 0
		.amdhsa_kernarg_size 144
		.amdhsa_user_sgpr_count 6
		.amdhsa_user_sgpr_private_segment_buffer 1
		.amdhsa_user_sgpr_dispatch_ptr 0
		.amdhsa_user_sgpr_queue_ptr 0
		.amdhsa_user_sgpr_kernarg_segment_ptr 1
		.amdhsa_user_sgpr_dispatch_id 0
		.amdhsa_user_sgpr_flat_scratch_init 0
		.amdhsa_user_sgpr_private_segment_size 0
		.amdhsa_uses_dynamic_stack 0
		.amdhsa_system_sgpr_private_segment_wavefront_offset 0
		.amdhsa_system_sgpr_workgroup_id_x 1
		.amdhsa_system_sgpr_workgroup_id_y 1
		.amdhsa_system_sgpr_workgroup_id_z 1
		.amdhsa_system_sgpr_workgroup_info 0
		.amdhsa_system_vgpr_workitem_id 1
		.amdhsa_next_free_vgpr 63
		.amdhsa_next_free_sgpr 26
		.amdhsa_reserve_vcc 1
		.amdhsa_reserve_flat_scratch 0
		.amdhsa_float_round_mode_32 0
		.amdhsa_float_round_mode_16_64 0
		.amdhsa_float_denorm_mode_32 3
		.amdhsa_float_denorm_mode_16_64 3
		.amdhsa_dx10_clamp 1
		.amdhsa_ieee_mode 1
		.amdhsa_fp16_overflow 0
		.amdhsa_exception_fp_ieee_invalid_op 0
		.amdhsa_exception_fp_denorm_src 0
		.amdhsa_exception_fp_ieee_div_zero 0
		.amdhsa_exception_fp_ieee_overflow 0
		.amdhsa_exception_fp_ieee_underflow 0
		.amdhsa_exception_fp_ieee_inexact 0
		.amdhsa_exception_int_div_zero 0
	.end_amdhsa_kernel
	.section	.text._ZL13mul_mat_vec_qIL9ggml_type21ELi3ELb0ELb0EEvPKvS2_PKi31ggml_cuda_mm_fusion_args_devicePfj15HIP_vector_typeIjLj3EEjjjS8_jjjS8_jjjj,"axG",@progbits,_ZL13mul_mat_vec_qIL9ggml_type21ELi3ELb0ELb0EEvPKvS2_PKi31ggml_cuda_mm_fusion_args_devicePfj15HIP_vector_typeIjLj3EEjjjS8_jjjS8_jjjj,comdat
.Lfunc_end258:
	.size	_ZL13mul_mat_vec_qIL9ggml_type21ELi3ELb0ELb0EEvPKvS2_PKi31ggml_cuda_mm_fusion_args_devicePfj15HIP_vector_typeIjLj3EEjjjS8_jjjS8_jjjj, .Lfunc_end258-_ZL13mul_mat_vec_qIL9ggml_type21ELi3ELb0ELb0EEvPKvS2_PKi31ggml_cuda_mm_fusion_args_devicePfj15HIP_vector_typeIjLj3EEjjjS8_jjjS8_jjjj
                                        ; -- End function
	.set _ZL13mul_mat_vec_qIL9ggml_type21ELi3ELb0ELb0EEvPKvS2_PKi31ggml_cuda_mm_fusion_args_devicePfj15HIP_vector_typeIjLj3EEjjjS8_jjjS8_jjjj.num_vgpr, 63
	.set _ZL13mul_mat_vec_qIL9ggml_type21ELi3ELb0ELb0EEvPKvS2_PKi31ggml_cuda_mm_fusion_args_devicePfj15HIP_vector_typeIjLj3EEjjjS8_jjjS8_jjjj.num_agpr, 0
	.set _ZL13mul_mat_vec_qIL9ggml_type21ELi3ELb0ELb0EEvPKvS2_PKi31ggml_cuda_mm_fusion_args_devicePfj15HIP_vector_typeIjLj3EEjjjS8_jjjS8_jjjj.numbered_sgpr, 26
	.set _ZL13mul_mat_vec_qIL9ggml_type21ELi3ELb0ELb0EEvPKvS2_PKi31ggml_cuda_mm_fusion_args_devicePfj15HIP_vector_typeIjLj3EEjjjS8_jjjS8_jjjj.num_named_barrier, 0
	.set _ZL13mul_mat_vec_qIL9ggml_type21ELi3ELb0ELb0EEvPKvS2_PKi31ggml_cuda_mm_fusion_args_devicePfj15HIP_vector_typeIjLj3EEjjjS8_jjjS8_jjjj.private_seg_size, 0
	.set _ZL13mul_mat_vec_qIL9ggml_type21ELi3ELb0ELb0EEvPKvS2_PKi31ggml_cuda_mm_fusion_args_devicePfj15HIP_vector_typeIjLj3EEjjjS8_jjjS8_jjjj.uses_vcc, 1
	.set _ZL13mul_mat_vec_qIL9ggml_type21ELi3ELb0ELb0EEvPKvS2_PKi31ggml_cuda_mm_fusion_args_devicePfj15HIP_vector_typeIjLj3EEjjjS8_jjjS8_jjjj.uses_flat_scratch, 0
	.set _ZL13mul_mat_vec_qIL9ggml_type21ELi3ELb0ELb0EEvPKvS2_PKi31ggml_cuda_mm_fusion_args_devicePfj15HIP_vector_typeIjLj3EEjjjS8_jjjS8_jjjj.has_dyn_sized_stack, 0
	.set _ZL13mul_mat_vec_qIL9ggml_type21ELi3ELb0ELb0EEvPKvS2_PKi31ggml_cuda_mm_fusion_args_devicePfj15HIP_vector_typeIjLj3EEjjjS8_jjjS8_jjjj.has_recursion, 0
	.set _ZL13mul_mat_vec_qIL9ggml_type21ELi3ELb0ELb0EEvPKvS2_PKi31ggml_cuda_mm_fusion_args_devicePfj15HIP_vector_typeIjLj3EEjjjS8_jjjS8_jjjj.has_indirect_call, 0
	.section	.AMDGPU.csdata,"",@progbits
; Kernel info:
; codeLenInByte = 6300
; TotalNumSgprs: 30
; NumVgprs: 63
; ScratchSize: 0
; MemoryBound: 0
; FloatMode: 240
; IeeeMode: 1
; LDSByteSize: 1536 bytes/workgroup (compile time only)
; SGPRBlocks: 3
; VGPRBlocks: 15
; NumSGPRsForWavesPerEU: 30
; NumVGPRsForWavesPerEU: 63
; Occupancy: 4
; WaveLimiterHint : 0
; COMPUTE_PGM_RSRC2:SCRATCH_EN: 0
; COMPUTE_PGM_RSRC2:USER_SGPR: 6
; COMPUTE_PGM_RSRC2:TRAP_HANDLER: 0
; COMPUTE_PGM_RSRC2:TGID_X_EN: 1
; COMPUTE_PGM_RSRC2:TGID_Y_EN: 1
; COMPUTE_PGM_RSRC2:TGID_Z_EN: 1
; COMPUTE_PGM_RSRC2:TIDIG_COMP_CNT: 1
	.section	.text._ZL13mul_mat_vec_qIL9ggml_type21ELi4ELb0ELb0EEvPKvS2_PKi31ggml_cuda_mm_fusion_args_devicePfj15HIP_vector_typeIjLj3EEjjjS8_jjjS8_jjjj,"axG",@progbits,_ZL13mul_mat_vec_qIL9ggml_type21ELi4ELb0ELb0EEvPKvS2_PKi31ggml_cuda_mm_fusion_args_devicePfj15HIP_vector_typeIjLj3EEjjjS8_jjjS8_jjjj,comdat
	.globl	_ZL13mul_mat_vec_qIL9ggml_type21ELi4ELb0ELb0EEvPKvS2_PKi31ggml_cuda_mm_fusion_args_devicePfj15HIP_vector_typeIjLj3EEjjjS8_jjjS8_jjjj ; -- Begin function _ZL13mul_mat_vec_qIL9ggml_type21ELi4ELb0ELb0EEvPKvS2_PKi31ggml_cuda_mm_fusion_args_devicePfj15HIP_vector_typeIjLj3EEjjjS8_jjjS8_jjjj
	.p2align	8
	.type	_ZL13mul_mat_vec_qIL9ggml_type21ELi4ELb0ELb0EEvPKvS2_PKi31ggml_cuda_mm_fusion_args_devicePfj15HIP_vector_typeIjLj3EEjjjS8_jjjS8_jjjj,@function
_ZL13mul_mat_vec_qIL9ggml_type21ELi4ELb0ELb0EEvPKvS2_PKi31ggml_cuda_mm_fusion_args_devicePfj15HIP_vector_typeIjLj3EEjjjS8_jjjS8_jjjj: ; @_ZL13mul_mat_vec_qIL9ggml_type21ELi4ELb0ELb0EEvPKvS2_PKi31ggml_cuda_mm_fusion_args_devicePfj15HIP_vector_typeIjLj3EEjjjS8_jjjS8_jjjj
; %bb.0:
	s_load_dword s9, s[4:5], 0x40
	s_load_dwordx4 s[0:3], s[4:5], 0x50
	s_load_dword s25, s[4:5], 0x60
	s_load_dwordx4 s[12:15], s[4:5], 0x68
	;; [unrolled: 2-line block ×3, first 2 shown]
	v_lshl_add_u32 v2, v1, 6, v0
	s_waitcnt lgkmcnt(0)
	s_lshr_b32 s9, s9, 8
	v_lshrrev_b32_e32 v27, 3, v2
	v_mov_b32_e32 v20, 0
	s_lshl_b32 s6, s6, 1
	v_cmp_gt_u32_e32 vcc, s9, v27
	v_mov_b32_e32 v21, v20
	v_mov_b32_e32 v22, v20
	;; [unrolled: 1-line block ×7, first 2 shown]
	s_and_saveexec_b64 s[10:11], vcc
	s_cbranch_execz .LBB259_4
; %bb.1:
	s_mul_hi_u32 s3, s3, s7
	s_add_i32 s3, s7, s3
	s_load_dwordx4 s[20:23], s[4:5], 0x0
	s_lshr_b32 s3, s3, s25
	s_mul_i32 s3, s3, s12
	s_mul_hi_u32 s12, s15, s8
	s_add_i32 s12, s8, s12
	s_lshr_b32 s12, s12, s24
	s_mul_i32 s19, s17, s8
	s_mul_i32 s15, s12, s16
	;; [unrolled: 1-line block ×3, first 2 shown]
	s_mul_hi_u32 s12, s19, 36
	s_waitcnt lgkmcnt(0)
	s_add_u32 s16, s22, s16
	s_addc_u32 s17, s23, s12
	s_mul_i32 s12, s13, s7
	s_mul_hi_u32 s13, s12, 36
	s_mul_i32 s12, s12, 36
	s_add_u32 s16, s16, s12
	s_addc_u32 s17, s17, s13
	v_and_b32_e32 v29, 7, v0
	v_mad_u64_u32 v[10:11], s[16:17], v29, 36, s[16:17]
	v_lshlrev_b32_e32 v2, 1, v0
	s_add_i32 s16, s6, 1
	v_and_b32_e32 v5, 14, v2
	s_add_i32 s15, s15, s3
	v_bfe_u32 v30, v2, 2, 2
	s_mul_i32 s3, s6, s0
	s_mul_i32 s0, s0, s16
	v_mov_b32_e32 v2, s12
	s_add_i32 s3, s15, s3
	s_add_i32 s15, s15, s0
	s_movk_i32 s0, 0x120
	v_mov_b32_e32 v3, s13
	v_mad_u64_u32 v[2:3], s[12:13], v27, s0, v[2:3]
	v_lshlrev_b32_e32 v4, 3, v27
	v_add_u32_e32 v32, s1, v4
	v_mad_u64_u32 v[2:3], s[12:13], s19, 36, v[2:3]
	v_mad_u64_u32 v[12:13], s[12:13], s1, 3, v[4:5]
	;; [unrolled: 1-line block ×3, first 2 shown]
	v_lshl_add_u32 v33, s1, 1, v4
	v_mov_b32_e32 v4, s23
	v_add_co_u32_e32 v2, vcc, s22, v2
	v_addc_co_u32_e32 v3, vcc, v4, v3, vcc
	v_lshlrev_b32_e32 v6, 1, v5
	v_add_co_u32_e32 v13, vcc, 16, v2
	v_mov_b32_e32 v15, s20
	v_mov_b32_e32 v28, 0
	v_and_b32_e32 v31, 4, v6
	v_addc_co_u32_e32 v14, vcc, 0, v3, vcc
	s_mov_b64 s[0:1], 0
	s_movk_i32 s16, 0x6e
	v_lshlrev_b32_e32 v34, 1, v6
	v_lshlrev_b32_e32 v35, 1, v5
	s_movk_i32 s17, 0x100
	s_movk_i32 s19, 0xff00
	s_mov_b32 s22, 0xc0c0105
	v_mov_b32_e32 v16, s21
	v_mov_b32_e32 v36, 8
	;; [unrolled: 1-line block ×10, first 2 shown]
.LBB259_2:                              ; =>This Inner Loop Header: Depth=1
	v_add_u32_e32 v17, s3, v27
	v_mad_i64_i32 v[17:18], s[12:13], v17, s16, v[15:16]
	global_load_dword v49, v[13:14], off offset:16
	global_load_dwordx4 v[2:5], v[13:14], off
	global_load_dwordx4 v[6:9], v[13:14], off offset:-16
	s_getpc_b64 s[12:13]
	s_add_u32 s12, s12, _ZL9iq3s_grid@rel32@lo+4
	s_addc_u32 s13, s13, _ZL9iq3s_grid@rel32@hi+12
	v_add_co_u32_e32 v37, vcc, v17, v34
	v_addc_co_u32_e32 v38, vcc, 0, v18, vcc
	global_load_dwordx2 v[41:42], v[37:38], off offset:2
	v_add_co_u32_e32 v37, vcc, v17, v29
	v_addc_co_u32_e32 v38, vcc, 0, v18, vcc
	global_load_ubyte v43, v[37:38], off offset:66
	v_add_co_u32_e32 v37, vcc, v17, v35
	v_addc_co_u32_e32 v38, vcc, 0, v18, vcc
	global_load_dword v44, v[37:38], off offset:74
	s_waitcnt vmcnt(3)
	v_cvt_f32_f16_e32 v48, v6
	s_waitcnt vmcnt(2)
	v_and_b32_e32 v6, 0xff, v41
	s_waitcnt vmcnt(1)
	v_lshlrev_b32_e32 v37, 8, v43
	v_and_or_b32 v6, v37, s17, v6
	v_lshlrev_b32_e32 v6, 2, v6
	global_load_dword v6, v6, s[12:13]
	v_bfe_u32 v37, v41, 8, 8
	v_lshlrev_b32_e32 v38, 7, v43
	v_and_or_b32 v37, v38, s17, v37
	v_lshlrev_b32_e32 v37, 2, v37
	global_load_dword v37, v37, s[12:13]
	s_waitcnt vmcnt(2)
	v_and_b32_e32 v38, 0xff, v44
	v_lshlrev_b32_e32 v39, 21, v44
	v_lshl_or_b32 v39, v38, 7, v39
	v_and_b32_e32 v45, 0x1800180, v39
	v_bfe_u32 v39, v39, 24, 1
	v_cmp_ne_u16_e32 vcc, 0, v39
	v_cmp_ne_u16_sdwa s[20:21], v45, v28 src0_sel:BYTE_1 src1_sel:DWORD
	v_lshrrev_b16_e32 v39, 7, v45
	v_lshrrev_b32_e32 v45, 2, v44
	v_cndmask_b32_e64 v46, 0, -1, s[20:21]
	v_cndmask_b32_e64 v50, 0, -1, vcc
	v_bfe_i32 v39, v39, 0, 1
	v_lshlrev_b16_e32 v46, 8, v46
	v_lshlrev_b16_e32 v50, 8, v50
	v_bfe_i32 v45, v45, 0, 1
	v_or_b32_sdwa v47, v39, v46 dst_sel:DWORD dst_unused:UNUSED_PAD src0_sel:BYTE_0 src1_sel:DWORD
	v_or_b32_sdwa v51, v45, v50 dst_sel:WORD_1 dst_unused:UNUSED_PAD src0_sel:BYTE_0 src1_sel:DWORD
	v_or_b32_sdwa v47, v47, v51 dst_sel:DWORD dst_unused:UNUSED_PAD src0_sel:WORD_0 src1_sel:DWORD
	v_lshlrev_b32_e32 v51, 17, v44
	v_lshl_or_b32 v38, v38, 3, v51
	v_and_b32_e32 v51, 0x1800180, v38
	v_bfe_u32 v38, v38, 24, 1
	v_cmp_ne_u16_e32 vcc, 0, v38
	v_cmp_ne_u16_sdwa s[20:21], v51, v28 src0_sel:BYTE_1 src1_sel:DWORD
	v_lshrrev_b16_e32 v38, 7, v51
	v_lshrrev_b32_e32 v51, 6, v44
	v_cndmask_b32_e64 v52, 0, -1, s[20:21]
	v_cndmask_b32_e64 v54, 0, -1, vcc
	v_lshlrev_b16_e32 v39, 8, v39
	v_bfe_i32 v38, v38, 0, 1
	v_lshlrev_b16_e32 v52, 8, v52
	v_lshlrev_b16_e32 v54, 8, v54
	v_bfe_i32 v51, v51, 0, 1
	v_or_b32_sdwa v53, v38, v52 dst_sel:DWORD dst_unused:UNUSED_PAD src0_sel:BYTE_0 src1_sel:DWORD
	v_or_b32_sdwa v55, v51, v54 dst_sel:WORD_1 dst_unused:UNUSED_PAD src0_sel:BYTE_0 src1_sel:DWORD
	v_lshlrev_b16_e32 v45, 8, v45
	v_or_b32_sdwa v53, v53, v55 dst_sel:DWORD dst_unused:UNUSED_PAD src0_sel:WORD_0 src1_sel:DWORD
	v_lshlrev_b16_e32 v38, 8, v38
	v_lshrrev_b32_e32 v40, 16, v44
	s_waitcnt vmcnt(1)
	v_xor_b32_e32 v6, v6, v47
	v_and_b32_e32 v47, 0xffffff00, v6
	v_sub_i16 v46, v47, v46 clamp
	v_lshlrev_b16_e32 v47, 8, v6
	v_sub_i16 v39, v47, v39 clamp
	v_perm_b32 v39, v39, v46, s22
	v_and_b32_sdwa v46, v6, s19 dst_sel:DWORD dst_unused:UNUSED_PAD src0_sel:WORD_1 src1_sel:DWORD
	v_lshlrev_b16_sdwa v6, v36, v6 dst_sel:DWORD dst_unused:UNUSED_PAD src0_sel:DWORD src1_sel:WORD_1
	v_sub_i16 v46, v46, v50 clamp
	v_sub_i16 v6, v6, v45 clamp
	v_perm_b32 v6, v6, v46, s22
	s_waitcnt vmcnt(0)
	v_xor_b32_e32 v37, v37, v53
	v_lshl_or_b32 v6, v6, 16, v39
	v_and_b32_e32 v39, 0xffffff00, v37
	v_lshlrev_b16_e32 v45, 8, v37
	v_sub_i16 v39, v39, v52 clamp
	v_sub_i16 v38, v45, v38 clamp
	v_perm_b32 v38, v38, v39, s22
	v_and_b32_sdwa v39, v37, s19 dst_sel:DWORD dst_unused:UNUSED_PAD src0_sel:WORD_1 src1_sel:DWORD
	v_lshlrev_b16_sdwa v37, v36, v37 dst_sel:DWORD dst_unused:UNUSED_PAD src0_sel:DWORD src1_sel:WORD_1
	v_lshlrev_b16_e32 v45, 8, v51
	v_sub_i16 v39, v39, v54 clamp
	v_sub_i16 v37, v37, v45 clamp
	v_perm_b32 v37, v37, v39, s22
	v_lshl_or_b32 v37, v37, 16, v38
	v_dot4_i32_i8 v38, v6, v7, 0
	v_dot4_i32_i8 v45, v37, v8, v38
	v_bfe_u32 v38, v41, 16, 8
	v_lshlrev_b32_e32 v39, 6, v43
	v_and_or_b32 v38, v39, s17, v38
	v_lshlrev_b32_e32 v38, 2, v38
	global_load_dword v38, v38, s[12:13]
	v_lshrrev_b32_e32 v39, 24, v41
	v_lshlrev_b32_e32 v41, 5, v43
	v_and_or_b32 v39, v41, s17, v39
	v_lshlrev_b32_e32 v39, 2, v39
	global_load_dword v39, v39, s[12:13]
	v_lshrrev_b32_e32 v41, 1, v44
	v_and_b32_e32 v41, 0x180, v41
	v_lshrrev_b32_e32 v46, 11, v44
	v_cmp_ne_u16_sdwa s[20:21], v41, v28 src0_sel:BYTE_1 src1_sel:DWORD
	v_lshrrev_b32_e32 v47, 10, v44
	v_lshrrev_b16_e32 v41, 7, v41
	v_cndmask_b32_e64 v50, 0, -1, s[20:21]
	v_bfe_i32 v46, v46, 0, 1
	v_bfe_i32 v41, v41, 0, 1
	v_lshlrev_b16_e32 v50, 8, v50
	v_lshlrev_b16_e32 v46, 8, v46
	v_bfe_i32 v47, v47, 0, 1
	v_or_b32_sdwa v51, v41, v50 dst_sel:DWORD dst_unused:UNUSED_PAD src0_sel:BYTE_0 src1_sel:DWORD
	v_or_b32_sdwa v52, v47, v46 dst_sel:WORD_1 dst_unused:UNUSED_PAD src0_sel:BYTE_0 src1_sel:DWORD
	v_or_b32_sdwa v51, v51, v52 dst_sel:DWORD dst_unused:UNUSED_PAD src0_sel:WORD_0 src1_sel:DWORD
	v_lshrrev_b32_e32 v52, 5, v44
	v_and_b32_e32 v52, 0x180, v52
	v_lshrrev_b32_e32 v53, 15, v44
	v_cmp_ne_u16_sdwa s[20:21], v52, v28 src0_sel:BYTE_1 src1_sel:DWORD
	v_lshrrev_b32_e32 v54, 14, v44
	v_lshrrev_b16_e32 v52, 7, v52
	v_cndmask_b32_e64 v55, 0, -1, s[20:21]
	v_bfe_i32 v53, v53, 0, 1
	v_lshlrev_b16_e32 v41, 8, v41
	v_bfe_i32 v52, v52, 0, 1
	v_lshlrev_b16_e32 v55, 8, v55
	v_lshlrev_b16_e32 v53, 8, v53
	v_bfe_i32 v54, v54, 0, 1
	v_or_b32_sdwa v56, v52, v55 dst_sel:DWORD dst_unused:UNUSED_PAD src0_sel:BYTE_0 src1_sel:DWORD
	v_or_b32_sdwa v57, v54, v53 dst_sel:WORD_1 dst_unused:UNUSED_PAD src0_sel:BYTE_0 src1_sel:DWORD
	v_lshlrev_b16_e32 v47, 8, v47
	v_or_b32_sdwa v56, v56, v57 dst_sel:DWORD dst_unused:UNUSED_PAD src0_sel:WORD_0 src1_sel:DWORD
	s_waitcnt vmcnt(1)
	v_xor_b32_e32 v38, v38, v51
	v_and_b32_e32 v51, 0xffffff00, v38
	v_sub_i16 v50, v51, v50 clamp
	v_lshlrev_b16_e32 v51, 8, v38
	v_sub_i16 v41, v51, v41 clamp
	v_perm_b32 v41, v41, v50, s22
	v_and_b32_sdwa v50, v38, s19 dst_sel:DWORD dst_unused:UNUSED_PAD src0_sel:WORD_1 src1_sel:DWORD
	v_lshlrev_b16_sdwa v38, v36, v38 dst_sel:DWORD dst_unused:UNUSED_PAD src0_sel:DWORD src1_sel:WORD_1
	v_sub_i16 v46, v50, v46 clamp
	v_sub_i16 v38, v38, v47 clamp
	v_perm_b32 v38, v38, v46, s22
	s_waitcnt vmcnt(0)
	v_xor_b32_e32 v39, v39, v56
	v_lshl_or_b32 v38, v38, 16, v41
	v_and_b32_e32 v41, 0xffffff00, v39
	v_lshlrev_b16_e32 v46, 8, v39
	v_lshlrev_b16_e32 v47, 8, v52
	v_sub_i16 v41, v41, v55 clamp
	v_sub_i16 v46, v46, v47 clamp
	v_perm_b32 v41, v46, v41, s22
	v_and_b32_sdwa v46, v39, s19 dst_sel:DWORD dst_unused:UNUSED_PAD src0_sel:WORD_1 src1_sel:DWORD
	v_lshlrev_b16_sdwa v39, v36, v39 dst_sel:DWORD dst_unused:UNUSED_PAD src0_sel:DWORD src1_sel:WORD_1
	v_lshlrev_b16_e32 v47, 8, v54
	v_sub_i16 v46, v46, v53 clamp
	v_sub_i16 v39, v39, v47 clamp
	v_perm_b32 v39, v39, v46, s22
	v_lshl_or_b32 v39, v39, 16, v41
	v_dot4_i32_i8 v41, v38, v9, v45
	v_dot4_i32_i8 v45, v39, v2, v41
	v_and_b32_e32 v41, 0xff, v42
	v_lshlrev_b32_e32 v46, 4, v43
	v_and_or_b32 v41, v46, s17, v41
	v_lshlrev_b32_e32 v41, 2, v41
	global_load_dword v41, v41, s[12:13]
	v_bfe_u32 v46, v42, 8, 8
	v_lshlrev_b32_e32 v47, 3, v43
	v_and_or_b32 v46, v47, s17, v46
	v_lshlrev_b32_e32 v46, 2, v46
	global_load_dword v46, v46, s[12:13]
	v_lshrrev_b32_e32 v47, 9, v44
	v_lshl_or_b32 v47, v40, 21, v47
	v_and_b32_e32 v50, 0x1800180, v47
	v_bfe_u32 v47, v47, 24, 1
	v_cmp_ne_u16_e32 vcc, 0, v47
	v_cmp_ne_u16_sdwa s[20:21], v50, v28 src0_sel:BYTE_1 src1_sel:DWORD
	v_lshrrev_b16_e32 v47, 7, v50
	v_lshrrev_b32_e32 v50, 18, v44
	v_cndmask_b32_e64 v51, 0, -1, s[20:21]
	v_cndmask_b32_e64 v53, 0, -1, vcc
	v_bfe_i32 v47, v47, 0, 1
	v_lshlrev_b16_e32 v51, 8, v51
	v_lshlrev_b16_e32 v53, 8, v53
	v_bfe_i32 v50, v50, 0, 1
	v_or_b32_sdwa v52, v47, v51 dst_sel:DWORD dst_unused:UNUSED_PAD src0_sel:BYTE_0 src1_sel:DWORD
	v_or_b32_sdwa v54, v50, v53 dst_sel:WORD_1 dst_unused:UNUSED_PAD src0_sel:BYTE_0 src1_sel:DWORD
	v_or_b32_sdwa v52, v52, v54 dst_sel:DWORD dst_unused:UNUSED_PAD src0_sel:WORD_0 src1_sel:DWORD
	v_lshrrev_b32_e32 v54, 13, v44
	v_lshl_or_b32 v40, v40, 17, v54
	v_and_b32_e32 v54, 0x1800180, v40
	v_bfe_u32 v40, v40, 24, 1
	v_cmp_ne_u16_e32 vcc, 0, v40
	v_cmp_ne_u16_sdwa s[20:21], v54, v28 src0_sel:BYTE_1 src1_sel:DWORD
	v_lshrrev_b16_e32 v40, 7, v54
	v_lshrrev_b32_e32 v54, 22, v44
	v_bfe_i32 v55, v40, 0, 1
	v_cndmask_b32_e64 v40, 0, -1, s[20:21]
	v_cndmask_b32_e64 v57, 0, -1, vcc
	v_lshlrev_b16_e32 v56, 8, v40
	v_lshlrev_b16_e32 v57, 8, v57
	v_bfe_i32 v54, v54, 0, 1
	v_or_b32_sdwa v40, v55, v56 dst_sel:DWORD dst_unused:UNUSED_PAD src0_sel:BYTE_0 src1_sel:DWORD
	v_or_b32_sdwa v58, v54, v57 dst_sel:WORD_1 dst_unused:UNUSED_PAD src0_sel:BYTE_0 src1_sel:DWORD
	v_or_b32_sdwa v58, v40, v58 dst_sel:DWORD dst_unused:UNUSED_PAD src0_sel:WORD_0 src1_sel:DWORD
	v_lshlrev_b16_e32 v47, 8, v47
	v_lshlrev_b16_e32 v50, 8, v50
	s_waitcnt vmcnt(1)
	v_xor_b32_e32 v40, v41, v52
	v_and_b32_e32 v41, 0xffffff00, v40
	v_sub_i16 v41, v41, v51 clamp
	v_lshlrev_b16_e32 v51, 8, v40
	v_sub_i16 v47, v51, v47 clamp
	v_perm_b32 v41, v47, v41, s22
	v_and_b32_sdwa v47, v40, s19 dst_sel:DWORD dst_unused:UNUSED_PAD src0_sel:WORD_1 src1_sel:DWORD
	v_lshlrev_b16_sdwa v40, v36, v40 dst_sel:DWORD dst_unused:UNUSED_PAD src0_sel:DWORD src1_sel:WORD_1
	v_sub_i16 v47, v47, v53 clamp
	v_sub_i16 v40, v40, v50 clamp
	v_perm_b32 v40, v40, v47, s22
	v_lshl_or_b32 v40, v40, 16, v41
	s_waitcnt vmcnt(0)
	v_xor_b32_e32 v41, v46, v58
	v_and_b32_e32 v46, 0xffffff00, v41
	v_lshlrev_b16_e32 v47, 8, v41
	v_lshlrev_b16_e32 v50, 8, v55
	v_sub_i16 v46, v46, v56 clamp
	v_sub_i16 v47, v47, v50 clamp
	v_perm_b32 v46, v47, v46, s22
	v_and_b32_sdwa v47, v41, s19 dst_sel:DWORD dst_unused:UNUSED_PAD src0_sel:WORD_1 src1_sel:DWORD
	v_lshlrev_b16_sdwa v41, v36, v41 dst_sel:DWORD dst_unused:UNUSED_PAD src0_sel:DWORD src1_sel:WORD_1
	v_lshlrev_b16_e32 v50, 8, v54
	v_sub_i16 v47, v47, v57 clamp
	v_sub_i16 v41, v41, v50 clamp
	v_perm_b32 v41, v41, v47, s22
	v_lshl_or_b32 v41, v41, 16, v46
	v_bfe_u32 v46, v42, 16, 8
	v_lshlrev_b32_e32 v47, 2, v43
	v_and_or_b32 v46, v47, s17, v46
	v_lshlrev_b32_e32 v46, 2, v46
	global_load_dword v46, v46, s[12:13]
	v_lshrrev_b32_e32 v42, 24, v42
	v_lshlrev_b32_e32 v43, 1, v43
	v_and_or_b32 v42, v43, s17, v42
	v_lshlrev_b32_e32 v42, 2, v42
	global_load_dword v42, v42, s[12:13]
	v_lshrrev_b32_e32 v43, 17, v44
	v_lshrrev_b32_e32 v47, 24, v44
	v_lshl_or_b32 v43, v47, 21, v43
	v_and_b32_e32 v47, 0x1800180, v43
	v_bfe_u32 v43, v43, 24, 1
	v_cmp_ne_u16_e32 vcc, 0, v43
	v_cmp_ne_u16_sdwa s[20:21], v47, v28 src0_sel:BYTE_1 src1_sel:DWORD
	v_lshrrev_b16_e32 v43, 7, v47
	v_lshrrev_b32_e32 v47, 26, v44
	v_cndmask_b32_e64 v50, 0, -1, s[20:21]
	v_cndmask_b32_e64 v52, 0, -1, vcc
	v_bfe_i32 v43, v43, 0, 1
	v_lshlrev_b16_e32 v50, 8, v50
	v_lshlrev_b16_e32 v52, 8, v52
	v_bfe_i32 v47, v47, 0, 1
	v_or_b32_sdwa v51, v43, v50 dst_sel:DWORD dst_unused:UNUSED_PAD src0_sel:BYTE_0 src1_sel:DWORD
	v_or_b32_sdwa v53, v47, v52 dst_sel:WORD_1 dst_unused:UNUSED_PAD src0_sel:BYTE_0 src1_sel:DWORD
	v_or_b32_sdwa v51, v51, v53 dst_sel:DWORD dst_unused:UNUSED_PAD src0_sel:WORD_0 src1_sel:DWORD
	v_lshrrev_b32_e32 v53, 21, v44
	v_lshrrev_b32_e32 v55, 31, v44
	v_lshrrev_b16_e32 v54, 8, v53
	v_cmp_ne_u16_e32 vcc, 0, v55
	v_lshrrev_b32_e32 v44, 30, v44
	v_lshrrev_b16_e32 v53, 7, v53
	v_bfe_i32 v54, v54, 0, 1
	v_cndmask_b32_e64 v56, 0, -1, vcc
	v_lshlrev_b16_e32 v43, 8, v43
	v_lshlrev_b16_e32 v54, 8, v54
	v_bfe_i32 v53, v53, 0, 1
	v_bfe_i32 v44, v44, 0, 1
	v_lshlrev_b16_e32 v56, 8, v56
	v_or_b32_sdwa v55, v53, v54 dst_sel:DWORD dst_unused:UNUSED_PAD src0_sel:BYTE_0 src1_sel:DWORD
	v_or_b32_sdwa v57, v44, v56 dst_sel:WORD_1 dst_unused:UNUSED_PAD src0_sel:BYTE_0 src1_sel:DWORD
	v_lshlrev_b16_e32 v47, 8, v47
	v_or_b32_sdwa v55, v55, v57 dst_sel:DWORD dst_unused:UNUSED_PAD src0_sel:WORD_0 src1_sel:DWORD
	v_lshlrev_b16_e32 v44, 8, v44
	v_dot4_i32_i8 v45, v40, v3, v45
	v_dot4_i32_i8 v45, v41, v4, v45
	s_waitcnt vmcnt(1)
	v_xor_b32_e32 v46, v46, v51
	v_and_b32_e32 v51, 0xffffff00, v46
	v_sub_i16 v50, v51, v50 clamp
	v_lshlrev_b16_e32 v51, 8, v46
	v_sub_i16 v43, v51, v43 clamp
	v_perm_b32 v43, v43, v50, s22
	v_and_b32_sdwa v50, v46, s19 dst_sel:DWORD dst_unused:UNUSED_PAD src0_sel:WORD_1 src1_sel:DWORD
	v_lshlrev_b16_sdwa v46, v36, v46 dst_sel:DWORD dst_unused:UNUSED_PAD src0_sel:DWORD src1_sel:WORD_1
	v_sub_i16 v50, v50, v52 clamp
	v_sub_i16 v46, v46, v47 clamp
	v_perm_b32 v46, v46, v50, s22
	s_waitcnt vmcnt(0)
	v_xor_b32_e32 v42, v42, v55
	v_lshl_or_b32 v43, v46, 16, v43
	v_and_b32_e32 v46, 0xffffff00, v42
	v_lshlrev_b16_e32 v47, 8, v42
	v_lshlrev_b16_e32 v50, 8, v53
	v_sub_i16 v46, v46, v54 clamp
	v_sub_i16 v47, v47, v50 clamp
	v_perm_b32 v46, v47, v46, s22
	v_and_b32_sdwa v47, v42, s19 dst_sel:DWORD dst_unused:UNUSED_PAD src0_sel:WORD_1 src1_sel:DWORD
	v_lshlrev_b16_sdwa v42, v36, v42 dst_sel:DWORD dst_unused:UNUSED_PAD src0_sel:DWORD src1_sel:WORD_1
	v_sub_i16 v47, v47, v56 clamp
	v_sub_i16 v42, v42, v44 clamp
	v_perm_b32 v42, v42, v47, s22
	v_lshl_or_b32 v44, v42, 16, v46
	v_dot4_i32_i8 v42, v43, v5, v45
	v_add_co_u32_e32 v45, vcc, v17, v30
	v_addc_co_u32_e32 v46, vcc, 0, v18, vcc
	global_load_ubyte v45, v[45:46], off offset:106
	v_dot4_i32_i8 v42, v44, v49, v42
	global_load_ushort v17, v[17:18], off
	s_waitcnt vmcnt(1)
	v_lshrrev_b32_e32 v45, v31, v45
	v_lshlrev_b32_e32 v45, 1, v45
	v_and_or_b32 v45, v45, 30, 1
	v_mul_lo_u32 v46, v42, v45
	s_waitcnt vmcnt(0)
	v_cvt_f32_f16_e32 v42, v17
	v_cvt_f32_i32_e32 v18, v46
	v_mul_f32_e32 v17, v42, v48
	v_fmac_f32_e32 v26, v17, v18
	v_add_u32_e32 v17, s15, v27
	v_mad_i64_i32 v[17:18], s[20:21], v17, s16, v[15:16]
	v_add_u32_e32 v27, 16, v27
	v_add_co_u32_e32 v46, vcc, v17, v34
	v_addc_co_u32_e32 v47, vcc, 0, v18, vcc
	global_load_dwordx2 v[50:51], v[46:47], off offset:2
	v_add_co_u32_e32 v46, vcc, v17, v29
	v_addc_co_u32_e32 v47, vcc, 0, v18, vcc
	global_load_ubyte v52, v[46:47], off offset:66
	v_add_co_u32_e32 v46, vcc, v17, v35
	v_addc_co_u32_e32 v47, vcc, 0, v18, vcc
	global_load_dword v53, v[46:47], off offset:74
	s_waitcnt vmcnt(2)
	v_and_b32_e32 v46, 0xff, v50
	s_waitcnt vmcnt(1)
	v_lshlrev_b32_e32 v47, 8, v52
	v_and_or_b32 v46, v47, s17, v46
	v_lshlrev_b32_e32 v46, 2, v46
	global_load_dword v46, v46, s[12:13]
	v_bfe_u32 v47, v50, 8, 8
	v_lshlrev_b32_e32 v55, 7, v52
	v_and_or_b32 v47, v55, s17, v47
	v_lshlrev_b32_e32 v47, 2, v47
	global_load_dword v47, v47, s[12:13]
	s_waitcnt vmcnt(2)
	v_and_b32_e32 v55, 0xff, v53
	v_lshlrev_b32_e32 v56, 21, v53
	v_lshl_or_b32 v56, v55, 7, v56
	v_and_b32_e32 v57, 0x1800180, v56
	v_bfe_u32 v56, v56, 24, 1
	v_cmp_ne_u16_e32 vcc, 0, v56
	v_cmp_ne_u16_sdwa s[20:21], v57, v28 src0_sel:BYTE_1 src1_sel:DWORD
	v_lshrrev_b16_e32 v56, 7, v57
	v_lshrrev_b32_e32 v57, 2, v53
	v_cndmask_b32_e64 v58, 0, -1, s[20:21]
	v_cndmask_b32_e64 v60, 0, -1, vcc
	v_bfe_i32 v56, v56, 0, 1
	v_lshlrev_b16_e32 v58, 8, v58
	v_lshlrev_b16_e32 v60, 8, v60
	v_bfe_i32 v57, v57, 0, 1
	v_or_b32_sdwa v59, v56, v58 dst_sel:DWORD dst_unused:UNUSED_PAD src0_sel:BYTE_0 src1_sel:DWORD
	v_or_b32_sdwa v61, v57, v60 dst_sel:WORD_1 dst_unused:UNUSED_PAD src0_sel:BYTE_0 src1_sel:DWORD
	v_or_b32_sdwa v59, v59, v61 dst_sel:DWORD dst_unused:UNUSED_PAD src0_sel:WORD_0 src1_sel:DWORD
	v_lshlrev_b32_e32 v61, 17, v53
	v_lshl_or_b32 v55, v55, 3, v61
	v_and_b32_e32 v61, 0x1800180, v55
	v_bfe_u32 v55, v55, 24, 1
	v_cmp_ne_u16_e32 vcc, 0, v55
	v_cmp_ne_u16_sdwa s[20:21], v61, v28 src0_sel:BYTE_1 src1_sel:DWORD
	v_lshrrev_b16_e32 v55, 7, v61
	v_lshrrev_b32_e32 v61, 6, v53
	v_cndmask_b32_e64 v62, 0, -1, s[20:21]
	v_cndmask_b32_e64 v64, 0, -1, vcc
	v_lshlrev_b16_e32 v56, 8, v56
	v_bfe_i32 v55, v55, 0, 1
	v_lshlrev_b16_e32 v62, 8, v62
	v_lshlrev_b16_e32 v64, 8, v64
	v_bfe_i32 v61, v61, 0, 1
	v_or_b32_sdwa v63, v55, v62 dst_sel:DWORD dst_unused:UNUSED_PAD src0_sel:BYTE_0 src1_sel:DWORD
	v_or_b32_sdwa v65, v61, v64 dst_sel:WORD_1 dst_unused:UNUSED_PAD src0_sel:BYTE_0 src1_sel:DWORD
	v_lshlrev_b16_e32 v57, 8, v57
	v_or_b32_sdwa v63, v63, v65 dst_sel:DWORD dst_unused:UNUSED_PAD src0_sel:WORD_0 src1_sel:DWORD
	v_lshlrev_b16_e32 v55, 8, v55
	v_lshrrev_b32_e32 v54, 16, v53
	s_waitcnt vmcnt(1)
	v_xor_b32_e32 v46, v46, v59
	v_and_b32_e32 v59, 0xffffff00, v46
	v_sub_i16 v58, v59, v58 clamp
	v_lshlrev_b16_e32 v59, 8, v46
	v_sub_i16 v56, v59, v56 clamp
	v_perm_b32 v56, v56, v58, s22
	v_and_b32_sdwa v58, v46, s19 dst_sel:DWORD dst_unused:UNUSED_PAD src0_sel:WORD_1 src1_sel:DWORD
	v_lshlrev_b16_sdwa v46, v36, v46 dst_sel:DWORD dst_unused:UNUSED_PAD src0_sel:DWORD src1_sel:WORD_1
	v_sub_i16 v58, v58, v60 clamp
	v_sub_i16 v46, v46, v57 clamp
	v_perm_b32 v46, v46, v58, s22
	s_waitcnt vmcnt(0)
	v_xor_b32_e32 v47, v47, v63
	v_lshl_or_b32 v46, v46, 16, v56
	v_and_b32_e32 v56, 0xffffff00, v47
	v_lshlrev_b16_e32 v57, 8, v47
	v_sub_i16 v56, v56, v62 clamp
	v_sub_i16 v55, v57, v55 clamp
	v_perm_b32 v55, v55, v56, s22
	v_and_b32_sdwa v56, v47, s19 dst_sel:DWORD dst_unused:UNUSED_PAD src0_sel:WORD_1 src1_sel:DWORD
	v_lshlrev_b16_sdwa v47, v36, v47 dst_sel:DWORD dst_unused:UNUSED_PAD src0_sel:DWORD src1_sel:WORD_1
	v_lshlrev_b16_e32 v57, 8, v61
	v_sub_i16 v56, v56, v64 clamp
	v_sub_i16 v47, v47, v57 clamp
	v_perm_b32 v47, v47, v56, s22
	v_lshl_or_b32 v47, v47, 16, v55
	v_dot4_i32_i8 v7, v46, v7, 0
	v_dot4_i32_i8 v55, v47, v8, v7
	v_bfe_u32 v7, v50, 16, 8
	v_lshlrev_b32_e32 v8, 6, v52
	v_and_or_b32 v7, v8, s17, v7
	v_lshlrev_b32_e32 v7, 2, v7
	global_load_dword v7, v7, s[12:13]
	v_lshrrev_b32_e32 v8, 24, v50
	v_lshlrev_b32_e32 v50, 5, v52
	v_and_or_b32 v8, v50, s17, v8
	v_lshlrev_b32_e32 v8, 2, v8
	global_load_dword v8, v8, s[12:13]
	v_lshrrev_b32_e32 v50, 1, v53
	v_and_b32_e32 v50, 0x180, v50
	v_lshrrev_b32_e32 v56, 11, v53
	v_cmp_ne_u16_sdwa s[20:21], v50, v28 src0_sel:BYTE_1 src1_sel:DWORD
	v_lshrrev_b32_e32 v57, 10, v53
	v_lshrrev_b16_e32 v50, 7, v50
	v_cndmask_b32_e64 v58, 0, -1, s[20:21]
	v_bfe_i32 v56, v56, 0, 1
	v_bfe_i32 v50, v50, 0, 1
	v_lshlrev_b16_e32 v58, 8, v58
	v_lshlrev_b16_e32 v56, 8, v56
	v_bfe_i32 v57, v57, 0, 1
	v_or_b32_sdwa v59, v50, v58 dst_sel:DWORD dst_unused:UNUSED_PAD src0_sel:BYTE_0 src1_sel:DWORD
	v_or_b32_sdwa v60, v57, v56 dst_sel:WORD_1 dst_unused:UNUSED_PAD src0_sel:BYTE_0 src1_sel:DWORD
	v_or_b32_sdwa v59, v59, v60 dst_sel:DWORD dst_unused:UNUSED_PAD src0_sel:WORD_0 src1_sel:DWORD
	v_lshrrev_b32_e32 v60, 5, v53
	v_and_b32_e32 v60, 0x180, v60
	v_lshrrev_b32_e32 v61, 15, v53
	v_cmp_ne_u16_sdwa s[20:21], v60, v28 src0_sel:BYTE_1 src1_sel:DWORD
	v_lshrrev_b32_e32 v62, 14, v53
	v_lshrrev_b16_e32 v60, 7, v60
	v_cndmask_b32_e64 v63, 0, -1, s[20:21]
	v_bfe_i32 v61, v61, 0, 1
	v_lshlrev_b16_e32 v50, 8, v50
	v_bfe_i32 v60, v60, 0, 1
	v_lshlrev_b16_e32 v63, 8, v63
	v_lshlrev_b16_e32 v61, 8, v61
	v_bfe_i32 v62, v62, 0, 1
	v_or_b32_sdwa v64, v60, v63 dst_sel:DWORD dst_unused:UNUSED_PAD src0_sel:BYTE_0 src1_sel:DWORD
	v_or_b32_sdwa v65, v62, v61 dst_sel:WORD_1 dst_unused:UNUSED_PAD src0_sel:BYTE_0 src1_sel:DWORD
	v_lshlrev_b16_e32 v57, 8, v57
	v_or_b32_sdwa v64, v64, v65 dst_sel:DWORD dst_unused:UNUSED_PAD src0_sel:WORD_0 src1_sel:DWORD
	s_waitcnt vmcnt(1)
	v_xor_b32_e32 v7, v7, v59
	v_and_b32_e32 v59, 0xffffff00, v7
	v_sub_i16 v58, v59, v58 clamp
	v_lshlrev_b16_e32 v59, 8, v7
	v_sub_i16 v50, v59, v50 clamp
	v_perm_b32 v50, v50, v58, s22
	v_and_b32_sdwa v58, v7, s19 dst_sel:DWORD dst_unused:UNUSED_PAD src0_sel:WORD_1 src1_sel:DWORD
	v_lshlrev_b16_sdwa v7, v36, v7 dst_sel:DWORD dst_unused:UNUSED_PAD src0_sel:DWORD src1_sel:WORD_1
	v_sub_i16 v56, v58, v56 clamp
	v_sub_i16 v7, v7, v57 clamp
	v_perm_b32 v7, v7, v56, s22
	s_waitcnt vmcnt(0)
	v_xor_b32_e32 v8, v8, v64
	v_lshl_or_b32 v7, v7, 16, v50
	v_and_b32_e32 v50, 0xffffff00, v8
	v_lshlrev_b16_e32 v56, 8, v8
	v_lshlrev_b16_e32 v57, 8, v60
	v_sub_i16 v50, v50, v63 clamp
	v_sub_i16 v56, v56, v57 clamp
	v_perm_b32 v50, v56, v50, s22
	v_and_b32_sdwa v56, v8, s19 dst_sel:DWORD dst_unused:UNUSED_PAD src0_sel:WORD_1 src1_sel:DWORD
	v_lshlrev_b16_sdwa v8, v36, v8 dst_sel:DWORD dst_unused:UNUSED_PAD src0_sel:DWORD src1_sel:WORD_1
	v_lshlrev_b16_e32 v57, 8, v62
	v_sub_i16 v56, v56, v61 clamp
	v_sub_i16 v8, v8, v57 clamp
	v_perm_b32 v8, v8, v56, s22
	v_lshl_or_b32 v8, v8, 16, v50
	v_dot4_i32_i8 v9, v7, v9, v55
	v_dot4_i32_i8 v50, v8, v2, v9
	v_and_b32_e32 v2, 0xff, v51
	v_lshlrev_b32_e32 v9, 4, v52
	v_and_or_b32 v2, v9, s17, v2
	v_lshlrev_b32_e32 v2, 2, v2
	global_load_dword v2, v2, s[12:13]
	v_bfe_u32 v9, v51, 8, 8
	v_lshlrev_b32_e32 v55, 3, v52
	v_and_or_b32 v9, v55, s17, v9
	v_lshlrev_b32_e32 v9, 2, v9
	global_load_dword v9, v9, s[12:13]
	v_lshrrev_b32_e32 v55, 9, v53
	v_lshl_or_b32 v55, v54, 21, v55
	v_and_b32_e32 v56, 0x1800180, v55
	v_bfe_u32 v55, v55, 24, 1
	v_cmp_ne_u16_e32 vcc, 0, v55
	v_cmp_ne_u16_sdwa s[20:21], v56, v28 src0_sel:BYTE_1 src1_sel:DWORD
	v_lshrrev_b16_e32 v55, 7, v56
	v_lshrrev_b32_e32 v56, 18, v53
	v_cndmask_b32_e64 v57, 0, -1, s[20:21]
	v_cndmask_b32_e64 v59, 0, -1, vcc
	v_bfe_i32 v55, v55, 0, 1
	v_lshlrev_b16_e32 v57, 8, v57
	v_lshlrev_b16_e32 v59, 8, v59
	v_bfe_i32 v56, v56, 0, 1
	v_or_b32_sdwa v58, v55, v57 dst_sel:DWORD dst_unused:UNUSED_PAD src0_sel:BYTE_0 src1_sel:DWORD
	v_or_b32_sdwa v60, v56, v59 dst_sel:WORD_1 dst_unused:UNUSED_PAD src0_sel:BYTE_0 src1_sel:DWORD
	v_or_b32_sdwa v58, v58, v60 dst_sel:DWORD dst_unused:UNUSED_PAD src0_sel:WORD_0 src1_sel:DWORD
	v_lshrrev_b32_e32 v60, 13, v53
	v_lshl_or_b32 v54, v54, 17, v60
	v_and_b32_e32 v60, 0x1800180, v54
	v_bfe_u32 v54, v54, 24, 1
	v_cmp_ne_u16_e32 vcc, 0, v54
	v_cmp_ne_u16_sdwa s[20:21], v60, v28 src0_sel:BYTE_1 src1_sel:DWORD
	v_lshrrev_b16_e32 v54, 7, v60
	v_lshrrev_b32_e32 v60, 22, v53
	v_cndmask_b32_e64 v61, 0, -1, s[20:21]
	v_cndmask_b32_e64 v63, 0, -1, vcc
	v_lshlrev_b16_e32 v55, 8, v55
	v_bfe_i32 v54, v54, 0, 1
	v_lshlrev_b16_e32 v61, 8, v61
	v_lshlrev_b16_e32 v63, 8, v63
	v_bfe_i32 v60, v60, 0, 1
	v_or_b32_sdwa v62, v54, v61 dst_sel:DWORD dst_unused:UNUSED_PAD src0_sel:BYTE_0 src1_sel:DWORD
	v_or_b32_sdwa v64, v60, v63 dst_sel:WORD_1 dst_unused:UNUSED_PAD src0_sel:BYTE_0 src1_sel:DWORD
	v_lshlrev_b16_e32 v56, 8, v56
	v_or_b32_sdwa v62, v62, v64 dst_sel:DWORD dst_unused:UNUSED_PAD src0_sel:WORD_0 src1_sel:DWORD
	v_lshlrev_b16_e32 v54, 8, v54
	s_waitcnt vmcnt(1)
	v_xor_b32_e32 v2, v2, v58
	v_and_b32_e32 v58, 0xffffff00, v2
	v_sub_i16 v57, v58, v57 clamp
	v_lshlrev_b16_e32 v58, 8, v2
	v_sub_i16 v55, v58, v55 clamp
	v_perm_b32 v55, v55, v57, s22
	v_and_b32_sdwa v57, v2, s19 dst_sel:DWORD dst_unused:UNUSED_PAD src0_sel:WORD_1 src1_sel:DWORD
	v_lshlrev_b16_sdwa v2, v36, v2 dst_sel:DWORD dst_unused:UNUSED_PAD src0_sel:DWORD src1_sel:WORD_1
	v_sub_i16 v57, v57, v59 clamp
	v_sub_i16 v2, v2, v56 clamp
	v_perm_b32 v2, v2, v57, s22
	s_waitcnt vmcnt(0)
	v_xor_b32_e32 v9, v9, v62
	v_lshl_or_b32 v2, v2, 16, v55
	v_and_b32_e32 v55, 0xffffff00, v9
	v_lshlrev_b16_e32 v56, 8, v9
	v_sub_i16 v55, v55, v61 clamp
	v_sub_i16 v54, v56, v54 clamp
	v_perm_b32 v54, v54, v55, s22
	v_and_b32_sdwa v55, v9, s19 dst_sel:DWORD dst_unused:UNUSED_PAD src0_sel:WORD_1 src1_sel:DWORD
	v_lshlrev_b16_sdwa v9, v36, v9 dst_sel:DWORD dst_unused:UNUSED_PAD src0_sel:DWORD src1_sel:WORD_1
	v_lshlrev_b16_e32 v56, 8, v60
	v_sub_i16 v55, v55, v63 clamp
	v_sub_i16 v9, v9, v56 clamp
	v_perm_b32 v9, v9, v55, s22
	v_lshl_or_b32 v9, v9, 16, v54
	v_dot4_i32_i8 v3, v2, v3, v50
	v_dot4_i32_i8 v50, v9, v4, v3
	v_bfe_u32 v3, v51, 16, 8
	v_lshlrev_b32_e32 v4, 2, v52
	v_and_or_b32 v3, v4, s17, v3
	v_lshlrev_b32_e32 v3, 2, v3
	global_load_dword v3, v3, s[12:13]
	v_lshrrev_b32_e32 v4, 24, v51
	v_lshlrev_b32_e32 v51, 1, v52
	v_and_or_b32 v4, v51, s17, v4
	v_lshlrev_b32_e32 v4, 2, v4
	global_load_dword v4, v4, s[12:13]
	v_lshrrev_b32_e32 v51, 17, v53
	v_lshrrev_b32_e32 v52, 24, v53
	v_lshl_or_b32 v51, v52, 21, v51
	v_and_b32_e32 v52, 0x1800180, v51
	v_bfe_u32 v51, v51, 24, 1
	v_cmp_ne_u16_e32 vcc, 0, v51
	v_cmp_ne_u16_sdwa s[12:13], v52, v28 src0_sel:BYTE_1 src1_sel:DWORD
	v_lshrrev_b16_e32 v51, 7, v52
	v_lshrrev_b32_e32 v52, 26, v53
	v_cndmask_b32_e64 v54, 0, -1, s[12:13]
	v_cndmask_b32_e64 v56, 0, -1, vcc
	v_bfe_i32 v51, v51, 0, 1
	v_lshlrev_b16_e32 v54, 8, v54
	v_lshlrev_b16_e32 v56, 8, v56
	v_bfe_i32 v52, v52, 0, 1
	v_or_b32_sdwa v55, v51, v54 dst_sel:DWORD dst_unused:UNUSED_PAD src0_sel:BYTE_0 src1_sel:DWORD
	v_or_b32_sdwa v57, v52, v56 dst_sel:WORD_1 dst_unused:UNUSED_PAD src0_sel:BYTE_0 src1_sel:DWORD
	v_or_b32_sdwa v55, v55, v57 dst_sel:DWORD dst_unused:UNUSED_PAD src0_sel:WORD_0 src1_sel:DWORD
	v_lshrrev_b32_e32 v57, 21, v53
	v_lshrrev_b32_e32 v59, 31, v53
	v_lshrrev_b16_e32 v58, 8, v57
	v_cmp_ne_u16_e32 vcc, 0, v59
	v_lshrrev_b32_e32 v53, 30, v53
	v_lshrrev_b16_e32 v57, 7, v57
	v_bfe_i32 v58, v58, 0, 1
	v_cndmask_b32_e64 v60, 0, -1, vcc
	v_lshlrev_b16_e32 v51, 8, v51
	v_lshlrev_b16_e32 v58, 8, v58
	v_bfe_i32 v57, v57, 0, 1
	v_bfe_i32 v53, v53, 0, 1
	v_lshlrev_b16_e32 v60, 8, v60
	v_or_b32_sdwa v59, v57, v58 dst_sel:DWORD dst_unused:UNUSED_PAD src0_sel:BYTE_0 src1_sel:DWORD
	v_or_b32_sdwa v61, v53, v60 dst_sel:WORD_1 dst_unused:UNUSED_PAD src0_sel:BYTE_0 src1_sel:DWORD
	v_lshlrev_b16_e32 v52, 8, v52
	v_or_b32_sdwa v59, v59, v61 dst_sel:DWORD dst_unused:UNUSED_PAD src0_sel:WORD_0 src1_sel:DWORD
	v_lshlrev_b16_e32 v53, 8, v53
	s_waitcnt vmcnt(1)
	v_xor_b32_e32 v3, v3, v55
	v_and_b32_e32 v55, 0xffffff00, v3
	v_sub_i16 v54, v55, v54 clamp
	v_lshlrev_b16_e32 v55, 8, v3
	v_sub_i16 v51, v55, v51 clamp
	v_perm_b32 v51, v51, v54, s22
	v_and_b32_sdwa v54, v3, s19 dst_sel:DWORD dst_unused:UNUSED_PAD src0_sel:WORD_1 src1_sel:DWORD
	v_lshlrev_b16_sdwa v3, v36, v3 dst_sel:DWORD dst_unused:UNUSED_PAD src0_sel:DWORD src1_sel:WORD_1
	v_sub_i16 v54, v54, v56 clamp
	v_sub_i16 v3, v3, v52 clamp
	v_perm_b32 v3, v3, v54, s22
	s_waitcnt vmcnt(0)
	v_xor_b32_e32 v4, v4, v59
	v_lshl_or_b32 v3, v3, 16, v51
	v_and_b32_e32 v51, 0xffffff00, v4
	v_lshlrev_b16_e32 v52, 8, v4
	v_lshlrev_b16_e32 v54, 8, v57
	v_sub_i16 v51, v51, v58 clamp
	v_sub_i16 v52, v52, v54 clamp
	v_perm_b32 v51, v52, v51, s22
	v_and_b32_sdwa v52, v4, s19 dst_sel:DWORD dst_unused:UNUSED_PAD src0_sel:WORD_1 src1_sel:DWORD
	v_lshlrev_b16_sdwa v4, v36, v4 dst_sel:DWORD dst_unused:UNUSED_PAD src0_sel:DWORD src1_sel:WORD_1
	v_sub_i16 v52, v52, v60 clamp
	v_sub_i16 v4, v4, v53 clamp
	v_perm_b32 v4, v4, v52, s22
	v_lshl_or_b32 v4, v4, 16, v51
	v_dot4_i32_i8 v5, v3, v5, v50
	v_dot4_i32_i8 v5, v4, v49, v5
	v_add_co_u32_e32 v49, vcc, v17, v30
	v_addc_co_u32_e32 v50, vcc, 0, v18, vcc
	global_load_ubyte v49, v[49:50], off offset:106
	v_add_co_u32_e32 v13, vcc, 0x1200, v13
	v_addc_co_u32_e32 v14, vcc, 0, v14, vcc
	v_cmp_le_u32_e32 vcc, s9, v27
	s_or_b64 s[0:1], vcc, s[0:1]
	s_waitcnt vmcnt(0)
	v_lshrrev_b32_e32 v49, v31, v49
	v_lshlrev_b32_e32 v49, 1, v49
	v_and_or_b32 v49, v49, 30, 1
	v_mul_lo_u32 v50, v5, v49
	global_load_ushort v5, v[17:18], off
	v_cvt_f32_i32_e32 v18, v50
	s_waitcnt vmcnt(0)
	v_cvt_f32_f16_e32 v5, v5
	v_mul_f32_e32 v17, v5, v48
	v_fmac_f32_e32 v25, v17, v18
	v_mad_u64_u32 v[17:18], s[12:13], v32, 36, v[10:11]
	global_load_dword v48, v[17:18], off offset:32
	global_load_dwordx4 v[50:53], v[17:18], off offset:16
	global_load_dwordx4 v[54:57], v[17:18], off
	v_add_u32_e32 v32, 0x80, v32
	s_waitcnt vmcnt(0)
	v_dot4_i32_i8 v18, v6, v55, 0
	v_dot4_i32_i8 v18, v37, v56, v18
	;; [unrolled: 1-line block ×8, first 2 shown]
	v_mul_lo_u32 v18, v18, v45
	v_cvt_f32_f16_e32 v17, v54
	v_cvt_f32_i32_e32 v18, v18
	v_mul_f32_e32 v54, v42, v17
	v_mul_f32_e32 v17, v5, v17
	v_fmac_f32_e32 v24, v54, v18
	v_dot4_i32_i8 v18, v46, v55, 0
	v_dot4_i32_i8 v18, v47, v56, v18
	;; [unrolled: 1-line block ×8, first 2 shown]
	v_mul_lo_u32 v18, v18, v49
	v_cvt_f32_i32_e32 v18, v18
	v_fmac_f32_e32 v23, v17, v18
	v_mad_u64_u32 v[17:18], s[12:13], v33, 36, v[10:11]
	global_load_dword v48, v[17:18], off offset:32
	global_load_dwordx4 v[50:53], v[17:18], off offset:16
	global_load_dwordx4 v[54:57], v[17:18], off
	v_add_u32_e32 v33, 0x80, v33
	s_waitcnt vmcnt(0)
	v_dot4_i32_i8 v18, v6, v55, 0
	v_dot4_i32_i8 v18, v37, v56, v18
	;; [unrolled: 1-line block ×8, first 2 shown]
	v_mul_lo_u32 v18, v18, v45
	v_cvt_f32_f16_e32 v17, v54
	v_cvt_f32_i32_e32 v18, v18
	v_mul_f32_e32 v54, v42, v17
	v_mul_f32_e32 v17, v5, v17
	v_fmac_f32_e32 v22, v54, v18
	v_dot4_i32_i8 v18, v46, v55, 0
	v_dot4_i32_i8 v18, v47, v56, v18
	;; [unrolled: 1-line block ×8, first 2 shown]
	v_mul_lo_u32 v18, v18, v49
	v_cvt_f32_i32_e32 v18, v18
	v_fmac_f32_e32 v21, v17, v18
	v_mad_u64_u32 v[17:18], s[12:13], v12, 36, v[10:11]
	global_load_dword v48, v[17:18], off offset:32
	global_load_dwordx4 v[50:53], v[17:18], off offset:16
	global_load_dwordx4 v[54:57], v[17:18], off
	v_add_u32_e32 v12, 0x80, v12
	s_waitcnt vmcnt(0)
	v_dot4_i32_i8 v6, v6, v55, 0
	v_dot4_i32_i8 v6, v37, v56, v6
	;; [unrolled: 1-line block ×8, first 2 shown]
	v_mul_lo_u32 v6, v6, v45
	v_cvt_f32_f16_e32 v17, v54
	v_cvt_f32_i32_e32 v6, v6
	v_mul_f32_e32 v18, v42, v17
	v_fmac_f32_e32 v20, v18, v6
	v_dot4_i32_i8 v6, v46, v55, 0
	v_dot4_i32_i8 v6, v47, v56, v6
	;; [unrolled: 1-line block ×8, first 2 shown]
	v_mul_lo_u32 v2, v2, v49
	v_mul_f32_e32 v3, v5, v17
	v_cvt_f32_i32_e32 v2, v2
	v_fmac_f32_e32 v19, v3, v2
	s_andn2_b64 exec, exec, s[0:1]
	s_cbranch_execnz .LBB259_2
; %bb.3:
	s_or_b64 exec, exec, s[0:1]
.LBB259_4:
	s_or_b64 exec, exec, s[10:11]
	v_cmp_eq_u32_e32 vcc, 0, v1
	v_cmp_ne_u32_e64 s[0:1], 0, v1
	v_lshlrev_b32_e32 v2, 2, v0
	s_and_saveexec_b64 s[10:11], s[0:1]
	s_cbranch_execz .LBB259_6
; %bb.5:
	v_lshl_or_b32 v1, v1, 11, v2
	v_add_u32_e32 v1, 0xfffff800, v1
	ds_write2st64_b32 v1, v26, v25 offset1:1
	ds_write2st64_b32 v1, v24, v23 offset0:2 offset1:3
	ds_write2st64_b32 v1, v22, v21 offset0:4 offset1:5
	;; [unrolled: 1-line block ×3, first 2 shown]
.LBB259_6:
	s_or_b64 exec, exec, s[10:11]
	s_waitcnt lgkmcnt(0)
	s_barrier
	s_and_saveexec_b64 s[0:1], vcc
	s_cbranch_execz .LBB259_15
; %bb.7:
	v_mbcnt_lo_u32_b32 v1, -1, 0
	v_mbcnt_hi_u32_b32 v7, -1, v1
	ds_read2st64_b32 v[5:6], v2 offset1:1
	v_and_b32_e32 v1, 64, v7
	v_add_u32_e32 v8, 64, v1
	v_xor_b32_e32 v1, 32, v7
	v_cmp_lt_i32_e32 vcc, v1, v8
	v_cndmask_b32_e32 v1, v7, v1, vcc
	v_lshlrev_b32_e32 v1, 2, v1
	s_waitcnt lgkmcnt(0)
	v_add_f32_e32 v10, v5, v26
	v_add_f32_e32 v6, v6, v25
	ds_bpermute_b32 v11, v1, v10
	ds_bpermute_b32 v12, v1, v6
	v_xor_b32_e32 v3, 16, v7
	v_cmp_lt_i32_e32 vcc, v3, v8
	v_cndmask_b32_e32 v3, v7, v3, vcc
	v_lshlrev_b32_e32 v3, 2, v3
	s_waitcnt lgkmcnt(1)
	v_add_f32_e32 v10, v10, v11
	s_waitcnt lgkmcnt(0)
	v_add_f32_e32 v6, v6, v12
	ds_bpermute_b32 v11, v3, v10
	ds_bpermute_b32 v12, v3, v6
	v_xor_b32_e32 v4, 8, v7
	v_cmp_lt_i32_e32 vcc, v4, v8
	v_cndmask_b32_e32 v4, v7, v4, vcc
	v_lshlrev_b32_e32 v4, 2, v4
	s_waitcnt lgkmcnt(1)
	v_add_f32_e32 v10, v10, v11
	s_waitcnt lgkmcnt(0)
	;; [unrolled: 10-line block ×3, first 2 shown]
	v_add_f32_e32 v12, v12, v13
	ds_bpermute_b32 v11, v5, v10
	ds_bpermute_b32 v13, v5, v12
	v_xor_b32_e32 v9, 2, v7
	v_cmp_lt_i32_e32 vcc, v9, v8
	v_cndmask_b32_e32 v9, v7, v9, vcc
	v_lshlrev_b32_e32 v6, 2, v9
	v_xor_b32_e32 v9, 1, v7
	v_cmp_lt_i32_e32 vcc, v9, v8
	s_waitcnt lgkmcnt(1)
	v_add_f32_e32 v8, v10, v11
	s_waitcnt lgkmcnt(0)
	v_add_f32_e32 v11, v12, v13
	ds_bpermute_b32 v10, v6, v8
	ds_bpermute_b32 v12, v6, v11
	s_load_dwordx2 s[0:1], s[4:5], 0x38
	v_cndmask_b32_e32 v7, v7, v9, vcc
	s_mul_i32 s4, s14, s7
	v_lshlrev_b32_e32 v9, 2, v7
	s_waitcnt lgkmcnt(0)
	v_add_f32_e32 v7, v8, v10
	v_add_f32_e32 v10, v11, v12
	s_mul_i32 s3, s18, s8
	s_add_i32 s4, s4, s6
	ds_bpermute_b32 v8, v9, v7
	ds_bpermute_b32 v11, v9, v10
	s_add_i32 s4, s4, s3
	s_mov_b32 s5, 0
	s_lshl_b64 s[4:5], s[4:5], 2
	s_add_u32 s4, s0, s4
	v_add_u32_e32 v12, s6, v0
	s_addc_u32 s5, s1, s5
	v_cmp_gt_u32_e32 vcc, 2, v0
	v_cmp_gt_u32_e64 s[0:1], s2, v12
	s_and_b64 s[0:1], vcc, s[0:1]
	s_waitcnt lgkmcnt(1)
	v_add_f32_e32 v7, v7, v8
	s_waitcnt lgkmcnt(0)
	v_add_f32_e32 v8, v10, v11
	s_and_saveexec_b64 s[6:7], s[0:1]
	s_cbranch_execz .LBB259_9
; %bb.8:
	v_cmp_eq_u32_e32 vcc, 1, v0
	v_cndmask_b32_e32 v10, v7, v8, vcc
	v_cmp_eq_u32_e32 vcc, 2, v0
	v_cndmask_b32_e32 v10, v10, v24, vcc
	;; [unrolled: 2-line block ×7, first 2 shown]
	global_store_dword v2, v10, s[4:5]
.LBB259_9:
	s_or_b64 exec, exec, s[6:7]
	ds_read2st64_b32 v[10:11], v2 offset0:2 offset1:3
	s_waitcnt lgkmcnt(0)
	v_add_f32_e32 v10, v10, v24
	v_add_f32_e32 v11, v11, v23
	ds_bpermute_b32 v12, v1, v10
	ds_bpermute_b32 v13, v1, v11
	s_waitcnt lgkmcnt(1)
	v_add_f32_e32 v10, v10, v12
	s_waitcnt lgkmcnt(0)
	v_add_f32_e32 v11, v11, v13
	ds_bpermute_b32 v12, v3, v10
	ds_bpermute_b32 v13, v3, v11
	s_waitcnt lgkmcnt(1)
	v_add_f32_e32 v10, v10, v12
	s_waitcnt lgkmcnt(0)
	;; [unrolled: 6-line block ×6, first 2 shown]
	v_add_f32_e32 v10, v12, v13
	s_and_saveexec_b64 s[6:7], s[0:1]
	s_cbranch_execz .LBB259_11
; %bb.10:
	v_add_u32_e32 v12, 2, v0
	v_cmp_eq_u32_e32 vcc, 1, v12
	v_cndmask_b32_e32 v13, v7, v8, vcc
	v_cmp_eq_u32_e32 vcc, 2, v12
	v_cndmask_b32_e32 v13, v13, v11, vcc
	;; [unrolled: 2-line block ×7, first 2 shown]
	v_add_u32_e32 v12, s2, v0
	v_mov_b32_e32 v13, 0
	v_lshlrev_b64 v[12:13], 2, v[12:13]
	v_mov_b32_e32 v15, s5
	v_add_co_u32_e32 v12, vcc, s4, v12
	v_addc_co_u32_e32 v13, vcc, v15, v13, vcc
	global_store_dword v[12:13], v14, off
.LBB259_11:
	s_or_b64 exec, exec, s[6:7]
	ds_read2st64_b32 v[12:13], v2 offset0:4 offset1:5
	s_waitcnt lgkmcnt(0)
	v_add_f32_e32 v12, v12, v22
	v_add_f32_e32 v13, v13, v21
	ds_bpermute_b32 v14, v1, v12
	ds_bpermute_b32 v15, v1, v13
	s_waitcnt lgkmcnt(1)
	v_add_f32_e32 v12, v12, v14
	s_waitcnt lgkmcnt(0)
	v_add_f32_e32 v13, v13, v15
	ds_bpermute_b32 v14, v3, v12
	ds_bpermute_b32 v15, v3, v13
	s_waitcnt lgkmcnt(1)
	v_add_f32_e32 v12, v12, v14
	s_waitcnt lgkmcnt(0)
	;; [unrolled: 6-line block ×6, first 2 shown]
	v_add_f32_e32 v12, v14, v15
	s_and_saveexec_b64 s[6:7], s[0:1]
	s_cbranch_execz .LBB259_13
; %bb.12:
	v_add_u32_e32 v14, 4, v0
	v_cmp_eq_u32_e32 vcc, 1, v14
	v_cndmask_b32_e32 v15, v7, v8, vcc
	v_cmp_eq_u32_e32 vcc, 2, v14
	v_cndmask_b32_e32 v15, v15, v11, vcc
	;; [unrolled: 2-line block ×7, first 2 shown]
	v_lshl_or_b32 v14, s2, 1, v0
	v_mov_b32_e32 v15, 0
	v_lshlrev_b64 v[14:15], 2, v[14:15]
	v_mov_b32_e32 v17, s5
	v_add_co_u32_e32 v14, vcc, s4, v14
	v_addc_co_u32_e32 v15, vcc, v17, v15, vcc
	global_store_dword v[14:15], v16, off
.LBB259_13:
	s_or_b64 exec, exec, s[6:7]
	ds_read2st64_b32 v[14:15], v2 offset0:6 offset1:7
	s_waitcnt lgkmcnt(0)
	v_add_f32_e32 v2, v14, v20
	v_add_f32_e32 v14, v15, v19
	ds_bpermute_b32 v15, v1, v2
	ds_bpermute_b32 v1, v1, v14
	s_waitcnt lgkmcnt(1)
	v_add_f32_e32 v2, v2, v15
	s_waitcnt lgkmcnt(0)
	v_add_f32_e32 v1, v14, v1
	ds_bpermute_b32 v14, v3, v2
	ds_bpermute_b32 v3, v3, v1
	s_waitcnt lgkmcnt(1)
	v_add_f32_e32 v2, v2, v14
	s_waitcnt lgkmcnt(0)
	;; [unrolled: 6-line block ×5, first 2 shown]
	v_add_f32_e32 v2, v3, v4
	ds_bpermute_b32 v3, v9, v1
	ds_bpermute_b32 v4, v9, v2
	s_and_b64 exec, exec, s[0:1]
	s_cbranch_execz .LBB259_15
; %bb.14:
	s_waitcnt lgkmcnt(1)
	v_add_f32_e32 v1, v1, v3
	v_add_u32_e32 v3, 6, v0
	v_cmp_eq_u32_e32 vcc, 1, v3
	s_waitcnt lgkmcnt(0)
	v_add_f32_e32 v2, v2, v4
	v_cndmask_b32_e32 v4, v7, v8, vcc
	v_cmp_eq_u32_e32 vcc, 2, v3
	v_cndmask_b32_e32 v4, v4, v11, vcc
	v_cmp_eq_u32_e32 vcc, 3, v3
	;; [unrolled: 2-line block ×5, first 2 shown]
	v_cndmask_b32_e32 v4, v4, v1, vcc
	v_mad_u64_u32 v[0:1], s[0:1], s2, 3, v[0:1]
	v_mov_b32_e32 v1, 0
	v_cmp_eq_u32_e32 vcc, 7, v3
	v_lshlrev_b64 v[0:1], 2, v[0:1]
	v_cndmask_b32_e32 v2, v4, v2, vcc
	v_mov_b32_e32 v3, s5
	v_add_co_u32_e32 v0, vcc, s4, v0
	v_addc_co_u32_e32 v1, vcc, v3, v1, vcc
	global_store_dword v[0:1], v2, off
.LBB259_15:
	s_endpgm
	.section	.rodata,"a",@progbits
	.p2align	6, 0x0
	.amdhsa_kernel _ZL13mul_mat_vec_qIL9ggml_type21ELi4ELb0ELb0EEvPKvS2_PKi31ggml_cuda_mm_fusion_args_devicePfj15HIP_vector_typeIjLj3EEjjjS8_jjjS8_jjjj
		.amdhsa_group_segment_fixed_size 2048
		.amdhsa_private_segment_fixed_size 0
		.amdhsa_kernarg_size 144
		.amdhsa_user_sgpr_count 6
		.amdhsa_user_sgpr_private_segment_buffer 1
		.amdhsa_user_sgpr_dispatch_ptr 0
		.amdhsa_user_sgpr_queue_ptr 0
		.amdhsa_user_sgpr_kernarg_segment_ptr 1
		.amdhsa_user_sgpr_dispatch_id 0
		.amdhsa_user_sgpr_flat_scratch_init 0
		.amdhsa_user_sgpr_private_segment_size 0
		.amdhsa_uses_dynamic_stack 0
		.amdhsa_system_sgpr_private_segment_wavefront_offset 0
		.amdhsa_system_sgpr_workgroup_id_x 1
		.amdhsa_system_sgpr_workgroup_id_y 1
		.amdhsa_system_sgpr_workgroup_id_z 1
		.amdhsa_system_sgpr_workgroup_info 0
		.amdhsa_system_vgpr_workitem_id 1
		.amdhsa_next_free_vgpr 66
		.amdhsa_next_free_sgpr 61
		.amdhsa_reserve_vcc 1
		.amdhsa_reserve_flat_scratch 0
		.amdhsa_float_round_mode_32 0
		.amdhsa_float_round_mode_16_64 0
		.amdhsa_float_denorm_mode_32 3
		.amdhsa_float_denorm_mode_16_64 3
		.amdhsa_dx10_clamp 1
		.amdhsa_ieee_mode 1
		.amdhsa_fp16_overflow 0
		.amdhsa_exception_fp_ieee_invalid_op 0
		.amdhsa_exception_fp_denorm_src 0
		.amdhsa_exception_fp_ieee_div_zero 0
		.amdhsa_exception_fp_ieee_overflow 0
		.amdhsa_exception_fp_ieee_underflow 0
		.amdhsa_exception_fp_ieee_inexact 0
		.amdhsa_exception_int_div_zero 0
	.end_amdhsa_kernel
	.section	.text._ZL13mul_mat_vec_qIL9ggml_type21ELi4ELb0ELb0EEvPKvS2_PKi31ggml_cuda_mm_fusion_args_devicePfj15HIP_vector_typeIjLj3EEjjjS8_jjjS8_jjjj,"axG",@progbits,_ZL13mul_mat_vec_qIL9ggml_type21ELi4ELb0ELb0EEvPKvS2_PKi31ggml_cuda_mm_fusion_args_devicePfj15HIP_vector_typeIjLj3EEjjjS8_jjjS8_jjjj,comdat
.Lfunc_end259:
	.size	_ZL13mul_mat_vec_qIL9ggml_type21ELi4ELb0ELb0EEvPKvS2_PKi31ggml_cuda_mm_fusion_args_devicePfj15HIP_vector_typeIjLj3EEjjjS8_jjjS8_jjjj, .Lfunc_end259-_ZL13mul_mat_vec_qIL9ggml_type21ELi4ELb0ELb0EEvPKvS2_PKi31ggml_cuda_mm_fusion_args_devicePfj15HIP_vector_typeIjLj3EEjjjS8_jjjS8_jjjj
                                        ; -- End function
	.set _ZL13mul_mat_vec_qIL9ggml_type21ELi4ELb0ELb0EEvPKvS2_PKi31ggml_cuda_mm_fusion_args_devicePfj15HIP_vector_typeIjLj3EEjjjS8_jjjS8_jjjj.num_vgpr, 66
	.set _ZL13mul_mat_vec_qIL9ggml_type21ELi4ELb0ELb0EEvPKvS2_PKi31ggml_cuda_mm_fusion_args_devicePfj15HIP_vector_typeIjLj3EEjjjS8_jjjS8_jjjj.num_agpr, 0
	.set _ZL13mul_mat_vec_qIL9ggml_type21ELi4ELb0ELb0EEvPKvS2_PKi31ggml_cuda_mm_fusion_args_devicePfj15HIP_vector_typeIjLj3EEjjjS8_jjjS8_jjjj.numbered_sgpr, 26
	.set _ZL13mul_mat_vec_qIL9ggml_type21ELi4ELb0ELb0EEvPKvS2_PKi31ggml_cuda_mm_fusion_args_devicePfj15HIP_vector_typeIjLj3EEjjjS8_jjjS8_jjjj.num_named_barrier, 0
	.set _ZL13mul_mat_vec_qIL9ggml_type21ELi4ELb0ELb0EEvPKvS2_PKi31ggml_cuda_mm_fusion_args_devicePfj15HIP_vector_typeIjLj3EEjjjS8_jjjS8_jjjj.private_seg_size, 0
	.set _ZL13mul_mat_vec_qIL9ggml_type21ELi4ELb0ELb0EEvPKvS2_PKi31ggml_cuda_mm_fusion_args_devicePfj15HIP_vector_typeIjLj3EEjjjS8_jjjS8_jjjj.uses_vcc, 1
	.set _ZL13mul_mat_vec_qIL9ggml_type21ELi4ELb0ELb0EEvPKvS2_PKi31ggml_cuda_mm_fusion_args_devicePfj15HIP_vector_typeIjLj3EEjjjS8_jjjS8_jjjj.uses_flat_scratch, 0
	.set _ZL13mul_mat_vec_qIL9ggml_type21ELi4ELb0ELb0EEvPKvS2_PKi31ggml_cuda_mm_fusion_args_devicePfj15HIP_vector_typeIjLj3EEjjjS8_jjjS8_jjjj.has_dyn_sized_stack, 0
	.set _ZL13mul_mat_vec_qIL9ggml_type21ELi4ELb0ELb0EEvPKvS2_PKi31ggml_cuda_mm_fusion_args_devicePfj15HIP_vector_typeIjLj3EEjjjS8_jjjS8_jjjj.has_recursion, 0
	.set _ZL13mul_mat_vec_qIL9ggml_type21ELi4ELb0ELb0EEvPKvS2_PKi31ggml_cuda_mm_fusion_args_devicePfj15HIP_vector_typeIjLj3EEjjjS8_jjjS8_jjjj.has_indirect_call, 0
	.section	.AMDGPU.csdata,"",@progbits
; Kernel info:
; codeLenInByte = 6908
; TotalNumSgprs: 30
; NumVgprs: 66
; ScratchSize: 0
; MemoryBound: 0
; FloatMode: 240
; IeeeMode: 1
; LDSByteSize: 2048 bytes/workgroup (compile time only)
; SGPRBlocks: 8
; VGPRBlocks: 16
; NumSGPRsForWavesPerEU: 65
; NumVGPRsForWavesPerEU: 66
; Occupancy: 3
; WaveLimiterHint : 0
; COMPUTE_PGM_RSRC2:SCRATCH_EN: 0
; COMPUTE_PGM_RSRC2:USER_SGPR: 6
; COMPUTE_PGM_RSRC2:TRAP_HANDLER: 0
; COMPUTE_PGM_RSRC2:TGID_X_EN: 1
; COMPUTE_PGM_RSRC2:TGID_Y_EN: 1
; COMPUTE_PGM_RSRC2:TGID_Z_EN: 1
; COMPUTE_PGM_RSRC2:TIDIG_COMP_CNT: 1
	.section	.text._ZL13mul_mat_vec_qIL9ggml_type21ELi5ELb0ELb0EEvPKvS2_PKi31ggml_cuda_mm_fusion_args_devicePfj15HIP_vector_typeIjLj3EEjjjS8_jjjS8_jjjj,"axG",@progbits,_ZL13mul_mat_vec_qIL9ggml_type21ELi5ELb0ELb0EEvPKvS2_PKi31ggml_cuda_mm_fusion_args_devicePfj15HIP_vector_typeIjLj3EEjjjS8_jjjS8_jjjj,comdat
	.globl	_ZL13mul_mat_vec_qIL9ggml_type21ELi5ELb0ELb0EEvPKvS2_PKi31ggml_cuda_mm_fusion_args_devicePfj15HIP_vector_typeIjLj3EEjjjS8_jjjS8_jjjj ; -- Begin function _ZL13mul_mat_vec_qIL9ggml_type21ELi5ELb0ELb0EEvPKvS2_PKi31ggml_cuda_mm_fusion_args_devicePfj15HIP_vector_typeIjLj3EEjjjS8_jjjS8_jjjj
	.p2align	8
	.type	_ZL13mul_mat_vec_qIL9ggml_type21ELi5ELb0ELb0EEvPKvS2_PKi31ggml_cuda_mm_fusion_args_devicePfj15HIP_vector_typeIjLj3EEjjjS8_jjjS8_jjjj,@function
_ZL13mul_mat_vec_qIL9ggml_type21ELi5ELb0ELb0EEvPKvS2_PKi31ggml_cuda_mm_fusion_args_devicePfj15HIP_vector_typeIjLj3EEjjjS8_jjjS8_jjjj: ; @_ZL13mul_mat_vec_qIL9ggml_type21ELi5ELb0ELb0EEvPKvS2_PKi31ggml_cuda_mm_fusion_args_devicePfj15HIP_vector_typeIjLj3EEjjjS8_jjjS8_jjjj
; %bb.0:
	s_load_dword s9, s[4:5], 0x40
	s_load_dwordx4 s[0:3], s[4:5], 0x50
	s_load_dword s25, s[4:5], 0x60
	s_load_dwordx4 s[12:15], s[4:5], 0x68
	s_load_dword s24, s[4:5], 0x78
	s_load_dwordx4 s[16:19], s[4:5], 0x80
	v_lshl_or_b32 v2, v1, 6, v0
	s_waitcnt lgkmcnt(0)
	s_lshr_b32 s9, s9, 8
	v_lshrrev_b32_e32 v25, 3, v2
	v_mov_b32_e32 v16, 0
	s_lshl_b32 s6, s6, 1
	v_cmp_gt_u32_e32 vcc, s9, v25
	v_mov_b32_e32 v17, v16
	v_mov_b32_e32 v18, v16
	v_mov_b32_e32 v19, v16
	v_mov_b32_e32 v20, v16
	v_mov_b32_e32 v21, v16
	v_mov_b32_e32 v22, v16
	v_mov_b32_e32 v23, v16
	v_mov_b32_e32 v24, v16
	v_mov_b32_e32 v26, v16
	s_and_saveexec_b64 s[10:11], vcc
	s_cbranch_execz .LBB260_4
; %bb.1:
	s_mul_hi_u32 s3, s3, s7
	s_add_i32 s3, s7, s3
	s_load_dwordx4 s[20:23], s[4:5], 0x0
	s_lshr_b32 s3, s3, s25
	s_mul_i32 s3, s3, s12
	s_mul_hi_u32 s12, s15, s8
	s_add_i32 s12, s8, s12
	s_lshr_b32 s12, s12, s24
	s_mul_i32 s19, s17, s8
	s_mul_i32 s15, s12, s16
	;; [unrolled: 1-line block ×3, first 2 shown]
	s_mul_hi_u32 s12, s19, 36
	s_waitcnt lgkmcnt(0)
	s_add_u32 s16, s22, s16
	s_addc_u32 s17, s23, s12
	s_mul_i32 s12, s13, s7
	s_mul_hi_u32 s13, s12, 36
	s_mul_i32 s12, s12, 36
	s_add_u32 s16, s16, s12
	v_lshlrev_b32_e32 v2, 1, v0
	s_addc_u32 s17, s17, s13
	v_and_b32_e32 v4, 14, v2
	v_bfe_u32 v29, v2, 2, 2
	s_add_i32 s24, s6, 1
	v_mov_b32_e32 v2, s12
	s_add_i32 s15, s15, s3
	s_mul_i32 s3, s6, s0
	s_mul_i32 s0, s0, s24
	s_movk_i32 s24, 0x120
	v_mov_b32_e32 v3, s13
	v_mad_u64_u32 v[2:3], s[12:13], v25, s24, v[2:3]
	v_and_b32_e32 v28, 7, v0
	v_mov_b32_e32 v6, s23
	v_mad_u64_u32 v[2:3], s[12:13], s19, 36, v[2:3]
	v_mad_u64_u32 v[12:13], s[16:17], v28, 36, s[16:17]
	;; [unrolled: 1-line block ×3, first 2 shown]
	v_lshlrev_b32_e32 v5, 1, v4
	v_mov_b32_e32 v27, 0
	v_add_co_u32_e32 v2, vcc, s22, v2
	v_addc_co_u32_e32 v3, vcc, v6, v3, vcc
	v_add_co_u32_e32 v10, vcc, 16, v2
	v_and_b32_e32 v30, 4, v5
	s_add_i32 s3, s15, s3
	s_add_i32 s0, s15, s0
	v_lshlrev_b32_e32 v31, 3, v25
	s_lshl_b32 s15, s1, 2
	s_mul_i32 s19, s1, 3
	s_lshl_b32 s24, s1, 1
	v_addc_co_u32_e32 v11, vcc, 0, v3, vcc
	s_mov_b64 s[12:13], 0
	s_movk_i32 s22, 0x6e
	v_lshlrev_b32_e32 v32, 1, v5
	v_lshlrev_b32_e32 v33, 1, v4
	s_movk_i32 s23, 0x100
	s_movk_i32 s25, 0xff00
	s_mov_b32 s26, 0xc0c0105
	v_mov_b32_e32 v34, 8
	v_mov_b32_e32 v16, 0
	;; [unrolled: 1-line block ×11, first 2 shown]
.LBB260_2:                              ; =>This Inner Loop Header: Depth=1
	v_mov_b32_e32 v14, s20
	v_add_u32_e32 v35, s3, v25
	v_mov_b32_e32 v15, s21
	v_mad_i64_i32 v[43:44], s[16:17], v35, s22, v[14:15]
	global_load_dword v47, v[10:11], off offset:16
	global_load_dwordx4 v[2:5], v[10:11], off
	global_load_dwordx4 v[6:9], v[10:11], off offset:-16
	s_getpc_b64 s[16:17]
	s_add_u32 s16, s16, _ZL9iq3s_grid@rel32@lo+4
	s_addc_u32 s17, s17, _ZL9iq3s_grid@rel32@hi+12
	v_add_co_u32_e32 v35, vcc, v43, v32
	v_addc_co_u32_e32 v36, vcc, 0, v44, vcc
	global_load_dwordx2 v[39:40], v[35:36], off offset:2
	v_add_co_u32_e32 v35, vcc, v43, v28
	v_addc_co_u32_e32 v36, vcc, 0, v44, vcc
	global_load_ubyte v41, v[35:36], off offset:66
	v_add_co_u32_e32 v35, vcc, v43, v33
	v_addc_co_u32_e32 v36, vcc, 0, v44, vcc
	global_load_dword v42, v[35:36], off offset:74
	s_waitcnt vmcnt(3)
	v_cvt_f32_f16_e32 v46, v6
	s_waitcnt vmcnt(2)
	v_and_b32_e32 v6, 0xff, v39
	s_waitcnt vmcnt(1)
	v_lshlrev_b32_e32 v35, 8, v41
	v_and_or_b32 v6, v35, s23, v6
	v_lshlrev_b32_e32 v6, 2, v6
	global_load_dword v6, v6, s[16:17]
	v_bfe_u32 v35, v39, 8, 8
	v_lshlrev_b32_e32 v36, 7, v41
	v_and_or_b32 v35, v36, s23, v35
	v_lshlrev_b32_e32 v35, 2, v35
	global_load_dword v35, v35, s[16:17]
	s_waitcnt vmcnt(2)
	v_and_b32_e32 v36, 0xff, v42
	v_lshlrev_b32_e32 v37, 21, v42
	v_lshl_or_b32 v37, v36, 7, v37
	v_and_b32_e32 v45, 0x1800180, v37
	v_bfe_u32 v37, v37, 24, 1
	v_cmp_ne_u16_e32 vcc, 0, v37
	v_cmp_ne_u16_sdwa s[28:29], v45, v27 src0_sel:BYTE_1 src1_sel:DWORD
	v_lshrrev_b16_e32 v37, 7, v45
	v_lshrrev_b32_e32 v45, 2, v42
	v_cndmask_b32_e64 v48, 0, -1, s[28:29]
	v_cndmask_b32_e64 v50, 0, -1, vcc
	v_bfe_i32 v37, v37, 0, 1
	v_lshlrev_b16_e32 v48, 8, v48
	v_lshlrev_b16_e32 v50, 8, v50
	v_bfe_i32 v45, v45, 0, 1
	v_or_b32_sdwa v49, v37, v48 dst_sel:DWORD dst_unused:UNUSED_PAD src0_sel:BYTE_0 src1_sel:DWORD
	v_or_b32_sdwa v51, v45, v50 dst_sel:WORD_1 dst_unused:UNUSED_PAD src0_sel:BYTE_0 src1_sel:DWORD
	v_or_b32_sdwa v49, v49, v51 dst_sel:DWORD dst_unused:UNUSED_PAD src0_sel:WORD_0 src1_sel:DWORD
	v_lshlrev_b32_e32 v51, 17, v42
	v_lshl_or_b32 v36, v36, 3, v51
	v_and_b32_e32 v51, 0x1800180, v36
	v_bfe_u32 v36, v36, 24, 1
	v_cmp_ne_u16_e32 vcc, 0, v36
	v_cmp_ne_u16_sdwa s[28:29], v51, v27 src0_sel:BYTE_1 src1_sel:DWORD
	v_lshrrev_b16_e32 v36, 7, v51
	v_lshrrev_b32_e32 v51, 6, v42
	v_cndmask_b32_e64 v52, 0, -1, s[28:29]
	v_cndmask_b32_e64 v54, 0, -1, vcc
	v_lshlrev_b16_e32 v37, 8, v37
	v_bfe_i32 v36, v36, 0, 1
	v_lshlrev_b16_e32 v52, 8, v52
	v_lshlrev_b16_e32 v54, 8, v54
	v_bfe_i32 v51, v51, 0, 1
	v_or_b32_sdwa v53, v36, v52 dst_sel:DWORD dst_unused:UNUSED_PAD src0_sel:BYTE_0 src1_sel:DWORD
	v_or_b32_sdwa v55, v51, v54 dst_sel:WORD_1 dst_unused:UNUSED_PAD src0_sel:BYTE_0 src1_sel:DWORD
	v_lshlrev_b16_e32 v45, 8, v45
	v_or_b32_sdwa v53, v53, v55 dst_sel:DWORD dst_unused:UNUSED_PAD src0_sel:WORD_0 src1_sel:DWORD
	v_lshlrev_b16_e32 v36, 8, v36
	v_lshrrev_b32_e32 v38, 16, v42
	s_waitcnt vmcnt(1)
	v_xor_b32_e32 v6, v6, v49
	v_and_b32_e32 v49, 0xffffff00, v6
	v_sub_i16 v48, v49, v48 clamp
	v_lshlrev_b16_e32 v49, 8, v6
	v_sub_i16 v37, v49, v37 clamp
	v_perm_b32 v37, v37, v48, s26
	v_and_b32_sdwa v48, v6, s25 dst_sel:DWORD dst_unused:UNUSED_PAD src0_sel:WORD_1 src1_sel:DWORD
	v_lshlrev_b16_sdwa v6, v34, v6 dst_sel:DWORD dst_unused:UNUSED_PAD src0_sel:DWORD src1_sel:WORD_1
	v_sub_i16 v48, v48, v50 clamp
	v_sub_i16 v6, v6, v45 clamp
	v_perm_b32 v6, v6, v48, s26
	s_waitcnt vmcnt(0)
	v_xor_b32_e32 v35, v35, v53
	v_lshl_or_b32 v6, v6, 16, v37
	v_and_b32_e32 v37, 0xffffff00, v35
	v_lshlrev_b16_e32 v45, 8, v35
	v_sub_i16 v37, v37, v52 clamp
	v_sub_i16 v36, v45, v36 clamp
	v_perm_b32 v36, v36, v37, s26
	v_and_b32_sdwa v37, v35, s25 dst_sel:DWORD dst_unused:UNUSED_PAD src0_sel:WORD_1 src1_sel:DWORD
	v_lshlrev_b16_sdwa v35, v34, v35 dst_sel:DWORD dst_unused:UNUSED_PAD src0_sel:DWORD src1_sel:WORD_1
	v_lshlrev_b16_e32 v45, 8, v51
	v_sub_i16 v37, v37, v54 clamp
	v_sub_i16 v35, v35, v45 clamp
	v_perm_b32 v35, v35, v37, s26
	v_lshl_or_b32 v35, v35, 16, v36
	v_dot4_i32_i8 v36, v6, v7, 0
	v_dot4_i32_i8 v45, v35, v8, v36
	v_bfe_u32 v36, v39, 16, 8
	v_lshlrev_b32_e32 v37, 6, v41
	v_and_or_b32 v36, v37, s23, v36
	v_lshlrev_b32_e32 v36, 2, v36
	global_load_dword v36, v36, s[16:17]
	v_lshrrev_b32_e32 v37, 24, v39
	v_lshlrev_b32_e32 v39, 5, v41
	v_and_or_b32 v37, v39, s23, v37
	v_lshlrev_b32_e32 v37, 2, v37
	global_load_dword v37, v37, s[16:17]
	v_lshrrev_b32_e32 v39, 1, v42
	v_and_b32_e32 v39, 0x180, v39
	v_lshrrev_b32_e32 v48, 11, v42
	v_cmp_ne_u16_sdwa s[28:29], v39, v27 src0_sel:BYTE_1 src1_sel:DWORD
	v_lshrrev_b32_e32 v49, 10, v42
	v_lshrrev_b16_e32 v39, 7, v39
	v_cndmask_b32_e64 v50, 0, -1, s[28:29]
	v_bfe_i32 v48, v48, 0, 1
	v_bfe_i32 v39, v39, 0, 1
	v_lshlrev_b16_e32 v50, 8, v50
	v_lshlrev_b16_e32 v48, 8, v48
	v_bfe_i32 v49, v49, 0, 1
	v_or_b32_sdwa v51, v39, v50 dst_sel:DWORD dst_unused:UNUSED_PAD src0_sel:BYTE_0 src1_sel:DWORD
	v_or_b32_sdwa v52, v49, v48 dst_sel:WORD_1 dst_unused:UNUSED_PAD src0_sel:BYTE_0 src1_sel:DWORD
	v_or_b32_sdwa v51, v51, v52 dst_sel:DWORD dst_unused:UNUSED_PAD src0_sel:WORD_0 src1_sel:DWORD
	v_lshrrev_b32_e32 v52, 5, v42
	v_and_b32_e32 v52, 0x180, v52
	v_lshrrev_b32_e32 v53, 15, v42
	v_cmp_ne_u16_sdwa s[28:29], v52, v27 src0_sel:BYTE_1 src1_sel:DWORD
	v_lshrrev_b32_e32 v54, 14, v42
	v_lshrrev_b16_e32 v52, 7, v52
	v_cndmask_b32_e64 v55, 0, -1, s[28:29]
	v_bfe_i32 v53, v53, 0, 1
	v_lshlrev_b16_e32 v39, 8, v39
	v_bfe_i32 v52, v52, 0, 1
	v_lshlrev_b16_e32 v55, 8, v55
	v_lshlrev_b16_e32 v53, 8, v53
	v_bfe_i32 v54, v54, 0, 1
	v_or_b32_sdwa v56, v52, v55 dst_sel:DWORD dst_unused:UNUSED_PAD src0_sel:BYTE_0 src1_sel:DWORD
	v_or_b32_sdwa v57, v54, v53 dst_sel:WORD_1 dst_unused:UNUSED_PAD src0_sel:BYTE_0 src1_sel:DWORD
	v_lshlrev_b16_e32 v49, 8, v49
	v_or_b32_sdwa v56, v56, v57 dst_sel:DWORD dst_unused:UNUSED_PAD src0_sel:WORD_0 src1_sel:DWORD
	s_waitcnt vmcnt(1)
	v_xor_b32_e32 v36, v36, v51
	v_and_b32_e32 v51, 0xffffff00, v36
	v_sub_i16 v50, v51, v50 clamp
	v_lshlrev_b16_e32 v51, 8, v36
	v_sub_i16 v39, v51, v39 clamp
	v_perm_b32 v39, v39, v50, s26
	v_and_b32_sdwa v50, v36, s25 dst_sel:DWORD dst_unused:UNUSED_PAD src0_sel:WORD_1 src1_sel:DWORD
	v_lshlrev_b16_sdwa v36, v34, v36 dst_sel:DWORD dst_unused:UNUSED_PAD src0_sel:DWORD src1_sel:WORD_1
	v_sub_i16 v48, v50, v48 clamp
	v_sub_i16 v36, v36, v49 clamp
	v_perm_b32 v36, v36, v48, s26
	s_waitcnt vmcnt(0)
	v_xor_b32_e32 v37, v37, v56
	v_lshl_or_b32 v36, v36, 16, v39
	v_and_b32_e32 v39, 0xffffff00, v37
	v_lshlrev_b16_e32 v48, 8, v37
	v_lshlrev_b16_e32 v49, 8, v52
	v_sub_i16 v39, v39, v55 clamp
	v_sub_i16 v48, v48, v49 clamp
	v_perm_b32 v39, v48, v39, s26
	v_and_b32_sdwa v48, v37, s25 dst_sel:DWORD dst_unused:UNUSED_PAD src0_sel:WORD_1 src1_sel:DWORD
	v_lshlrev_b16_sdwa v37, v34, v37 dst_sel:DWORD dst_unused:UNUSED_PAD src0_sel:DWORD src1_sel:WORD_1
	v_lshlrev_b16_e32 v49, 8, v54
	v_sub_i16 v48, v48, v53 clamp
	v_sub_i16 v37, v37, v49 clamp
	v_perm_b32 v37, v37, v48, s26
	v_lshl_or_b32 v37, v37, 16, v39
	v_dot4_i32_i8 v39, v36, v9, v45
	v_dot4_i32_i8 v45, v37, v2, v39
	v_and_b32_e32 v39, 0xff, v40
	v_lshlrev_b32_e32 v48, 4, v41
	v_and_or_b32 v39, v48, s23, v39
	v_lshlrev_b32_e32 v39, 2, v39
	global_load_dword v39, v39, s[16:17]
	v_bfe_u32 v48, v40, 8, 8
	v_lshlrev_b32_e32 v49, 3, v41
	v_and_or_b32 v48, v49, s23, v48
	v_lshlrev_b32_e32 v48, 2, v48
	global_load_dword v48, v48, s[16:17]
	v_lshrrev_b32_e32 v49, 9, v42
	v_lshl_or_b32 v49, v38, 21, v49
	v_and_b32_e32 v50, 0x1800180, v49
	v_bfe_u32 v49, v49, 24, 1
	v_cmp_ne_u16_e32 vcc, 0, v49
	v_cmp_ne_u16_sdwa s[28:29], v50, v27 src0_sel:BYTE_1 src1_sel:DWORD
	v_lshrrev_b16_e32 v49, 7, v50
	v_lshrrev_b32_e32 v50, 18, v42
	v_cndmask_b32_e64 v51, 0, -1, s[28:29]
	v_cndmask_b32_e64 v53, 0, -1, vcc
	v_bfe_i32 v49, v49, 0, 1
	v_lshlrev_b16_e32 v51, 8, v51
	v_lshlrev_b16_e32 v53, 8, v53
	v_bfe_i32 v50, v50, 0, 1
	v_or_b32_sdwa v52, v49, v51 dst_sel:DWORD dst_unused:UNUSED_PAD src0_sel:BYTE_0 src1_sel:DWORD
	v_or_b32_sdwa v54, v50, v53 dst_sel:WORD_1 dst_unused:UNUSED_PAD src0_sel:BYTE_0 src1_sel:DWORD
	v_or_b32_sdwa v52, v52, v54 dst_sel:DWORD dst_unused:UNUSED_PAD src0_sel:WORD_0 src1_sel:DWORD
	v_lshrrev_b32_e32 v54, 13, v42
	v_lshl_or_b32 v38, v38, 17, v54
	v_and_b32_e32 v54, 0x1800180, v38
	v_bfe_u32 v38, v38, 24, 1
	v_cmp_ne_u16_e32 vcc, 0, v38
	v_cmp_ne_u16_sdwa s[28:29], v54, v27 src0_sel:BYTE_1 src1_sel:DWORD
	v_lshrrev_b16_e32 v38, 7, v54
	v_lshrrev_b32_e32 v54, 22, v42
	v_bfe_i32 v55, v38, 0, 1
	v_cndmask_b32_e64 v38, 0, -1, s[28:29]
	v_cndmask_b32_e64 v57, 0, -1, vcc
	v_lshlrev_b16_e32 v56, 8, v38
	v_lshlrev_b16_e32 v57, 8, v57
	v_bfe_i32 v54, v54, 0, 1
	v_or_b32_sdwa v38, v55, v56 dst_sel:DWORD dst_unused:UNUSED_PAD src0_sel:BYTE_0 src1_sel:DWORD
	v_or_b32_sdwa v58, v54, v57 dst_sel:WORD_1 dst_unused:UNUSED_PAD src0_sel:BYTE_0 src1_sel:DWORD
	v_or_b32_sdwa v58, v38, v58 dst_sel:DWORD dst_unused:UNUSED_PAD src0_sel:WORD_0 src1_sel:DWORD
	v_lshlrev_b16_e32 v49, 8, v49
	v_lshlrev_b16_e32 v50, 8, v50
	s_waitcnt vmcnt(1)
	v_xor_b32_e32 v38, v39, v52
	v_and_b32_e32 v39, 0xffffff00, v38
	v_sub_i16 v39, v39, v51 clamp
	v_lshlrev_b16_e32 v51, 8, v38
	v_sub_i16 v49, v51, v49 clamp
	v_perm_b32 v39, v49, v39, s26
	v_and_b32_sdwa v49, v38, s25 dst_sel:DWORD dst_unused:UNUSED_PAD src0_sel:WORD_1 src1_sel:DWORD
	v_lshlrev_b16_sdwa v38, v34, v38 dst_sel:DWORD dst_unused:UNUSED_PAD src0_sel:DWORD src1_sel:WORD_1
	v_sub_i16 v49, v49, v53 clamp
	v_sub_i16 v38, v38, v50 clamp
	v_perm_b32 v38, v38, v49, s26
	v_lshl_or_b32 v38, v38, 16, v39
	s_waitcnt vmcnt(0)
	v_xor_b32_e32 v39, v48, v58
	v_and_b32_e32 v48, 0xffffff00, v39
	v_lshlrev_b16_e32 v49, 8, v39
	v_lshlrev_b16_e32 v50, 8, v55
	v_sub_i16 v48, v48, v56 clamp
	v_sub_i16 v49, v49, v50 clamp
	v_perm_b32 v48, v49, v48, s26
	v_and_b32_sdwa v49, v39, s25 dst_sel:DWORD dst_unused:UNUSED_PAD src0_sel:WORD_1 src1_sel:DWORD
	v_lshlrev_b16_sdwa v39, v34, v39 dst_sel:DWORD dst_unused:UNUSED_PAD src0_sel:DWORD src1_sel:WORD_1
	v_lshlrev_b16_e32 v50, 8, v54
	v_sub_i16 v49, v49, v57 clamp
	v_sub_i16 v39, v39, v50 clamp
	v_perm_b32 v39, v39, v49, s26
	v_lshl_or_b32 v39, v39, 16, v48
	v_bfe_u32 v48, v40, 16, 8
	v_lshlrev_b32_e32 v49, 2, v41
	v_and_or_b32 v48, v49, s23, v48
	v_lshlrev_b32_e32 v48, 2, v48
	global_load_dword v48, v48, s[16:17]
	v_lshrrev_b32_e32 v40, 24, v40
	v_lshlrev_b32_e32 v41, 1, v41
	v_and_or_b32 v40, v41, s23, v40
	v_lshlrev_b32_e32 v40, 2, v40
	global_load_dword v41, v40, s[16:17]
	v_lshrrev_b32_e32 v40, 17, v42
	v_lshrrev_b32_e32 v49, 24, v42
	v_lshl_or_b32 v40, v49, 21, v40
	v_and_b32_e32 v49, 0x1800180, v40
	v_bfe_u32 v40, v40, 24, 1
	v_cmp_ne_u16_e32 vcc, 0, v40
	v_cmp_ne_u16_sdwa s[28:29], v49, v27 src0_sel:BYTE_1 src1_sel:DWORD
	v_lshrrev_b16_e32 v40, 7, v49
	v_lshrrev_b32_e32 v49, 26, v42
	v_cndmask_b32_e64 v50, 0, -1, s[28:29]
	v_cndmask_b32_e64 v52, 0, -1, vcc
	v_bfe_i32 v40, v40, 0, 1
	v_lshlrev_b16_e32 v50, 8, v50
	v_lshlrev_b16_e32 v52, 8, v52
	v_bfe_i32 v49, v49, 0, 1
	v_or_b32_sdwa v51, v40, v50 dst_sel:DWORD dst_unused:UNUSED_PAD src0_sel:BYTE_0 src1_sel:DWORD
	v_or_b32_sdwa v53, v49, v52 dst_sel:WORD_1 dst_unused:UNUSED_PAD src0_sel:BYTE_0 src1_sel:DWORD
	v_or_b32_sdwa v51, v51, v53 dst_sel:DWORD dst_unused:UNUSED_PAD src0_sel:WORD_0 src1_sel:DWORD
	v_lshrrev_b32_e32 v53, 21, v42
	v_lshrrev_b32_e32 v55, 31, v42
	v_lshrrev_b16_e32 v54, 8, v53
	v_cmp_ne_u16_e32 vcc, 0, v55
	v_lshrrev_b32_e32 v42, 30, v42
	v_lshrrev_b16_e32 v53, 7, v53
	v_bfe_i32 v54, v54, 0, 1
	v_cndmask_b32_e64 v56, 0, -1, vcc
	v_lshlrev_b16_e32 v40, 8, v40
	v_lshlrev_b16_e32 v54, 8, v54
	v_bfe_i32 v53, v53, 0, 1
	v_bfe_i32 v42, v42, 0, 1
	v_lshlrev_b16_e32 v56, 8, v56
	v_or_b32_sdwa v55, v53, v54 dst_sel:DWORD dst_unused:UNUSED_PAD src0_sel:BYTE_0 src1_sel:DWORD
	v_or_b32_sdwa v57, v42, v56 dst_sel:WORD_1 dst_unused:UNUSED_PAD src0_sel:BYTE_0 src1_sel:DWORD
	v_lshlrev_b16_e32 v49, 8, v49
	v_or_b32_sdwa v55, v55, v57 dst_sel:DWORD dst_unused:UNUSED_PAD src0_sel:WORD_0 src1_sel:DWORD
	v_lshlrev_b16_e32 v42, 8, v42
	v_dot4_i32_i8 v45, v38, v3, v45
	v_dot4_i32_i8 v45, v39, v4, v45
	s_waitcnt vmcnt(1)
	v_xor_b32_e32 v48, v48, v51
	v_and_b32_e32 v51, 0xffffff00, v48
	v_sub_i16 v50, v51, v50 clamp
	v_lshlrev_b16_e32 v51, 8, v48
	v_sub_i16 v40, v51, v40 clamp
	v_perm_b32 v40, v40, v50, s26
	v_and_b32_sdwa v50, v48, s25 dst_sel:DWORD dst_unused:UNUSED_PAD src0_sel:WORD_1 src1_sel:DWORD
	v_lshlrev_b16_sdwa v48, v34, v48 dst_sel:DWORD dst_unused:UNUSED_PAD src0_sel:DWORD src1_sel:WORD_1
	v_sub_i16 v50, v50, v52 clamp
	v_sub_i16 v48, v48, v49 clamp
	v_perm_b32 v48, v48, v50, s26
	s_waitcnt vmcnt(0)
	v_xor_b32_e32 v41, v41, v55
	v_lshl_or_b32 v40, v48, 16, v40
	v_and_b32_e32 v48, 0xffffff00, v41
	v_lshlrev_b16_e32 v49, 8, v41
	v_lshlrev_b16_e32 v50, 8, v53
	v_sub_i16 v48, v48, v54 clamp
	v_sub_i16 v49, v49, v50 clamp
	v_perm_b32 v48, v49, v48, s26
	v_and_b32_sdwa v49, v41, s25 dst_sel:DWORD dst_unused:UNUSED_PAD src0_sel:WORD_1 src1_sel:DWORD
	v_lshlrev_b16_sdwa v41, v34, v41 dst_sel:DWORD dst_unused:UNUSED_PAD src0_sel:DWORD src1_sel:WORD_1
	v_sub_i16 v49, v49, v56 clamp
	v_sub_i16 v41, v41, v42 clamp
	v_perm_b32 v41, v41, v49, s26
	v_lshl_or_b32 v41, v41, 16, v48
	v_add_co_u32_e32 v48, vcc, v43, v29
	v_dot4_i32_i8 v42, v40, v5, v45
	v_addc_co_u32_e32 v49, vcc, 0, v44, vcc
	v_dot4_i32_i8 v45, v41, v47, v42
	global_load_ubyte v42, v[48:49], off offset:106
	s_nop 0
	global_load_ushort v43, v[43:44], off
	s_waitcnt vmcnt(1)
	v_lshrrev_b32_e32 v42, v30, v42
	v_lshlrev_b32_e32 v42, 1, v42
	v_and_or_b32 v42, v42, 30, 1
	v_mul_lo_u32 v45, v45, v42
	s_waitcnt vmcnt(0)
	v_cvt_f32_f16_e32 v43, v43
	v_cvt_f32_i32_e32 v45, v45
	v_mul_f32_e32 v44, v43, v46
	v_fmac_f32_e32 v26, v44, v45
	v_add_u32_e32 v44, s0, v25
	v_mad_i64_i32 v[14:15], s[28:29], v44, s22, v[14:15]
	v_add_u32_e32 v25, 8, v25
	v_add_co_u32_e32 v44, vcc, v14, v32
	v_addc_co_u32_e32 v45, vcc, 0, v15, vcc
	global_load_dwordx2 v[48:49], v[44:45], off offset:2
	v_add_co_u32_e32 v44, vcc, v14, v28
	v_addc_co_u32_e32 v45, vcc, 0, v15, vcc
	global_load_ubyte v50, v[44:45], off offset:66
	v_add_co_u32_e32 v44, vcc, v14, v33
	v_addc_co_u32_e32 v45, vcc, 0, v15, vcc
	global_load_dword v51, v[44:45], off offset:74
	s_waitcnt vmcnt(2)
	v_and_b32_e32 v44, 0xff, v48
	s_waitcnt vmcnt(1)
	v_lshlrev_b32_e32 v45, 8, v50
	v_and_or_b32 v44, v45, s23, v44
	v_lshlrev_b32_e32 v44, 2, v44
	global_load_dword v44, v44, s[16:17]
	v_bfe_u32 v45, v48, 8, 8
	v_lshlrev_b32_e32 v53, 7, v50
	v_and_or_b32 v45, v53, s23, v45
	v_lshlrev_b32_e32 v45, 2, v45
	global_load_dword v45, v45, s[16:17]
	s_waitcnt vmcnt(2)
	v_and_b32_e32 v53, 0xff, v51
	v_lshlrev_b32_e32 v54, 21, v51
	v_lshl_or_b32 v54, v53, 7, v54
	v_and_b32_e32 v55, 0x1800180, v54
	v_bfe_u32 v54, v54, 24, 1
	v_cmp_ne_u16_e32 vcc, 0, v54
	v_cmp_ne_u16_sdwa s[28:29], v55, v27 src0_sel:BYTE_1 src1_sel:DWORD
	v_lshrrev_b16_e32 v54, 7, v55
	v_lshrrev_b32_e32 v55, 2, v51
	v_cndmask_b32_e64 v56, 0, -1, s[28:29]
	v_cndmask_b32_e64 v58, 0, -1, vcc
	v_bfe_i32 v54, v54, 0, 1
	v_lshlrev_b16_e32 v56, 8, v56
	v_lshlrev_b16_e32 v58, 8, v58
	v_bfe_i32 v55, v55, 0, 1
	v_or_b32_sdwa v57, v54, v56 dst_sel:DWORD dst_unused:UNUSED_PAD src0_sel:BYTE_0 src1_sel:DWORD
	v_or_b32_sdwa v59, v55, v58 dst_sel:WORD_1 dst_unused:UNUSED_PAD src0_sel:BYTE_0 src1_sel:DWORD
	v_or_b32_sdwa v57, v57, v59 dst_sel:DWORD dst_unused:UNUSED_PAD src0_sel:WORD_0 src1_sel:DWORD
	v_lshlrev_b32_e32 v59, 17, v51
	v_lshl_or_b32 v53, v53, 3, v59
	v_and_b32_e32 v59, 0x1800180, v53
	v_bfe_u32 v53, v53, 24, 1
	v_cmp_ne_u16_e32 vcc, 0, v53
	v_cmp_ne_u16_sdwa s[28:29], v59, v27 src0_sel:BYTE_1 src1_sel:DWORD
	v_lshrrev_b16_e32 v53, 7, v59
	v_lshrrev_b32_e32 v59, 6, v51
	v_cndmask_b32_e64 v60, 0, -1, s[28:29]
	v_cndmask_b32_e64 v62, 0, -1, vcc
	v_lshlrev_b16_e32 v54, 8, v54
	v_bfe_i32 v53, v53, 0, 1
	v_lshlrev_b16_e32 v60, 8, v60
	v_lshlrev_b16_e32 v62, 8, v62
	v_bfe_i32 v59, v59, 0, 1
	v_or_b32_sdwa v61, v53, v60 dst_sel:DWORD dst_unused:UNUSED_PAD src0_sel:BYTE_0 src1_sel:DWORD
	v_or_b32_sdwa v63, v59, v62 dst_sel:WORD_1 dst_unused:UNUSED_PAD src0_sel:BYTE_0 src1_sel:DWORD
	v_lshlrev_b16_e32 v55, 8, v55
	v_or_b32_sdwa v61, v61, v63 dst_sel:DWORD dst_unused:UNUSED_PAD src0_sel:WORD_0 src1_sel:DWORD
	v_lshlrev_b16_e32 v53, 8, v53
	v_lshrrev_b32_e32 v52, 16, v51
	s_waitcnt vmcnt(1)
	v_xor_b32_e32 v44, v44, v57
	v_and_b32_e32 v57, 0xffffff00, v44
	v_sub_i16 v56, v57, v56 clamp
	v_lshlrev_b16_e32 v57, 8, v44
	v_sub_i16 v54, v57, v54 clamp
	v_perm_b32 v54, v54, v56, s26
	v_and_b32_sdwa v56, v44, s25 dst_sel:DWORD dst_unused:UNUSED_PAD src0_sel:WORD_1 src1_sel:DWORD
	v_lshlrev_b16_sdwa v44, v34, v44 dst_sel:DWORD dst_unused:UNUSED_PAD src0_sel:DWORD src1_sel:WORD_1
	v_sub_i16 v56, v56, v58 clamp
	v_sub_i16 v44, v44, v55 clamp
	v_perm_b32 v44, v44, v56, s26
	s_waitcnt vmcnt(0)
	v_xor_b32_e32 v45, v45, v61
	v_lshl_or_b32 v44, v44, 16, v54
	v_and_b32_e32 v54, 0xffffff00, v45
	v_lshlrev_b16_e32 v55, 8, v45
	v_sub_i16 v54, v54, v60 clamp
	v_sub_i16 v53, v55, v53 clamp
	v_perm_b32 v53, v53, v54, s26
	v_and_b32_sdwa v54, v45, s25 dst_sel:DWORD dst_unused:UNUSED_PAD src0_sel:WORD_1 src1_sel:DWORD
	v_lshlrev_b16_sdwa v45, v34, v45 dst_sel:DWORD dst_unused:UNUSED_PAD src0_sel:DWORD src1_sel:WORD_1
	v_lshlrev_b16_e32 v55, 8, v59
	v_sub_i16 v54, v54, v62 clamp
	v_sub_i16 v45, v45, v55 clamp
	v_perm_b32 v45, v45, v54, s26
	v_lshl_or_b32 v45, v45, 16, v53
	v_dot4_i32_i8 v7, v44, v7, 0
	v_dot4_i32_i8 v53, v45, v8, v7
	v_bfe_u32 v7, v48, 16, 8
	v_lshlrev_b32_e32 v8, 6, v50
	v_and_or_b32 v7, v8, s23, v7
	v_lshlrev_b32_e32 v7, 2, v7
	global_load_dword v7, v7, s[16:17]
	v_lshrrev_b32_e32 v8, 24, v48
	v_lshlrev_b32_e32 v48, 5, v50
	v_and_or_b32 v8, v48, s23, v8
	v_lshlrev_b32_e32 v8, 2, v8
	global_load_dword v8, v8, s[16:17]
	v_lshrrev_b32_e32 v48, 1, v51
	v_and_b32_e32 v48, 0x180, v48
	v_lshrrev_b32_e32 v54, 11, v51
	v_cmp_ne_u16_sdwa s[28:29], v48, v27 src0_sel:BYTE_1 src1_sel:DWORD
	v_lshrrev_b32_e32 v55, 10, v51
	v_lshrrev_b16_e32 v48, 7, v48
	v_cndmask_b32_e64 v56, 0, -1, s[28:29]
	v_bfe_i32 v54, v54, 0, 1
	v_bfe_i32 v48, v48, 0, 1
	v_lshlrev_b16_e32 v56, 8, v56
	v_lshlrev_b16_e32 v54, 8, v54
	v_bfe_i32 v55, v55, 0, 1
	v_or_b32_sdwa v57, v48, v56 dst_sel:DWORD dst_unused:UNUSED_PAD src0_sel:BYTE_0 src1_sel:DWORD
	v_or_b32_sdwa v58, v55, v54 dst_sel:WORD_1 dst_unused:UNUSED_PAD src0_sel:BYTE_0 src1_sel:DWORD
	v_or_b32_sdwa v57, v57, v58 dst_sel:DWORD dst_unused:UNUSED_PAD src0_sel:WORD_0 src1_sel:DWORD
	v_lshrrev_b32_e32 v58, 5, v51
	v_and_b32_e32 v58, 0x180, v58
	v_lshrrev_b32_e32 v59, 15, v51
	v_cmp_ne_u16_sdwa s[28:29], v58, v27 src0_sel:BYTE_1 src1_sel:DWORD
	v_lshrrev_b32_e32 v60, 14, v51
	v_lshrrev_b16_e32 v58, 7, v58
	v_cndmask_b32_e64 v61, 0, -1, s[28:29]
	v_bfe_i32 v59, v59, 0, 1
	v_lshlrev_b16_e32 v48, 8, v48
	v_bfe_i32 v58, v58, 0, 1
	v_lshlrev_b16_e32 v61, 8, v61
	v_lshlrev_b16_e32 v59, 8, v59
	v_bfe_i32 v60, v60, 0, 1
	v_or_b32_sdwa v62, v58, v61 dst_sel:DWORD dst_unused:UNUSED_PAD src0_sel:BYTE_0 src1_sel:DWORD
	v_or_b32_sdwa v63, v60, v59 dst_sel:WORD_1 dst_unused:UNUSED_PAD src0_sel:BYTE_0 src1_sel:DWORD
	v_lshlrev_b16_e32 v55, 8, v55
	v_or_b32_sdwa v62, v62, v63 dst_sel:DWORD dst_unused:UNUSED_PAD src0_sel:WORD_0 src1_sel:DWORD
	s_waitcnt vmcnt(1)
	v_xor_b32_e32 v7, v7, v57
	v_and_b32_e32 v57, 0xffffff00, v7
	v_sub_i16 v56, v57, v56 clamp
	v_lshlrev_b16_e32 v57, 8, v7
	v_sub_i16 v48, v57, v48 clamp
	v_perm_b32 v48, v48, v56, s26
	v_and_b32_sdwa v56, v7, s25 dst_sel:DWORD dst_unused:UNUSED_PAD src0_sel:WORD_1 src1_sel:DWORD
	v_lshlrev_b16_sdwa v7, v34, v7 dst_sel:DWORD dst_unused:UNUSED_PAD src0_sel:DWORD src1_sel:WORD_1
	v_sub_i16 v54, v56, v54 clamp
	v_sub_i16 v7, v7, v55 clamp
	v_perm_b32 v7, v7, v54, s26
	s_waitcnt vmcnt(0)
	v_xor_b32_e32 v8, v8, v62
	v_lshl_or_b32 v7, v7, 16, v48
	v_and_b32_e32 v48, 0xffffff00, v8
	v_lshlrev_b16_e32 v54, 8, v8
	v_lshlrev_b16_e32 v55, 8, v58
	v_sub_i16 v48, v48, v61 clamp
	v_sub_i16 v54, v54, v55 clamp
	v_perm_b32 v48, v54, v48, s26
	v_and_b32_sdwa v54, v8, s25 dst_sel:DWORD dst_unused:UNUSED_PAD src0_sel:WORD_1 src1_sel:DWORD
	v_lshlrev_b16_sdwa v8, v34, v8 dst_sel:DWORD dst_unused:UNUSED_PAD src0_sel:DWORD src1_sel:WORD_1
	v_lshlrev_b16_e32 v55, 8, v60
	v_sub_i16 v54, v54, v59 clamp
	v_sub_i16 v8, v8, v55 clamp
	v_perm_b32 v8, v8, v54, s26
	v_lshl_or_b32 v8, v8, 16, v48
	v_dot4_i32_i8 v9, v7, v9, v53
	v_dot4_i32_i8 v48, v8, v2, v9
	v_and_b32_e32 v2, 0xff, v49
	v_lshlrev_b32_e32 v9, 4, v50
	v_and_or_b32 v2, v9, s23, v2
	v_lshlrev_b32_e32 v2, 2, v2
	global_load_dword v2, v2, s[16:17]
	v_bfe_u32 v9, v49, 8, 8
	v_lshlrev_b32_e32 v53, 3, v50
	v_and_or_b32 v9, v53, s23, v9
	v_lshlrev_b32_e32 v9, 2, v9
	global_load_dword v9, v9, s[16:17]
	v_lshrrev_b32_e32 v53, 9, v51
	v_lshl_or_b32 v53, v52, 21, v53
	v_and_b32_e32 v54, 0x1800180, v53
	v_bfe_u32 v53, v53, 24, 1
	v_cmp_ne_u16_e32 vcc, 0, v53
	v_cmp_ne_u16_sdwa s[28:29], v54, v27 src0_sel:BYTE_1 src1_sel:DWORD
	v_lshrrev_b16_e32 v53, 7, v54
	v_lshrrev_b32_e32 v54, 18, v51
	v_cndmask_b32_e64 v55, 0, -1, s[28:29]
	v_cndmask_b32_e64 v57, 0, -1, vcc
	v_bfe_i32 v53, v53, 0, 1
	v_lshlrev_b16_e32 v55, 8, v55
	v_lshlrev_b16_e32 v57, 8, v57
	v_bfe_i32 v54, v54, 0, 1
	v_or_b32_sdwa v56, v53, v55 dst_sel:DWORD dst_unused:UNUSED_PAD src0_sel:BYTE_0 src1_sel:DWORD
	v_or_b32_sdwa v58, v54, v57 dst_sel:WORD_1 dst_unused:UNUSED_PAD src0_sel:BYTE_0 src1_sel:DWORD
	v_or_b32_sdwa v56, v56, v58 dst_sel:DWORD dst_unused:UNUSED_PAD src0_sel:WORD_0 src1_sel:DWORD
	v_lshrrev_b32_e32 v58, 13, v51
	v_lshl_or_b32 v52, v52, 17, v58
	v_and_b32_e32 v58, 0x1800180, v52
	v_bfe_u32 v52, v52, 24, 1
	v_cmp_ne_u16_e32 vcc, 0, v52
	v_cmp_ne_u16_sdwa s[28:29], v58, v27 src0_sel:BYTE_1 src1_sel:DWORD
	v_lshrrev_b16_e32 v52, 7, v58
	v_lshrrev_b32_e32 v58, 22, v51
	v_cndmask_b32_e64 v59, 0, -1, s[28:29]
	v_cndmask_b32_e64 v61, 0, -1, vcc
	v_lshlrev_b16_e32 v53, 8, v53
	v_bfe_i32 v52, v52, 0, 1
	v_lshlrev_b16_e32 v59, 8, v59
	v_lshlrev_b16_e32 v61, 8, v61
	v_bfe_i32 v58, v58, 0, 1
	v_or_b32_sdwa v60, v52, v59 dst_sel:DWORD dst_unused:UNUSED_PAD src0_sel:BYTE_0 src1_sel:DWORD
	v_or_b32_sdwa v62, v58, v61 dst_sel:WORD_1 dst_unused:UNUSED_PAD src0_sel:BYTE_0 src1_sel:DWORD
	v_lshlrev_b16_e32 v54, 8, v54
	v_or_b32_sdwa v60, v60, v62 dst_sel:DWORD dst_unused:UNUSED_PAD src0_sel:WORD_0 src1_sel:DWORD
	v_lshlrev_b16_e32 v52, 8, v52
	s_waitcnt vmcnt(1)
	v_xor_b32_e32 v2, v2, v56
	v_and_b32_e32 v56, 0xffffff00, v2
	v_sub_i16 v55, v56, v55 clamp
	v_lshlrev_b16_e32 v56, 8, v2
	v_sub_i16 v53, v56, v53 clamp
	v_perm_b32 v53, v53, v55, s26
	v_and_b32_sdwa v55, v2, s25 dst_sel:DWORD dst_unused:UNUSED_PAD src0_sel:WORD_1 src1_sel:DWORD
	v_lshlrev_b16_sdwa v2, v34, v2 dst_sel:DWORD dst_unused:UNUSED_PAD src0_sel:DWORD src1_sel:WORD_1
	v_sub_i16 v55, v55, v57 clamp
	v_sub_i16 v2, v2, v54 clamp
	v_perm_b32 v2, v2, v55, s26
	s_waitcnt vmcnt(0)
	v_xor_b32_e32 v9, v9, v60
	v_lshl_or_b32 v2, v2, 16, v53
	v_and_b32_e32 v53, 0xffffff00, v9
	v_lshlrev_b16_e32 v54, 8, v9
	v_sub_i16 v53, v53, v59 clamp
	v_sub_i16 v52, v54, v52 clamp
	v_perm_b32 v52, v52, v53, s26
	v_and_b32_sdwa v53, v9, s25 dst_sel:DWORD dst_unused:UNUSED_PAD src0_sel:WORD_1 src1_sel:DWORD
	v_lshlrev_b16_sdwa v9, v34, v9 dst_sel:DWORD dst_unused:UNUSED_PAD src0_sel:DWORD src1_sel:WORD_1
	v_lshlrev_b16_e32 v54, 8, v58
	v_sub_i16 v53, v53, v61 clamp
	v_sub_i16 v9, v9, v54 clamp
	v_perm_b32 v9, v9, v53, s26
	v_lshl_or_b32 v9, v9, 16, v52
	v_dot4_i32_i8 v3, v2, v3, v48
	v_dot4_i32_i8 v48, v9, v4, v3
	v_bfe_u32 v3, v49, 16, 8
	v_lshlrev_b32_e32 v4, 2, v50
	v_and_or_b32 v3, v4, s23, v3
	v_lshlrev_b32_e32 v3, 2, v3
	global_load_dword v3, v3, s[16:17]
	v_lshrrev_b32_e32 v4, 24, v49
	v_lshlrev_b32_e32 v49, 1, v50
	v_and_or_b32 v4, v49, s23, v4
	v_lshlrev_b32_e32 v4, 2, v4
	global_load_dword v4, v4, s[16:17]
	v_lshrrev_b32_e32 v49, 17, v51
	v_lshrrev_b32_e32 v50, 24, v51
	v_lshl_or_b32 v49, v50, 21, v49
	v_and_b32_e32 v50, 0x1800180, v49
	v_bfe_u32 v49, v49, 24, 1
	v_cmp_ne_u16_e32 vcc, 0, v49
	v_cmp_ne_u16_sdwa s[16:17], v50, v27 src0_sel:BYTE_1 src1_sel:DWORD
	v_lshrrev_b16_e32 v49, 7, v50
	v_lshrrev_b32_e32 v50, 26, v51
	v_cndmask_b32_e64 v52, 0, -1, s[16:17]
	v_cndmask_b32_e64 v54, 0, -1, vcc
	v_bfe_i32 v49, v49, 0, 1
	v_lshlrev_b16_e32 v52, 8, v52
	v_lshlrev_b16_e32 v54, 8, v54
	v_bfe_i32 v50, v50, 0, 1
	v_or_b32_sdwa v53, v49, v52 dst_sel:DWORD dst_unused:UNUSED_PAD src0_sel:BYTE_0 src1_sel:DWORD
	v_or_b32_sdwa v55, v50, v54 dst_sel:WORD_1 dst_unused:UNUSED_PAD src0_sel:BYTE_0 src1_sel:DWORD
	v_or_b32_sdwa v53, v53, v55 dst_sel:DWORD dst_unused:UNUSED_PAD src0_sel:WORD_0 src1_sel:DWORD
	v_lshrrev_b32_e32 v55, 21, v51
	v_lshrrev_b32_e32 v57, 31, v51
	v_lshrrev_b16_e32 v56, 8, v55
	v_cmp_ne_u16_e32 vcc, 0, v57
	v_lshrrev_b32_e32 v51, 30, v51
	v_lshrrev_b16_e32 v55, 7, v55
	v_bfe_i32 v56, v56, 0, 1
	v_cndmask_b32_e64 v58, 0, -1, vcc
	v_lshlrev_b16_e32 v49, 8, v49
	v_lshlrev_b16_e32 v56, 8, v56
	v_bfe_i32 v55, v55, 0, 1
	v_bfe_i32 v51, v51, 0, 1
	v_lshlrev_b16_e32 v58, 8, v58
	v_or_b32_sdwa v57, v55, v56 dst_sel:DWORD dst_unused:UNUSED_PAD src0_sel:BYTE_0 src1_sel:DWORD
	v_or_b32_sdwa v59, v51, v58 dst_sel:WORD_1 dst_unused:UNUSED_PAD src0_sel:BYTE_0 src1_sel:DWORD
	v_lshlrev_b16_e32 v50, 8, v50
	v_or_b32_sdwa v57, v57, v59 dst_sel:DWORD dst_unused:UNUSED_PAD src0_sel:WORD_0 src1_sel:DWORD
	v_lshlrev_b16_e32 v51, 8, v51
	s_waitcnt vmcnt(1)
	v_xor_b32_e32 v3, v3, v53
	v_and_b32_e32 v53, 0xffffff00, v3
	v_sub_i16 v52, v53, v52 clamp
	v_lshlrev_b16_e32 v53, 8, v3
	v_sub_i16 v49, v53, v49 clamp
	v_perm_b32 v49, v49, v52, s26
	v_and_b32_sdwa v52, v3, s25 dst_sel:DWORD dst_unused:UNUSED_PAD src0_sel:WORD_1 src1_sel:DWORD
	v_lshlrev_b16_sdwa v3, v34, v3 dst_sel:DWORD dst_unused:UNUSED_PAD src0_sel:DWORD src1_sel:WORD_1
	v_sub_i16 v52, v52, v54 clamp
	v_sub_i16 v3, v3, v50 clamp
	v_perm_b32 v3, v3, v52, s26
	s_waitcnt vmcnt(0)
	v_xor_b32_e32 v4, v4, v57
	v_lshl_or_b32 v3, v3, 16, v49
	v_and_b32_e32 v49, 0xffffff00, v4
	v_lshlrev_b16_e32 v50, 8, v4
	v_lshlrev_b16_e32 v52, 8, v55
	v_sub_i16 v49, v49, v56 clamp
	v_sub_i16 v50, v50, v52 clamp
	v_perm_b32 v49, v50, v49, s26
	v_and_b32_sdwa v50, v4, s25 dst_sel:DWORD dst_unused:UNUSED_PAD src0_sel:WORD_1 src1_sel:DWORD
	v_lshlrev_b16_sdwa v4, v34, v4 dst_sel:DWORD dst_unused:UNUSED_PAD src0_sel:DWORD src1_sel:WORD_1
	v_sub_i16 v50, v50, v58 clamp
	v_sub_i16 v4, v4, v51 clamp
	v_perm_b32 v4, v4, v50, s26
	v_lshl_or_b32 v4, v4, 16, v49
	v_dot4_i32_i8 v5, v3, v5, v48
	v_dot4_i32_i8 v5, v4, v47, v5
	v_add_co_u32_e32 v47, vcc, v14, v29
	v_addc_co_u32_e32 v48, vcc, 0, v15, vcc
	global_load_ubyte v47, v[47:48], off offset:106
	v_add_co_u32_e32 v10, vcc, 0x900, v10
	v_addc_co_u32_e32 v11, vcc, 0, v11, vcc
	v_cmp_le_u32_e32 vcc, s9, v25
	s_or_b64 s[12:13], vcc, s[12:13]
	s_waitcnt vmcnt(0)
	v_lshrrev_b32_e32 v47, v30, v47
	v_lshlrev_b32_e32 v47, 1, v47
	v_and_or_b32 v47, v47, 30, 1
	v_mul_lo_u32 v48, v5, v47
	global_load_ushort v5, v[14:15], off
	v_cvt_f32_i32_e32 v15, v48
	s_waitcnt vmcnt(0)
	v_cvt_f32_f16_e32 v5, v5
	v_mul_f32_e32 v14, v5, v46
	v_fmac_f32_e32 v24, v14, v15
	v_add_u32_e32 v14, s1, v31
	v_mad_u64_u32 v[14:15], s[16:17], v14, 36, v[12:13]
	global_load_dword v46, v[14:15], off offset:32
	global_load_dwordx4 v[48:51], v[14:15], off offset:16
	global_load_dwordx4 v[52:55], v[14:15], off
	s_waitcnt vmcnt(0)
	v_dot4_i32_i8 v15, v6, v53, 0
	v_dot4_i32_i8 v15, v35, v54, v15
	v_dot4_i32_i8 v15, v36, v55, v15
	v_dot4_i32_i8 v15, v37, v48, v15
	v_dot4_i32_i8 v15, v38, v49, v15
	v_dot4_i32_i8 v15, v39, v50, v15
	v_dot4_i32_i8 v15, v40, v51, v15
	v_dot4_i32_i8 v15, v41, v46, v15
	v_mul_lo_u32 v15, v15, v42
	v_cvt_f32_f16_e32 v14, v52
	v_cvt_f32_i32_e32 v15, v15
	v_mul_f32_e32 v52, v43, v14
	v_mul_f32_e32 v14, v5, v14
	v_fmac_f32_e32 v23, v52, v15
	v_dot4_i32_i8 v15, v44, v53, 0
	v_dot4_i32_i8 v15, v45, v54, v15
	v_dot4_i32_i8 v15, v7, v55, v15
	v_dot4_i32_i8 v15, v8, v48, v15
	v_dot4_i32_i8 v15, v2, v49, v15
	v_dot4_i32_i8 v15, v9, v50, v15
	v_dot4_i32_i8 v15, v3, v51, v15
	v_dot4_i32_i8 v15, v4, v46, v15
	v_mul_lo_u32 v15, v15, v47
	v_cvt_f32_i32_e32 v15, v15
	v_fmac_f32_e32 v22, v14, v15
	v_add_u32_e32 v14, s24, v31
	v_mad_u64_u32 v[14:15], s[16:17], v14, 36, v[12:13]
	global_load_dword v46, v[14:15], off offset:32
	global_load_dwordx4 v[48:51], v[14:15], off offset:16
	global_load_dwordx4 v[52:55], v[14:15], off
	s_waitcnt vmcnt(0)
	v_dot4_i32_i8 v15, v6, v53, 0
	v_dot4_i32_i8 v15, v35, v54, v15
	v_dot4_i32_i8 v15, v36, v55, v15
	v_dot4_i32_i8 v15, v37, v48, v15
	v_dot4_i32_i8 v15, v38, v49, v15
	v_dot4_i32_i8 v15, v39, v50, v15
	v_dot4_i32_i8 v15, v40, v51, v15
	v_dot4_i32_i8 v15, v41, v46, v15
	v_mul_lo_u32 v15, v15, v42
	v_cvt_f32_f16_e32 v14, v52
	v_cvt_f32_i32_e32 v15, v15
	v_mul_f32_e32 v52, v43, v14
	v_mul_f32_e32 v14, v5, v14
	v_fmac_f32_e32 v21, v52, v15
	v_dot4_i32_i8 v15, v44, v53, 0
	v_dot4_i32_i8 v15, v45, v54, v15
	v_dot4_i32_i8 v15, v7, v55, v15
	v_dot4_i32_i8 v15, v8, v48, v15
	v_dot4_i32_i8 v15, v2, v49, v15
	v_dot4_i32_i8 v15, v9, v50, v15
	v_dot4_i32_i8 v15, v3, v51, v15
	v_dot4_i32_i8 v15, v4, v46, v15
	v_mul_lo_u32 v15, v15, v47
	v_cvt_f32_i32_e32 v15, v15
	;; [unrolled: 31-line block ×3, first 2 shown]
	v_fmac_f32_e32 v18, v14, v15
	v_add_u32_e32 v14, s15, v31
	v_mad_u64_u32 v[14:15], s[16:17], v14, 36, v[12:13]
	global_load_dword v46, v[14:15], off offset:32
	global_load_dwordx4 v[48:51], v[14:15], off offset:16
	global_load_dwordx4 v[52:55], v[14:15], off
	v_add_u32_e32 v31, 64, v31
	s_waitcnt vmcnt(0)
	v_dot4_i32_i8 v6, v6, v53, 0
	v_dot4_i32_i8 v6, v35, v54, v6
	;; [unrolled: 1-line block ×8, first 2 shown]
	v_mul_lo_u32 v6, v6, v42
	v_cvt_f32_f16_e32 v14, v52
	v_cvt_f32_i32_e32 v6, v6
	v_mul_f32_e32 v15, v43, v14
	v_fmac_f32_e32 v17, v15, v6
	v_dot4_i32_i8 v6, v44, v53, 0
	v_dot4_i32_i8 v6, v45, v54, v6
	;; [unrolled: 1-line block ×8, first 2 shown]
	v_mul_lo_u32 v2, v2, v47
	v_mul_f32_e32 v3, v5, v14
	v_cvt_f32_i32_e32 v2, v2
	v_fmac_f32_e32 v16, v3, v2
	s_andn2_b64 exec, exec, s[12:13]
	s_cbranch_execnz .LBB260_2
; %bb.3:
	s_or_b64 exec, exec, s[12:13]
.LBB260_4:
	s_or_b64 exec, exec, s[10:11]
	s_mov_b32 s1, 0
	v_cmp_eq_u32_e32 vcc, 0, v1
	; wave barrier
	s_and_saveexec_b64 s[10:11], vcc
	s_cbranch_execz .LBB260_15
; %bb.5:
	v_mbcnt_lo_u32_b32 v1, -1, 0
	v_mbcnt_hi_u32_b32 v6, -1, v1
	v_and_b32_e32 v1, 64, v6
	v_add_u32_e32 v7, 64, v1
	v_xor_b32_e32 v1, 32, v6
	v_cmp_lt_i32_e32 vcc, v1, v7
	v_cndmask_b32_e32 v1, v6, v1, vcc
	v_lshlrev_b32_e32 v1, 2, v1
	ds_bpermute_b32 v5, v1, v26
	ds_bpermute_b32 v8, v1, v24
	v_xor_b32_e32 v2, 16, v6
	v_cmp_lt_i32_e32 vcc, v2, v7
	v_cndmask_b32_e32 v2, v6, v2, vcc
	v_lshlrev_b32_e32 v2, 2, v2
	s_waitcnt lgkmcnt(1)
	v_add_f32_e32 v5, v26, v5
	s_waitcnt lgkmcnt(0)
	v_add_f32_e32 v8, v24, v8
	ds_bpermute_b32 v10, v2, v5
	ds_bpermute_b32 v11, v2, v8
	v_xor_b32_e32 v3, 8, v6
	v_cmp_lt_i32_e32 vcc, v3, v7
	v_cndmask_b32_e32 v3, v6, v3, vcc
	v_lshlrev_b32_e32 v3, 2, v3
	s_waitcnt lgkmcnt(1)
	v_add_f32_e32 v10, v5, v10
	s_waitcnt lgkmcnt(0)
	v_add_f32_e32 v8, v8, v11
	ds_bpermute_b32 v12, v3, v10
	ds_bpermute_b32 v11, v3, v8
	v_xor_b32_e32 v4, 4, v6
	v_cmp_lt_i32_e32 vcc, v4, v7
	v_cndmask_b32_e32 v4, v6, v4, vcc
	v_lshlrev_b32_e32 v4, 2, v4
	s_waitcnt lgkmcnt(1)
	v_add_f32_e32 v10, v10, v12
	s_waitcnt lgkmcnt(0)
	v_add_f32_e32 v8, v8, v11
	ds_bpermute_b32 v12, v4, v10
	ds_bpermute_b32 v11, v4, v8
	v_xor_b32_e32 v9, 2, v6
	v_cmp_lt_i32_e32 vcc, v9, v7
	v_cndmask_b32_e32 v9, v6, v9, vcc
	v_lshlrev_b32_e32 v5, 2, v9
	v_xor_b32_e32 v9, 1, v6
	v_cmp_lt_i32_e32 vcc, v9, v7
	s_waitcnt lgkmcnt(1)
	v_add_f32_e32 v7, v10, v12
	s_waitcnt lgkmcnt(0)
	v_add_f32_e32 v10, v8, v11
	v_cndmask_b32_e32 v6, v6, v9, vcc
	ds_bpermute_b32 v9, v5, v7
	ds_bpermute_b32 v11, v5, v10
	s_load_dwordx2 s[4:5], s[4:5], 0x38
	s_mul_i32 s3, s14, s7
	v_lshlrev_b32_e32 v8, 2, v6
	s_waitcnt lgkmcnt(0)
	v_add_f32_e32 v6, v7, v9
	v_add_f32_e32 v9, v10, v11
	s_mul_i32 s0, s18, s8
	s_add_i32 s3, s3, s6
	ds_bpermute_b32 v7, v8, v6
	ds_bpermute_b32 v10, v8, v9
	s_add_i32 s0, s3, s0
	s_lshl_b64 s[0:1], s[0:1], 2
	s_add_u32 s4, s4, s0
	v_add_u32_e32 v11, s6, v0
	s_addc_u32 s5, s5, s1
	v_cmp_gt_u32_e32 vcc, 2, v0
	v_cmp_gt_u32_e64 s[0:1], s2, v11
	s_and_b64 s[0:1], vcc, s[0:1]
	s_waitcnt lgkmcnt(1)
	v_add_f32_e32 v6, v6, v7
	s_waitcnt lgkmcnt(0)
	v_add_f32_e32 v7, v9, v10
	s_and_saveexec_b64 s[6:7], s[0:1]
	s_cbranch_execz .LBB260_7
; %bb.6:
	v_cmp_eq_u32_e32 vcc, 1, v0
	v_cndmask_b32_e32 v9, v6, v7, vcc
	v_cmp_eq_u32_e32 vcc, 2, v0
	v_cndmask_b32_e32 v9, v9, v23, vcc
	;; [unrolled: 2-line block ×9, first 2 shown]
	v_lshlrev_b32_e32 v10, 2, v0
	global_store_dword v10, v9, s[4:5]
.LBB260_7:
	s_or_b64 exec, exec, s[6:7]
	ds_bpermute_b32 v9, v1, v23
	ds_bpermute_b32 v10, v1, v22
	s_waitcnt lgkmcnt(1)
	v_add_f32_e32 v9, v23, v9
	s_waitcnt lgkmcnt(0)
	v_add_f32_e32 v10, v22, v10
	ds_bpermute_b32 v11, v2, v9
	ds_bpermute_b32 v12, v2, v10
	s_waitcnt lgkmcnt(1)
	v_add_f32_e32 v9, v9, v11
	s_waitcnt lgkmcnt(0)
	v_add_f32_e32 v10, v10, v12
	;; [unrolled: 6-line block ×6, first 2 shown]
	s_and_saveexec_b64 s[6:7], s[0:1]
	s_cbranch_execz .LBB260_9
; %bb.8:
	v_add_u32_e32 v11, 2, v0
	v_cmp_eq_u32_e32 vcc, 1, v11
	v_cndmask_b32_e32 v12, v6, v7, vcc
	v_cmp_eq_u32_e32 vcc, 2, v11
	v_cndmask_b32_e32 v12, v12, v10, vcc
	;; [unrolled: 2-line block ×9, first 2 shown]
	v_add_u32_e32 v11, s2, v0
	v_mov_b32_e32 v12, 0
	v_lshlrev_b64 v[11:12], 2, v[11:12]
	v_mov_b32_e32 v14, s5
	v_add_co_u32_e32 v11, vcc, s4, v11
	v_addc_co_u32_e32 v12, vcc, v14, v12, vcc
	global_store_dword v[11:12], v13, off
.LBB260_9:
	s_or_b64 exec, exec, s[6:7]
	ds_bpermute_b32 v11, v1, v21
	ds_bpermute_b32 v12, v1, v20
	s_waitcnt lgkmcnt(1)
	v_add_f32_e32 v11, v21, v11
	s_waitcnt lgkmcnt(0)
	v_add_f32_e32 v12, v20, v12
	ds_bpermute_b32 v13, v2, v11
	ds_bpermute_b32 v14, v2, v12
	s_waitcnt lgkmcnt(1)
	v_add_f32_e32 v11, v11, v13
	s_waitcnt lgkmcnt(0)
	v_add_f32_e32 v12, v12, v14
	;; [unrolled: 6-line block ×6, first 2 shown]
	s_and_saveexec_b64 s[6:7], s[0:1]
	s_cbranch_execz .LBB260_11
; %bb.10:
	v_add_u32_e32 v13, 4, v0
	v_cmp_eq_u32_e32 vcc, 1, v13
	v_cndmask_b32_e32 v14, v6, v7, vcc
	v_cmp_eq_u32_e32 vcc, 2, v13
	v_cndmask_b32_e32 v14, v14, v10, vcc
	;; [unrolled: 2-line block ×9, first 2 shown]
	v_lshl_or_b32 v13, s2, 1, v0
	v_mov_b32_e32 v14, 0
	v_lshlrev_b64 v[13:14], 2, v[13:14]
	v_mov_b32_e32 v20, s5
	v_add_co_u32_e32 v13, vcc, s4, v13
	v_addc_co_u32_e32 v14, vcc, v20, v14, vcc
	global_store_dword v[13:14], v15, off
.LBB260_11:
	s_or_b64 exec, exec, s[6:7]
	ds_bpermute_b32 v13, v1, v19
	ds_bpermute_b32 v14, v1, v18
	s_waitcnt lgkmcnt(1)
	v_add_f32_e32 v13, v19, v13
	s_waitcnt lgkmcnt(0)
	v_add_f32_e32 v14, v18, v14
	ds_bpermute_b32 v15, v2, v13
	ds_bpermute_b32 v18, v2, v14
	s_waitcnt lgkmcnt(1)
	v_add_f32_e32 v13, v13, v15
	s_waitcnt lgkmcnt(0)
	v_add_f32_e32 v14, v14, v18
	;; [unrolled: 6-line block ×6, first 2 shown]
	s_and_saveexec_b64 s[6:7], s[0:1]
	s_cbranch_execz .LBB260_13
; %bb.12:
	v_add_u32_e32 v15, 6, v0
	v_cmp_eq_u32_e32 vcc, 1, v15
	v_cndmask_b32_e32 v18, v6, v7, vcc
	v_cmp_eq_u32_e32 vcc, 2, v15
	v_cndmask_b32_e32 v18, v18, v10, vcc
	;; [unrolled: 2-line block ×8, first 2 shown]
	v_mad_u64_u32 v[18:19], s[8:9], s2, 3, v[0:1]
	v_mov_b32_e32 v19, 0
	v_cmp_eq_u32_e32 vcc, 9, v15
	v_lshlrev_b64 v[18:19], 2, v[18:19]
	v_cndmask_b32_e32 v15, v20, v16, vcc
	v_mov_b32_e32 v20, s5
	v_add_co_u32_e32 v18, vcc, s4, v18
	v_addc_co_u32_e32 v19, vcc, v20, v19, vcc
	global_store_dword v[18:19], v15, off
.LBB260_13:
	s_or_b64 exec, exec, s[6:7]
	ds_bpermute_b32 v15, v1, v17
	ds_bpermute_b32 v1, v1, v16
	s_waitcnt lgkmcnt(1)
	v_add_f32_e32 v15, v17, v15
	s_waitcnt lgkmcnt(0)
	v_add_f32_e32 v1, v16, v1
	ds_bpermute_b32 v16, v2, v15
	ds_bpermute_b32 v2, v2, v1
	s_waitcnt lgkmcnt(1)
	v_add_f32_e32 v15, v15, v16
	s_waitcnt lgkmcnt(0)
	v_add_f32_e32 v1, v1, v2
	;; [unrolled: 6-line block ×5, first 2 shown]
	ds_bpermute_b32 v3, v8, v1
	ds_bpermute_b32 v4, v8, v2
	s_and_b64 exec, exec, s[0:1]
	s_cbranch_execz .LBB260_15
; %bb.14:
	s_waitcnt lgkmcnt(1)
	v_add_f32_e32 v1, v1, v3
	v_add_u32_e32 v3, 8, v0
	v_cmp_eq_u32_e32 vcc, 1, v3
	s_waitcnt lgkmcnt(0)
	v_add_f32_e32 v2, v2, v4
	v_cndmask_b32_e32 v4, v6, v7, vcc
	v_cmp_eq_u32_e32 vcc, 2, v3
	v_cndmask_b32_e32 v4, v4, v10, vcc
	v_cmp_eq_u32_e32 vcc, 3, v3
	;; [unrolled: 2-line block ×8, first 2 shown]
	v_cndmask_b32_e32 v2, v1, v2, vcc
	v_lshl_or_b32 v0, s2, 2, v0
	v_mov_b32_e32 v1, 0
	v_lshlrev_b64 v[0:1], 2, v[0:1]
	v_mov_b32_e32 v3, s5
	v_add_co_u32_e32 v0, vcc, s4, v0
	v_addc_co_u32_e32 v1, vcc, v3, v1, vcc
	global_store_dword v[0:1], v2, off
.LBB260_15:
	s_endpgm
	.section	.rodata,"a",@progbits
	.p2align	6, 0x0
	.amdhsa_kernel _ZL13mul_mat_vec_qIL9ggml_type21ELi5ELb0ELb0EEvPKvS2_PKi31ggml_cuda_mm_fusion_args_devicePfj15HIP_vector_typeIjLj3EEjjjS8_jjjS8_jjjj
		.amdhsa_group_segment_fixed_size 0
		.amdhsa_private_segment_fixed_size 0
		.amdhsa_kernarg_size 144
		.amdhsa_user_sgpr_count 6
		.amdhsa_user_sgpr_private_segment_buffer 1
		.amdhsa_user_sgpr_dispatch_ptr 0
		.amdhsa_user_sgpr_queue_ptr 0
		.amdhsa_user_sgpr_kernarg_segment_ptr 1
		.amdhsa_user_sgpr_dispatch_id 0
		.amdhsa_user_sgpr_flat_scratch_init 0
		.amdhsa_user_sgpr_private_segment_size 0
		.amdhsa_uses_dynamic_stack 0
		.amdhsa_system_sgpr_private_segment_wavefront_offset 0
		.amdhsa_system_sgpr_workgroup_id_x 1
		.amdhsa_system_sgpr_workgroup_id_y 1
		.amdhsa_system_sgpr_workgroup_id_z 1
		.amdhsa_system_sgpr_workgroup_info 0
		.amdhsa_system_vgpr_workitem_id 1
		.amdhsa_next_free_vgpr 64
		.amdhsa_next_free_sgpr 30
		.amdhsa_reserve_vcc 1
		.amdhsa_reserve_flat_scratch 0
		.amdhsa_float_round_mode_32 0
		.amdhsa_float_round_mode_16_64 0
		.amdhsa_float_denorm_mode_32 3
		.amdhsa_float_denorm_mode_16_64 3
		.amdhsa_dx10_clamp 1
		.amdhsa_ieee_mode 1
		.amdhsa_fp16_overflow 0
		.amdhsa_exception_fp_ieee_invalid_op 0
		.amdhsa_exception_fp_denorm_src 0
		.amdhsa_exception_fp_ieee_div_zero 0
		.amdhsa_exception_fp_ieee_overflow 0
		.amdhsa_exception_fp_ieee_underflow 0
		.amdhsa_exception_fp_ieee_inexact 0
		.amdhsa_exception_int_div_zero 0
	.end_amdhsa_kernel
	.section	.text._ZL13mul_mat_vec_qIL9ggml_type21ELi5ELb0ELb0EEvPKvS2_PKi31ggml_cuda_mm_fusion_args_devicePfj15HIP_vector_typeIjLj3EEjjjS8_jjjS8_jjjj,"axG",@progbits,_ZL13mul_mat_vec_qIL9ggml_type21ELi5ELb0ELb0EEvPKvS2_PKi31ggml_cuda_mm_fusion_args_devicePfj15HIP_vector_typeIjLj3EEjjjS8_jjjS8_jjjj,comdat
.Lfunc_end260:
	.size	_ZL13mul_mat_vec_qIL9ggml_type21ELi5ELb0ELb0EEvPKvS2_PKi31ggml_cuda_mm_fusion_args_devicePfj15HIP_vector_typeIjLj3EEjjjS8_jjjS8_jjjj, .Lfunc_end260-_ZL13mul_mat_vec_qIL9ggml_type21ELi5ELb0ELb0EEvPKvS2_PKi31ggml_cuda_mm_fusion_args_devicePfj15HIP_vector_typeIjLj3EEjjjS8_jjjS8_jjjj
                                        ; -- End function
	.set _ZL13mul_mat_vec_qIL9ggml_type21ELi5ELb0ELb0EEvPKvS2_PKi31ggml_cuda_mm_fusion_args_devicePfj15HIP_vector_typeIjLj3EEjjjS8_jjjS8_jjjj.num_vgpr, 64
	.set _ZL13mul_mat_vec_qIL9ggml_type21ELi5ELb0ELb0EEvPKvS2_PKi31ggml_cuda_mm_fusion_args_devicePfj15HIP_vector_typeIjLj3EEjjjS8_jjjS8_jjjj.num_agpr, 0
	.set _ZL13mul_mat_vec_qIL9ggml_type21ELi5ELb0ELb0EEvPKvS2_PKi31ggml_cuda_mm_fusion_args_devicePfj15HIP_vector_typeIjLj3EEjjjS8_jjjS8_jjjj.numbered_sgpr, 30
	.set _ZL13mul_mat_vec_qIL9ggml_type21ELi5ELb0ELb0EEvPKvS2_PKi31ggml_cuda_mm_fusion_args_devicePfj15HIP_vector_typeIjLj3EEjjjS8_jjjS8_jjjj.num_named_barrier, 0
	.set _ZL13mul_mat_vec_qIL9ggml_type21ELi5ELb0ELb0EEvPKvS2_PKi31ggml_cuda_mm_fusion_args_devicePfj15HIP_vector_typeIjLj3EEjjjS8_jjjS8_jjjj.private_seg_size, 0
	.set _ZL13mul_mat_vec_qIL9ggml_type21ELi5ELb0ELb0EEvPKvS2_PKi31ggml_cuda_mm_fusion_args_devicePfj15HIP_vector_typeIjLj3EEjjjS8_jjjS8_jjjj.uses_vcc, 1
	.set _ZL13mul_mat_vec_qIL9ggml_type21ELi5ELb0ELb0EEvPKvS2_PKi31ggml_cuda_mm_fusion_args_devicePfj15HIP_vector_typeIjLj3EEjjjS8_jjjS8_jjjj.uses_flat_scratch, 0
	.set _ZL13mul_mat_vec_qIL9ggml_type21ELi5ELb0ELb0EEvPKvS2_PKi31ggml_cuda_mm_fusion_args_devicePfj15HIP_vector_typeIjLj3EEjjjS8_jjjS8_jjjj.has_dyn_sized_stack, 0
	.set _ZL13mul_mat_vec_qIL9ggml_type21ELi5ELb0ELb0EEvPKvS2_PKi31ggml_cuda_mm_fusion_args_devicePfj15HIP_vector_typeIjLj3EEjjjS8_jjjS8_jjjj.has_recursion, 0
	.set _ZL13mul_mat_vec_qIL9ggml_type21ELi5ELb0ELb0EEvPKvS2_PKi31ggml_cuda_mm_fusion_args_devicePfj15HIP_vector_typeIjLj3EEjjjS8_jjjS8_jjjj.has_indirect_call, 0
	.section	.AMDGPU.csdata,"",@progbits
; Kernel info:
; codeLenInByte = 7352
; TotalNumSgprs: 34
; NumVgprs: 64
; ScratchSize: 0
; MemoryBound: 0
; FloatMode: 240
; IeeeMode: 1
; LDSByteSize: 0 bytes/workgroup (compile time only)
; SGPRBlocks: 4
; VGPRBlocks: 15
; NumSGPRsForWavesPerEU: 34
; NumVGPRsForWavesPerEU: 64
; Occupancy: 4
; WaveLimiterHint : 0
; COMPUTE_PGM_RSRC2:SCRATCH_EN: 0
; COMPUTE_PGM_RSRC2:USER_SGPR: 6
; COMPUTE_PGM_RSRC2:TRAP_HANDLER: 0
; COMPUTE_PGM_RSRC2:TGID_X_EN: 1
; COMPUTE_PGM_RSRC2:TGID_Y_EN: 1
; COMPUTE_PGM_RSRC2:TGID_Z_EN: 1
; COMPUTE_PGM_RSRC2:TIDIG_COMP_CNT: 1
	.section	.text._ZL13mul_mat_vec_qIL9ggml_type21ELi6ELb0ELb0EEvPKvS2_PKi31ggml_cuda_mm_fusion_args_devicePfj15HIP_vector_typeIjLj3EEjjjS8_jjjS8_jjjj,"axG",@progbits,_ZL13mul_mat_vec_qIL9ggml_type21ELi6ELb0ELb0EEvPKvS2_PKi31ggml_cuda_mm_fusion_args_devicePfj15HIP_vector_typeIjLj3EEjjjS8_jjjS8_jjjj,comdat
	.globl	_ZL13mul_mat_vec_qIL9ggml_type21ELi6ELb0ELb0EEvPKvS2_PKi31ggml_cuda_mm_fusion_args_devicePfj15HIP_vector_typeIjLj3EEjjjS8_jjjS8_jjjj ; -- Begin function _ZL13mul_mat_vec_qIL9ggml_type21ELi6ELb0ELb0EEvPKvS2_PKi31ggml_cuda_mm_fusion_args_devicePfj15HIP_vector_typeIjLj3EEjjjS8_jjjS8_jjjj
	.p2align	8
	.type	_ZL13mul_mat_vec_qIL9ggml_type21ELi6ELb0ELb0EEvPKvS2_PKi31ggml_cuda_mm_fusion_args_devicePfj15HIP_vector_typeIjLj3EEjjjS8_jjjS8_jjjj,@function
_ZL13mul_mat_vec_qIL9ggml_type21ELi6ELb0ELb0EEvPKvS2_PKi31ggml_cuda_mm_fusion_args_devicePfj15HIP_vector_typeIjLj3EEjjjS8_jjjS8_jjjj: ; @_ZL13mul_mat_vec_qIL9ggml_type21ELi6ELb0ELb0EEvPKvS2_PKi31ggml_cuda_mm_fusion_args_devicePfj15HIP_vector_typeIjLj3EEjjjS8_jjjS8_jjjj
; %bb.0:
	s_load_dword s9, s[4:5], 0x40
	s_load_dwordx4 s[0:3], s[4:5], 0x50
	s_load_dword s25, s[4:5], 0x60
	s_load_dwordx4 s[12:15], s[4:5], 0x68
	;; [unrolled: 2-line block ×3, first 2 shown]
	v_lshl_or_b32 v2, v1, 6, v0
	s_waitcnt lgkmcnt(0)
	s_lshr_b32 s9, s9, 8
	v_lshrrev_b32_e32 v27, 3, v2
	v_mov_b32_e32 v16, 0
	s_lshl_b32 s6, s6, 1
	v_cmp_gt_u32_e32 vcc, s9, v27
	v_mov_b32_e32 v17, v16
	v_mov_b32_e32 v18, v16
	;; [unrolled: 1-line block ×11, first 2 shown]
	s_and_saveexec_b64 s[10:11], vcc
	s_cbranch_execz .LBB261_4
; %bb.1:
	s_mul_hi_u32 s3, s3, s7
	s_add_i32 s3, s7, s3
	s_load_dwordx4 s[20:23], s[4:5], 0x0
	s_lshr_b32 s3, s3, s25
	s_mul_i32 s3, s3, s12
	s_mul_hi_u32 s12, s15, s8
	s_add_i32 s12, s8, s12
	s_lshr_b32 s12, s12, s24
	s_mul_i32 s19, s17, s8
	s_mul_i32 s15, s12, s16
	;; [unrolled: 1-line block ×3, first 2 shown]
	s_mul_hi_u32 s12, s19, 36
	s_waitcnt lgkmcnt(0)
	s_add_u32 s16, s22, s16
	s_addc_u32 s17, s23, s12
	s_mul_i32 s12, s13, s7
	s_mul_hi_u32 s13, s12, 36
	s_mul_i32 s12, s12, 36
	s_add_u32 s16, s16, s12
	s_addc_u32 s17, s17, s13
	v_lshlrev_b32_e32 v2, 1, v0
	s_add_i32 s24, s6, 1
	v_and_b32_e32 v4, 14, v2
	s_add_i32 s15, s15, s3
	v_bfe_u32 v31, v2, 2, 2
	s_mul_i32 s3, s6, s0
	s_mul_i32 s0, s0, s24
	v_mov_b32_e32 v2, s12
	s_add_i32 s3, s15, s3
	s_add_i32 s0, s15, s0
	s_movk_i32 s15, 0x120
	v_mov_b32_e32 v3, s13
	v_mad_u64_u32 v[2:3], s[12:13], v27, s15, v[2:3]
	v_and_b32_e32 v30, 7, v0
	v_mov_b32_e32 v6, s23
	v_mad_u64_u32 v[2:3], s[12:13], s19, 36, v[2:3]
	v_mad_u64_u32 v[12:13], s[16:17], v30, 36, s[16:17]
	;; [unrolled: 1-line block ×3, first 2 shown]
	v_lshlrev_b32_e32 v5, 1, v4
	v_mov_b32_e32 v29, 0
	v_add_co_u32_e32 v2, vcc, s22, v2
	v_addc_co_u32_e32 v3, vcc, v6, v3, vcc
	v_add_co_u32_e32 v10, vcc, 16, v2
	v_and_b32_e32 v32, 4, v5
	v_lshlrev_b32_e32 v33, 3, v27
	s_mul_i32 s15, s1, 5
	s_lshl_b32 s19, s1, 2
	s_mul_i32 s24, s1, 3
	s_lshl_b32 s25, s1, 1
	v_addc_co_u32_e32 v11, vcc, 0, v3, vcc
	s_mov_b64 s[12:13], 0
	s_movk_i32 s22, 0x6e
	v_lshlrev_b32_e32 v34, 1, v5
	v_lshlrev_b32_e32 v35, 1, v4
	s_movk_i32 s23, 0x100
	s_movk_i32 s26, 0xff00
	s_mov_b32 s27, 0xc0c0105
	v_mov_b32_e32 v36, 8
	v_mov_b32_e32 v16, 0
	;; [unrolled: 1-line block ×13, first 2 shown]
.LBB261_2:                              ; =>This Inner Loop Header: Depth=1
	v_mov_b32_e32 v14, s20
	v_add_u32_e32 v37, s3, v27
	v_mov_b32_e32 v15, s21
	v_mad_i64_i32 v[45:46], s[16:17], v37, s22, v[14:15]
	global_load_dword v49, v[10:11], off offset:16
	global_load_dwordx4 v[2:5], v[10:11], off
	global_load_dwordx4 v[6:9], v[10:11], off offset:-16
	s_getpc_b64 s[16:17]
	s_add_u32 s16, s16, _ZL9iq3s_grid@rel32@lo+4
	s_addc_u32 s17, s17, _ZL9iq3s_grid@rel32@hi+12
	v_add_co_u32_e32 v37, vcc, v45, v34
	v_addc_co_u32_e32 v38, vcc, 0, v46, vcc
	global_load_dwordx2 v[41:42], v[37:38], off offset:2
	v_add_co_u32_e32 v37, vcc, v45, v30
	v_addc_co_u32_e32 v38, vcc, 0, v46, vcc
	global_load_ubyte v43, v[37:38], off offset:66
	v_add_co_u32_e32 v37, vcc, v45, v35
	v_addc_co_u32_e32 v38, vcc, 0, v46, vcc
	global_load_dword v44, v[37:38], off offset:74
	s_waitcnt vmcnt(3)
	v_cvt_f32_f16_e32 v48, v6
	s_waitcnt vmcnt(2)
	v_and_b32_e32 v6, 0xff, v41
	s_waitcnt vmcnt(1)
	v_lshlrev_b32_e32 v37, 8, v43
	v_and_or_b32 v6, v37, s23, v6
	v_lshlrev_b32_e32 v6, 2, v6
	global_load_dword v6, v6, s[16:17]
	v_bfe_u32 v37, v41, 8, 8
	v_lshlrev_b32_e32 v38, 7, v43
	v_and_or_b32 v37, v38, s23, v37
	v_lshlrev_b32_e32 v37, 2, v37
	global_load_dword v37, v37, s[16:17]
	s_waitcnt vmcnt(2)
	v_and_b32_e32 v38, 0xff, v44
	v_lshlrev_b32_e32 v39, 21, v44
	v_lshl_or_b32 v39, v38, 7, v39
	v_and_b32_e32 v47, 0x1800180, v39
	v_bfe_u32 v39, v39, 24, 1
	v_cmp_ne_u16_e32 vcc, 0, v39
	v_cmp_ne_u16_sdwa s[28:29], v47, v29 src0_sel:BYTE_1 src1_sel:DWORD
	v_lshrrev_b16_e32 v39, 7, v47
	v_lshrrev_b32_e32 v47, 2, v44
	v_cndmask_b32_e64 v50, 0, -1, s[28:29]
	v_cndmask_b32_e64 v52, 0, -1, vcc
	v_bfe_i32 v39, v39, 0, 1
	v_lshlrev_b16_e32 v50, 8, v50
	v_lshlrev_b16_e32 v52, 8, v52
	v_bfe_i32 v47, v47, 0, 1
	v_or_b32_sdwa v51, v39, v50 dst_sel:DWORD dst_unused:UNUSED_PAD src0_sel:BYTE_0 src1_sel:DWORD
	v_or_b32_sdwa v53, v47, v52 dst_sel:WORD_1 dst_unused:UNUSED_PAD src0_sel:BYTE_0 src1_sel:DWORD
	v_or_b32_sdwa v51, v51, v53 dst_sel:DWORD dst_unused:UNUSED_PAD src0_sel:WORD_0 src1_sel:DWORD
	v_lshlrev_b32_e32 v53, 17, v44
	v_lshl_or_b32 v38, v38, 3, v53
	v_and_b32_e32 v53, 0x1800180, v38
	v_bfe_u32 v38, v38, 24, 1
	v_cmp_ne_u16_e32 vcc, 0, v38
	v_cmp_ne_u16_sdwa s[28:29], v53, v29 src0_sel:BYTE_1 src1_sel:DWORD
	v_lshrrev_b16_e32 v38, 7, v53
	v_lshrrev_b32_e32 v53, 6, v44
	v_cndmask_b32_e64 v54, 0, -1, s[28:29]
	v_cndmask_b32_e64 v56, 0, -1, vcc
	v_lshlrev_b16_e32 v39, 8, v39
	v_bfe_i32 v38, v38, 0, 1
	v_lshlrev_b16_e32 v54, 8, v54
	v_lshlrev_b16_e32 v56, 8, v56
	v_bfe_i32 v53, v53, 0, 1
	v_or_b32_sdwa v55, v38, v54 dst_sel:DWORD dst_unused:UNUSED_PAD src0_sel:BYTE_0 src1_sel:DWORD
	v_or_b32_sdwa v57, v53, v56 dst_sel:WORD_1 dst_unused:UNUSED_PAD src0_sel:BYTE_0 src1_sel:DWORD
	v_lshlrev_b16_e32 v47, 8, v47
	v_or_b32_sdwa v55, v55, v57 dst_sel:DWORD dst_unused:UNUSED_PAD src0_sel:WORD_0 src1_sel:DWORD
	v_lshlrev_b16_e32 v38, 8, v38
	v_lshrrev_b32_e32 v40, 16, v44
	s_waitcnt vmcnt(1)
	v_xor_b32_e32 v6, v6, v51
	v_and_b32_e32 v51, 0xffffff00, v6
	v_sub_i16 v50, v51, v50 clamp
	v_lshlrev_b16_e32 v51, 8, v6
	v_sub_i16 v39, v51, v39 clamp
	v_perm_b32 v39, v39, v50, s27
	v_and_b32_sdwa v50, v6, s26 dst_sel:DWORD dst_unused:UNUSED_PAD src0_sel:WORD_1 src1_sel:DWORD
	v_lshlrev_b16_sdwa v6, v36, v6 dst_sel:DWORD dst_unused:UNUSED_PAD src0_sel:DWORD src1_sel:WORD_1
	v_sub_i16 v50, v50, v52 clamp
	v_sub_i16 v6, v6, v47 clamp
	v_perm_b32 v6, v6, v50, s27
	s_waitcnt vmcnt(0)
	v_xor_b32_e32 v37, v37, v55
	v_lshl_or_b32 v6, v6, 16, v39
	v_and_b32_e32 v39, 0xffffff00, v37
	v_lshlrev_b16_e32 v47, 8, v37
	v_sub_i16 v39, v39, v54 clamp
	v_sub_i16 v38, v47, v38 clamp
	v_perm_b32 v38, v38, v39, s27
	v_and_b32_sdwa v39, v37, s26 dst_sel:DWORD dst_unused:UNUSED_PAD src0_sel:WORD_1 src1_sel:DWORD
	v_lshlrev_b16_sdwa v37, v36, v37 dst_sel:DWORD dst_unused:UNUSED_PAD src0_sel:DWORD src1_sel:WORD_1
	v_lshlrev_b16_e32 v47, 8, v53
	v_sub_i16 v39, v39, v56 clamp
	v_sub_i16 v37, v37, v47 clamp
	v_perm_b32 v37, v37, v39, s27
	v_lshl_or_b32 v37, v37, 16, v38
	v_dot4_i32_i8 v38, v6, v7, 0
	v_dot4_i32_i8 v47, v37, v8, v38
	v_bfe_u32 v38, v41, 16, 8
	v_lshlrev_b32_e32 v39, 6, v43
	v_and_or_b32 v38, v39, s23, v38
	v_lshlrev_b32_e32 v38, 2, v38
	global_load_dword v38, v38, s[16:17]
	v_lshrrev_b32_e32 v39, 24, v41
	v_lshlrev_b32_e32 v41, 5, v43
	v_and_or_b32 v39, v41, s23, v39
	v_lshlrev_b32_e32 v39, 2, v39
	global_load_dword v39, v39, s[16:17]
	v_lshrrev_b32_e32 v41, 1, v44
	v_and_b32_e32 v41, 0x180, v41
	v_lshrrev_b32_e32 v50, 11, v44
	v_cmp_ne_u16_sdwa s[28:29], v41, v29 src0_sel:BYTE_1 src1_sel:DWORD
	v_lshrrev_b32_e32 v51, 10, v44
	v_lshrrev_b16_e32 v41, 7, v41
	v_cndmask_b32_e64 v52, 0, -1, s[28:29]
	v_bfe_i32 v50, v50, 0, 1
	v_bfe_i32 v41, v41, 0, 1
	v_lshlrev_b16_e32 v52, 8, v52
	v_lshlrev_b16_e32 v50, 8, v50
	v_bfe_i32 v51, v51, 0, 1
	v_or_b32_sdwa v53, v41, v52 dst_sel:DWORD dst_unused:UNUSED_PAD src0_sel:BYTE_0 src1_sel:DWORD
	v_or_b32_sdwa v54, v51, v50 dst_sel:WORD_1 dst_unused:UNUSED_PAD src0_sel:BYTE_0 src1_sel:DWORD
	v_or_b32_sdwa v53, v53, v54 dst_sel:DWORD dst_unused:UNUSED_PAD src0_sel:WORD_0 src1_sel:DWORD
	v_lshrrev_b32_e32 v54, 5, v44
	v_and_b32_e32 v54, 0x180, v54
	v_lshrrev_b32_e32 v55, 15, v44
	v_cmp_ne_u16_sdwa s[28:29], v54, v29 src0_sel:BYTE_1 src1_sel:DWORD
	v_lshrrev_b32_e32 v56, 14, v44
	v_lshrrev_b16_e32 v54, 7, v54
	v_cndmask_b32_e64 v57, 0, -1, s[28:29]
	v_bfe_i32 v55, v55, 0, 1
	v_lshlrev_b16_e32 v41, 8, v41
	v_bfe_i32 v54, v54, 0, 1
	v_lshlrev_b16_e32 v57, 8, v57
	v_lshlrev_b16_e32 v55, 8, v55
	v_bfe_i32 v56, v56, 0, 1
	v_or_b32_sdwa v58, v54, v57 dst_sel:DWORD dst_unused:UNUSED_PAD src0_sel:BYTE_0 src1_sel:DWORD
	v_or_b32_sdwa v59, v56, v55 dst_sel:WORD_1 dst_unused:UNUSED_PAD src0_sel:BYTE_0 src1_sel:DWORD
	v_lshlrev_b16_e32 v51, 8, v51
	v_or_b32_sdwa v58, v58, v59 dst_sel:DWORD dst_unused:UNUSED_PAD src0_sel:WORD_0 src1_sel:DWORD
	s_waitcnt vmcnt(1)
	v_xor_b32_e32 v38, v38, v53
	v_and_b32_e32 v53, 0xffffff00, v38
	v_sub_i16 v52, v53, v52 clamp
	v_lshlrev_b16_e32 v53, 8, v38
	v_sub_i16 v41, v53, v41 clamp
	v_perm_b32 v41, v41, v52, s27
	v_and_b32_sdwa v52, v38, s26 dst_sel:DWORD dst_unused:UNUSED_PAD src0_sel:WORD_1 src1_sel:DWORD
	v_lshlrev_b16_sdwa v38, v36, v38 dst_sel:DWORD dst_unused:UNUSED_PAD src0_sel:DWORD src1_sel:WORD_1
	v_sub_i16 v50, v52, v50 clamp
	v_sub_i16 v38, v38, v51 clamp
	v_perm_b32 v38, v38, v50, s27
	s_waitcnt vmcnt(0)
	v_xor_b32_e32 v39, v39, v58
	v_lshl_or_b32 v38, v38, 16, v41
	v_and_b32_e32 v41, 0xffffff00, v39
	v_lshlrev_b16_e32 v50, 8, v39
	v_lshlrev_b16_e32 v51, 8, v54
	v_sub_i16 v41, v41, v57 clamp
	v_sub_i16 v50, v50, v51 clamp
	v_perm_b32 v41, v50, v41, s27
	v_and_b32_sdwa v50, v39, s26 dst_sel:DWORD dst_unused:UNUSED_PAD src0_sel:WORD_1 src1_sel:DWORD
	v_lshlrev_b16_sdwa v39, v36, v39 dst_sel:DWORD dst_unused:UNUSED_PAD src0_sel:DWORD src1_sel:WORD_1
	v_lshlrev_b16_e32 v51, 8, v56
	v_sub_i16 v50, v50, v55 clamp
	v_sub_i16 v39, v39, v51 clamp
	v_perm_b32 v39, v39, v50, s27
	v_lshl_or_b32 v39, v39, 16, v41
	v_dot4_i32_i8 v41, v38, v9, v47
	v_dot4_i32_i8 v47, v39, v2, v41
	v_and_b32_e32 v41, 0xff, v42
	v_lshlrev_b32_e32 v50, 4, v43
	v_and_or_b32 v41, v50, s23, v41
	v_lshlrev_b32_e32 v41, 2, v41
	global_load_dword v41, v41, s[16:17]
	v_bfe_u32 v50, v42, 8, 8
	v_lshlrev_b32_e32 v51, 3, v43
	v_and_or_b32 v50, v51, s23, v50
	v_lshlrev_b32_e32 v50, 2, v50
	global_load_dword v50, v50, s[16:17]
	v_lshrrev_b32_e32 v51, 9, v44
	v_lshl_or_b32 v51, v40, 21, v51
	v_and_b32_e32 v52, 0x1800180, v51
	v_bfe_u32 v51, v51, 24, 1
	v_cmp_ne_u16_e32 vcc, 0, v51
	v_cmp_ne_u16_sdwa s[28:29], v52, v29 src0_sel:BYTE_1 src1_sel:DWORD
	v_lshrrev_b16_e32 v51, 7, v52
	v_lshrrev_b32_e32 v52, 18, v44
	v_cndmask_b32_e64 v53, 0, -1, s[28:29]
	v_cndmask_b32_e64 v55, 0, -1, vcc
	v_bfe_i32 v51, v51, 0, 1
	v_lshlrev_b16_e32 v53, 8, v53
	v_lshlrev_b16_e32 v55, 8, v55
	v_bfe_i32 v52, v52, 0, 1
	v_or_b32_sdwa v54, v51, v53 dst_sel:DWORD dst_unused:UNUSED_PAD src0_sel:BYTE_0 src1_sel:DWORD
	v_or_b32_sdwa v56, v52, v55 dst_sel:WORD_1 dst_unused:UNUSED_PAD src0_sel:BYTE_0 src1_sel:DWORD
	v_or_b32_sdwa v54, v54, v56 dst_sel:DWORD dst_unused:UNUSED_PAD src0_sel:WORD_0 src1_sel:DWORD
	v_lshrrev_b32_e32 v56, 13, v44
	v_lshl_or_b32 v40, v40, 17, v56
	v_and_b32_e32 v56, 0x1800180, v40
	v_bfe_u32 v40, v40, 24, 1
	v_cmp_ne_u16_e32 vcc, 0, v40
	v_cmp_ne_u16_sdwa s[28:29], v56, v29 src0_sel:BYTE_1 src1_sel:DWORD
	v_lshrrev_b16_e32 v40, 7, v56
	v_lshrrev_b32_e32 v56, 22, v44
	v_bfe_i32 v57, v40, 0, 1
	v_cndmask_b32_e64 v40, 0, -1, s[28:29]
	v_cndmask_b32_e64 v59, 0, -1, vcc
	v_lshlrev_b16_e32 v58, 8, v40
	v_lshlrev_b16_e32 v59, 8, v59
	v_bfe_i32 v56, v56, 0, 1
	v_or_b32_sdwa v40, v57, v58 dst_sel:DWORD dst_unused:UNUSED_PAD src0_sel:BYTE_0 src1_sel:DWORD
	v_or_b32_sdwa v60, v56, v59 dst_sel:WORD_1 dst_unused:UNUSED_PAD src0_sel:BYTE_0 src1_sel:DWORD
	v_or_b32_sdwa v60, v40, v60 dst_sel:DWORD dst_unused:UNUSED_PAD src0_sel:WORD_0 src1_sel:DWORD
	v_lshlrev_b16_e32 v51, 8, v51
	v_lshlrev_b16_e32 v52, 8, v52
	s_waitcnt vmcnt(1)
	v_xor_b32_e32 v40, v41, v54
	v_and_b32_e32 v41, 0xffffff00, v40
	v_sub_i16 v41, v41, v53 clamp
	v_lshlrev_b16_e32 v53, 8, v40
	v_sub_i16 v51, v53, v51 clamp
	v_perm_b32 v41, v51, v41, s27
	v_and_b32_sdwa v51, v40, s26 dst_sel:DWORD dst_unused:UNUSED_PAD src0_sel:WORD_1 src1_sel:DWORD
	v_lshlrev_b16_sdwa v40, v36, v40 dst_sel:DWORD dst_unused:UNUSED_PAD src0_sel:DWORD src1_sel:WORD_1
	v_sub_i16 v51, v51, v55 clamp
	v_sub_i16 v40, v40, v52 clamp
	v_perm_b32 v40, v40, v51, s27
	v_lshl_or_b32 v40, v40, 16, v41
	s_waitcnt vmcnt(0)
	v_xor_b32_e32 v41, v50, v60
	v_and_b32_e32 v50, 0xffffff00, v41
	v_lshlrev_b16_e32 v51, 8, v41
	v_lshlrev_b16_e32 v52, 8, v57
	v_sub_i16 v50, v50, v58 clamp
	v_sub_i16 v51, v51, v52 clamp
	v_perm_b32 v50, v51, v50, s27
	v_and_b32_sdwa v51, v41, s26 dst_sel:DWORD dst_unused:UNUSED_PAD src0_sel:WORD_1 src1_sel:DWORD
	v_lshlrev_b16_sdwa v41, v36, v41 dst_sel:DWORD dst_unused:UNUSED_PAD src0_sel:DWORD src1_sel:WORD_1
	v_lshlrev_b16_e32 v52, 8, v56
	v_sub_i16 v51, v51, v59 clamp
	v_sub_i16 v41, v41, v52 clamp
	v_perm_b32 v41, v41, v51, s27
	v_lshl_or_b32 v41, v41, 16, v50
	v_bfe_u32 v50, v42, 16, 8
	v_lshlrev_b32_e32 v51, 2, v43
	v_and_or_b32 v50, v51, s23, v50
	v_lshlrev_b32_e32 v50, 2, v50
	global_load_dword v50, v50, s[16:17]
	v_lshrrev_b32_e32 v42, 24, v42
	v_lshlrev_b32_e32 v43, 1, v43
	v_and_or_b32 v42, v43, s23, v42
	v_lshlrev_b32_e32 v42, 2, v42
	global_load_dword v43, v42, s[16:17]
	v_lshrrev_b32_e32 v42, 17, v44
	v_lshrrev_b32_e32 v51, 24, v44
	v_lshl_or_b32 v42, v51, 21, v42
	v_and_b32_e32 v51, 0x1800180, v42
	v_bfe_u32 v42, v42, 24, 1
	v_cmp_ne_u16_e32 vcc, 0, v42
	v_cmp_ne_u16_sdwa s[28:29], v51, v29 src0_sel:BYTE_1 src1_sel:DWORD
	v_lshrrev_b16_e32 v42, 7, v51
	v_lshrrev_b32_e32 v51, 26, v44
	v_cndmask_b32_e64 v52, 0, -1, s[28:29]
	v_cndmask_b32_e64 v54, 0, -1, vcc
	v_bfe_i32 v42, v42, 0, 1
	v_lshlrev_b16_e32 v52, 8, v52
	v_lshlrev_b16_e32 v54, 8, v54
	v_bfe_i32 v51, v51, 0, 1
	v_or_b32_sdwa v53, v42, v52 dst_sel:DWORD dst_unused:UNUSED_PAD src0_sel:BYTE_0 src1_sel:DWORD
	v_or_b32_sdwa v55, v51, v54 dst_sel:WORD_1 dst_unused:UNUSED_PAD src0_sel:BYTE_0 src1_sel:DWORD
	v_or_b32_sdwa v53, v53, v55 dst_sel:DWORD dst_unused:UNUSED_PAD src0_sel:WORD_0 src1_sel:DWORD
	v_lshrrev_b32_e32 v55, 21, v44
	v_lshrrev_b32_e32 v57, 31, v44
	v_lshrrev_b16_e32 v56, 8, v55
	v_cmp_ne_u16_e32 vcc, 0, v57
	v_lshrrev_b32_e32 v44, 30, v44
	v_lshrrev_b16_e32 v55, 7, v55
	v_bfe_i32 v56, v56, 0, 1
	v_cndmask_b32_e64 v58, 0, -1, vcc
	v_lshlrev_b16_e32 v42, 8, v42
	v_lshlrev_b16_e32 v56, 8, v56
	v_bfe_i32 v55, v55, 0, 1
	v_bfe_i32 v44, v44, 0, 1
	v_lshlrev_b16_e32 v58, 8, v58
	v_or_b32_sdwa v57, v55, v56 dst_sel:DWORD dst_unused:UNUSED_PAD src0_sel:BYTE_0 src1_sel:DWORD
	v_or_b32_sdwa v59, v44, v58 dst_sel:WORD_1 dst_unused:UNUSED_PAD src0_sel:BYTE_0 src1_sel:DWORD
	v_lshlrev_b16_e32 v51, 8, v51
	v_or_b32_sdwa v57, v57, v59 dst_sel:DWORD dst_unused:UNUSED_PAD src0_sel:WORD_0 src1_sel:DWORD
	v_lshlrev_b16_e32 v44, 8, v44
	v_dot4_i32_i8 v47, v40, v3, v47
	v_dot4_i32_i8 v47, v41, v4, v47
	s_waitcnt vmcnt(1)
	v_xor_b32_e32 v50, v50, v53
	v_and_b32_e32 v53, 0xffffff00, v50
	v_sub_i16 v52, v53, v52 clamp
	v_lshlrev_b16_e32 v53, 8, v50
	v_sub_i16 v42, v53, v42 clamp
	v_perm_b32 v42, v42, v52, s27
	v_and_b32_sdwa v52, v50, s26 dst_sel:DWORD dst_unused:UNUSED_PAD src0_sel:WORD_1 src1_sel:DWORD
	v_lshlrev_b16_sdwa v50, v36, v50 dst_sel:DWORD dst_unused:UNUSED_PAD src0_sel:DWORD src1_sel:WORD_1
	v_sub_i16 v52, v52, v54 clamp
	v_sub_i16 v50, v50, v51 clamp
	v_perm_b32 v50, v50, v52, s27
	s_waitcnt vmcnt(0)
	v_xor_b32_e32 v43, v43, v57
	v_lshl_or_b32 v42, v50, 16, v42
	v_and_b32_e32 v50, 0xffffff00, v43
	v_lshlrev_b16_e32 v51, 8, v43
	v_lshlrev_b16_e32 v52, 8, v55
	v_sub_i16 v50, v50, v56 clamp
	v_sub_i16 v51, v51, v52 clamp
	v_perm_b32 v50, v51, v50, s27
	v_and_b32_sdwa v51, v43, s26 dst_sel:DWORD dst_unused:UNUSED_PAD src0_sel:WORD_1 src1_sel:DWORD
	v_lshlrev_b16_sdwa v43, v36, v43 dst_sel:DWORD dst_unused:UNUSED_PAD src0_sel:DWORD src1_sel:WORD_1
	v_sub_i16 v51, v51, v58 clamp
	v_sub_i16 v43, v43, v44 clamp
	v_perm_b32 v43, v43, v51, s27
	v_lshl_or_b32 v43, v43, 16, v50
	v_add_co_u32_e32 v50, vcc, v45, v31
	v_dot4_i32_i8 v44, v42, v5, v47
	v_addc_co_u32_e32 v51, vcc, 0, v46, vcc
	v_dot4_i32_i8 v47, v43, v49, v44
	global_load_ubyte v44, v[50:51], off offset:106
	s_nop 0
	global_load_ushort v45, v[45:46], off
	s_waitcnt vmcnt(1)
	v_lshrrev_b32_e32 v44, v32, v44
	v_lshlrev_b32_e32 v44, 1, v44
	v_and_or_b32 v44, v44, 30, 1
	v_mul_lo_u32 v47, v47, v44
	s_waitcnt vmcnt(0)
	v_cvt_f32_f16_e32 v45, v45
	v_cvt_f32_i32_e32 v47, v47
	v_mul_f32_e32 v46, v45, v48
	v_fmac_f32_e32 v28, v46, v47
	v_add_u32_e32 v46, s0, v27
	v_mad_i64_i32 v[14:15], s[28:29], v46, s22, v[14:15]
	v_add_u32_e32 v27, 8, v27
	v_add_co_u32_e32 v46, vcc, v14, v34
	v_addc_co_u32_e32 v47, vcc, 0, v15, vcc
	global_load_dwordx2 v[50:51], v[46:47], off offset:2
	v_add_co_u32_e32 v46, vcc, v14, v30
	v_addc_co_u32_e32 v47, vcc, 0, v15, vcc
	global_load_ubyte v52, v[46:47], off offset:66
	v_add_co_u32_e32 v46, vcc, v14, v35
	v_addc_co_u32_e32 v47, vcc, 0, v15, vcc
	global_load_dword v53, v[46:47], off offset:74
	s_waitcnt vmcnt(2)
	v_and_b32_e32 v46, 0xff, v50
	s_waitcnt vmcnt(1)
	v_lshlrev_b32_e32 v47, 8, v52
	v_and_or_b32 v46, v47, s23, v46
	v_lshlrev_b32_e32 v46, 2, v46
	global_load_dword v46, v46, s[16:17]
	v_bfe_u32 v47, v50, 8, 8
	v_lshlrev_b32_e32 v55, 7, v52
	v_and_or_b32 v47, v55, s23, v47
	v_lshlrev_b32_e32 v47, 2, v47
	global_load_dword v47, v47, s[16:17]
	s_waitcnt vmcnt(2)
	v_and_b32_e32 v55, 0xff, v53
	v_lshlrev_b32_e32 v56, 21, v53
	v_lshl_or_b32 v56, v55, 7, v56
	v_and_b32_e32 v57, 0x1800180, v56
	v_bfe_u32 v56, v56, 24, 1
	v_cmp_ne_u16_e32 vcc, 0, v56
	v_cmp_ne_u16_sdwa s[28:29], v57, v29 src0_sel:BYTE_1 src1_sel:DWORD
	v_lshrrev_b16_e32 v56, 7, v57
	v_lshrrev_b32_e32 v57, 2, v53
	v_cndmask_b32_e64 v58, 0, -1, s[28:29]
	v_cndmask_b32_e64 v60, 0, -1, vcc
	v_bfe_i32 v56, v56, 0, 1
	v_lshlrev_b16_e32 v58, 8, v58
	v_lshlrev_b16_e32 v60, 8, v60
	v_bfe_i32 v57, v57, 0, 1
	v_or_b32_sdwa v59, v56, v58 dst_sel:DWORD dst_unused:UNUSED_PAD src0_sel:BYTE_0 src1_sel:DWORD
	v_or_b32_sdwa v61, v57, v60 dst_sel:WORD_1 dst_unused:UNUSED_PAD src0_sel:BYTE_0 src1_sel:DWORD
	v_or_b32_sdwa v59, v59, v61 dst_sel:DWORD dst_unused:UNUSED_PAD src0_sel:WORD_0 src1_sel:DWORD
	v_lshlrev_b32_e32 v61, 17, v53
	v_lshl_or_b32 v55, v55, 3, v61
	v_and_b32_e32 v61, 0x1800180, v55
	v_bfe_u32 v55, v55, 24, 1
	v_cmp_ne_u16_e32 vcc, 0, v55
	v_cmp_ne_u16_sdwa s[28:29], v61, v29 src0_sel:BYTE_1 src1_sel:DWORD
	v_lshrrev_b16_e32 v55, 7, v61
	v_lshrrev_b32_e32 v61, 6, v53
	v_cndmask_b32_e64 v62, 0, -1, s[28:29]
	v_cndmask_b32_e64 v64, 0, -1, vcc
	v_lshlrev_b16_e32 v56, 8, v56
	v_bfe_i32 v55, v55, 0, 1
	v_lshlrev_b16_e32 v62, 8, v62
	v_lshlrev_b16_e32 v64, 8, v64
	v_bfe_i32 v61, v61, 0, 1
	v_or_b32_sdwa v63, v55, v62 dst_sel:DWORD dst_unused:UNUSED_PAD src0_sel:BYTE_0 src1_sel:DWORD
	v_or_b32_sdwa v65, v61, v64 dst_sel:WORD_1 dst_unused:UNUSED_PAD src0_sel:BYTE_0 src1_sel:DWORD
	v_lshlrev_b16_e32 v57, 8, v57
	v_or_b32_sdwa v63, v63, v65 dst_sel:DWORD dst_unused:UNUSED_PAD src0_sel:WORD_0 src1_sel:DWORD
	v_lshlrev_b16_e32 v55, 8, v55
	v_lshrrev_b32_e32 v54, 16, v53
	s_waitcnt vmcnt(1)
	v_xor_b32_e32 v46, v46, v59
	v_and_b32_e32 v59, 0xffffff00, v46
	v_sub_i16 v58, v59, v58 clamp
	v_lshlrev_b16_e32 v59, 8, v46
	v_sub_i16 v56, v59, v56 clamp
	v_perm_b32 v56, v56, v58, s27
	v_and_b32_sdwa v58, v46, s26 dst_sel:DWORD dst_unused:UNUSED_PAD src0_sel:WORD_1 src1_sel:DWORD
	v_lshlrev_b16_sdwa v46, v36, v46 dst_sel:DWORD dst_unused:UNUSED_PAD src0_sel:DWORD src1_sel:WORD_1
	v_sub_i16 v58, v58, v60 clamp
	v_sub_i16 v46, v46, v57 clamp
	v_perm_b32 v46, v46, v58, s27
	s_waitcnt vmcnt(0)
	v_xor_b32_e32 v47, v47, v63
	v_lshl_or_b32 v46, v46, 16, v56
	v_and_b32_e32 v56, 0xffffff00, v47
	v_lshlrev_b16_e32 v57, 8, v47
	v_sub_i16 v56, v56, v62 clamp
	v_sub_i16 v55, v57, v55 clamp
	v_perm_b32 v55, v55, v56, s27
	v_and_b32_sdwa v56, v47, s26 dst_sel:DWORD dst_unused:UNUSED_PAD src0_sel:WORD_1 src1_sel:DWORD
	v_lshlrev_b16_sdwa v47, v36, v47 dst_sel:DWORD dst_unused:UNUSED_PAD src0_sel:DWORD src1_sel:WORD_1
	v_lshlrev_b16_e32 v57, 8, v61
	v_sub_i16 v56, v56, v64 clamp
	v_sub_i16 v47, v47, v57 clamp
	v_perm_b32 v47, v47, v56, s27
	v_lshl_or_b32 v47, v47, 16, v55
	v_dot4_i32_i8 v7, v46, v7, 0
	v_dot4_i32_i8 v55, v47, v8, v7
	v_bfe_u32 v7, v50, 16, 8
	v_lshlrev_b32_e32 v8, 6, v52
	v_and_or_b32 v7, v8, s23, v7
	v_lshlrev_b32_e32 v7, 2, v7
	global_load_dword v7, v7, s[16:17]
	v_lshrrev_b32_e32 v8, 24, v50
	v_lshlrev_b32_e32 v50, 5, v52
	v_and_or_b32 v8, v50, s23, v8
	v_lshlrev_b32_e32 v8, 2, v8
	global_load_dword v8, v8, s[16:17]
	v_lshrrev_b32_e32 v50, 1, v53
	v_and_b32_e32 v50, 0x180, v50
	v_lshrrev_b32_e32 v56, 11, v53
	v_cmp_ne_u16_sdwa s[28:29], v50, v29 src0_sel:BYTE_1 src1_sel:DWORD
	v_lshrrev_b32_e32 v57, 10, v53
	v_lshrrev_b16_e32 v50, 7, v50
	v_cndmask_b32_e64 v58, 0, -1, s[28:29]
	v_bfe_i32 v56, v56, 0, 1
	v_bfe_i32 v50, v50, 0, 1
	v_lshlrev_b16_e32 v58, 8, v58
	v_lshlrev_b16_e32 v56, 8, v56
	v_bfe_i32 v57, v57, 0, 1
	v_or_b32_sdwa v59, v50, v58 dst_sel:DWORD dst_unused:UNUSED_PAD src0_sel:BYTE_0 src1_sel:DWORD
	v_or_b32_sdwa v60, v57, v56 dst_sel:WORD_1 dst_unused:UNUSED_PAD src0_sel:BYTE_0 src1_sel:DWORD
	v_or_b32_sdwa v59, v59, v60 dst_sel:DWORD dst_unused:UNUSED_PAD src0_sel:WORD_0 src1_sel:DWORD
	v_lshrrev_b32_e32 v60, 5, v53
	v_and_b32_e32 v60, 0x180, v60
	v_lshrrev_b32_e32 v61, 15, v53
	v_cmp_ne_u16_sdwa s[28:29], v60, v29 src0_sel:BYTE_1 src1_sel:DWORD
	v_lshrrev_b32_e32 v62, 14, v53
	v_lshrrev_b16_e32 v60, 7, v60
	v_cndmask_b32_e64 v63, 0, -1, s[28:29]
	v_bfe_i32 v61, v61, 0, 1
	v_lshlrev_b16_e32 v50, 8, v50
	v_bfe_i32 v60, v60, 0, 1
	v_lshlrev_b16_e32 v63, 8, v63
	v_lshlrev_b16_e32 v61, 8, v61
	v_bfe_i32 v62, v62, 0, 1
	v_or_b32_sdwa v64, v60, v63 dst_sel:DWORD dst_unused:UNUSED_PAD src0_sel:BYTE_0 src1_sel:DWORD
	v_or_b32_sdwa v65, v62, v61 dst_sel:WORD_1 dst_unused:UNUSED_PAD src0_sel:BYTE_0 src1_sel:DWORD
	v_lshlrev_b16_e32 v57, 8, v57
	v_or_b32_sdwa v64, v64, v65 dst_sel:DWORD dst_unused:UNUSED_PAD src0_sel:WORD_0 src1_sel:DWORD
	s_waitcnt vmcnt(1)
	v_xor_b32_e32 v7, v7, v59
	v_and_b32_e32 v59, 0xffffff00, v7
	v_sub_i16 v58, v59, v58 clamp
	v_lshlrev_b16_e32 v59, 8, v7
	v_sub_i16 v50, v59, v50 clamp
	v_perm_b32 v50, v50, v58, s27
	v_and_b32_sdwa v58, v7, s26 dst_sel:DWORD dst_unused:UNUSED_PAD src0_sel:WORD_1 src1_sel:DWORD
	v_lshlrev_b16_sdwa v7, v36, v7 dst_sel:DWORD dst_unused:UNUSED_PAD src0_sel:DWORD src1_sel:WORD_1
	v_sub_i16 v56, v58, v56 clamp
	v_sub_i16 v7, v7, v57 clamp
	v_perm_b32 v7, v7, v56, s27
	s_waitcnt vmcnt(0)
	v_xor_b32_e32 v8, v8, v64
	v_lshl_or_b32 v7, v7, 16, v50
	v_and_b32_e32 v50, 0xffffff00, v8
	v_lshlrev_b16_e32 v56, 8, v8
	v_lshlrev_b16_e32 v57, 8, v60
	v_sub_i16 v50, v50, v63 clamp
	v_sub_i16 v56, v56, v57 clamp
	v_perm_b32 v50, v56, v50, s27
	v_and_b32_sdwa v56, v8, s26 dst_sel:DWORD dst_unused:UNUSED_PAD src0_sel:WORD_1 src1_sel:DWORD
	v_lshlrev_b16_sdwa v8, v36, v8 dst_sel:DWORD dst_unused:UNUSED_PAD src0_sel:DWORD src1_sel:WORD_1
	v_lshlrev_b16_e32 v57, 8, v62
	v_sub_i16 v56, v56, v61 clamp
	v_sub_i16 v8, v8, v57 clamp
	v_perm_b32 v8, v8, v56, s27
	v_lshl_or_b32 v8, v8, 16, v50
	v_dot4_i32_i8 v9, v7, v9, v55
	v_dot4_i32_i8 v50, v8, v2, v9
	v_and_b32_e32 v2, 0xff, v51
	v_lshlrev_b32_e32 v9, 4, v52
	v_and_or_b32 v2, v9, s23, v2
	v_lshlrev_b32_e32 v2, 2, v2
	global_load_dword v2, v2, s[16:17]
	v_bfe_u32 v9, v51, 8, 8
	v_lshlrev_b32_e32 v55, 3, v52
	v_and_or_b32 v9, v55, s23, v9
	v_lshlrev_b32_e32 v9, 2, v9
	global_load_dword v9, v9, s[16:17]
	v_lshrrev_b32_e32 v55, 9, v53
	v_lshl_or_b32 v55, v54, 21, v55
	v_and_b32_e32 v56, 0x1800180, v55
	v_bfe_u32 v55, v55, 24, 1
	v_cmp_ne_u16_e32 vcc, 0, v55
	v_cmp_ne_u16_sdwa s[28:29], v56, v29 src0_sel:BYTE_1 src1_sel:DWORD
	v_lshrrev_b16_e32 v55, 7, v56
	v_lshrrev_b32_e32 v56, 18, v53
	v_cndmask_b32_e64 v57, 0, -1, s[28:29]
	v_cndmask_b32_e64 v59, 0, -1, vcc
	v_bfe_i32 v55, v55, 0, 1
	v_lshlrev_b16_e32 v57, 8, v57
	v_lshlrev_b16_e32 v59, 8, v59
	v_bfe_i32 v56, v56, 0, 1
	v_or_b32_sdwa v58, v55, v57 dst_sel:DWORD dst_unused:UNUSED_PAD src0_sel:BYTE_0 src1_sel:DWORD
	v_or_b32_sdwa v60, v56, v59 dst_sel:WORD_1 dst_unused:UNUSED_PAD src0_sel:BYTE_0 src1_sel:DWORD
	v_or_b32_sdwa v58, v58, v60 dst_sel:DWORD dst_unused:UNUSED_PAD src0_sel:WORD_0 src1_sel:DWORD
	v_lshrrev_b32_e32 v60, 13, v53
	v_lshl_or_b32 v54, v54, 17, v60
	v_and_b32_e32 v60, 0x1800180, v54
	v_bfe_u32 v54, v54, 24, 1
	v_cmp_ne_u16_e32 vcc, 0, v54
	v_cmp_ne_u16_sdwa s[28:29], v60, v29 src0_sel:BYTE_1 src1_sel:DWORD
	v_lshrrev_b16_e32 v54, 7, v60
	v_lshrrev_b32_e32 v60, 22, v53
	v_cndmask_b32_e64 v61, 0, -1, s[28:29]
	v_cndmask_b32_e64 v63, 0, -1, vcc
	v_lshlrev_b16_e32 v55, 8, v55
	v_bfe_i32 v54, v54, 0, 1
	v_lshlrev_b16_e32 v61, 8, v61
	v_lshlrev_b16_e32 v63, 8, v63
	v_bfe_i32 v60, v60, 0, 1
	v_or_b32_sdwa v62, v54, v61 dst_sel:DWORD dst_unused:UNUSED_PAD src0_sel:BYTE_0 src1_sel:DWORD
	v_or_b32_sdwa v64, v60, v63 dst_sel:WORD_1 dst_unused:UNUSED_PAD src0_sel:BYTE_0 src1_sel:DWORD
	v_lshlrev_b16_e32 v56, 8, v56
	v_or_b32_sdwa v62, v62, v64 dst_sel:DWORD dst_unused:UNUSED_PAD src0_sel:WORD_0 src1_sel:DWORD
	v_lshlrev_b16_e32 v54, 8, v54
	s_waitcnt vmcnt(1)
	v_xor_b32_e32 v2, v2, v58
	v_and_b32_e32 v58, 0xffffff00, v2
	v_sub_i16 v57, v58, v57 clamp
	v_lshlrev_b16_e32 v58, 8, v2
	v_sub_i16 v55, v58, v55 clamp
	v_perm_b32 v55, v55, v57, s27
	v_and_b32_sdwa v57, v2, s26 dst_sel:DWORD dst_unused:UNUSED_PAD src0_sel:WORD_1 src1_sel:DWORD
	v_lshlrev_b16_sdwa v2, v36, v2 dst_sel:DWORD dst_unused:UNUSED_PAD src0_sel:DWORD src1_sel:WORD_1
	v_sub_i16 v57, v57, v59 clamp
	v_sub_i16 v2, v2, v56 clamp
	v_perm_b32 v2, v2, v57, s27
	s_waitcnt vmcnt(0)
	v_xor_b32_e32 v9, v9, v62
	v_lshl_or_b32 v2, v2, 16, v55
	v_and_b32_e32 v55, 0xffffff00, v9
	v_lshlrev_b16_e32 v56, 8, v9
	v_sub_i16 v55, v55, v61 clamp
	v_sub_i16 v54, v56, v54 clamp
	v_perm_b32 v54, v54, v55, s27
	v_and_b32_sdwa v55, v9, s26 dst_sel:DWORD dst_unused:UNUSED_PAD src0_sel:WORD_1 src1_sel:DWORD
	v_lshlrev_b16_sdwa v9, v36, v9 dst_sel:DWORD dst_unused:UNUSED_PAD src0_sel:DWORD src1_sel:WORD_1
	v_lshlrev_b16_e32 v56, 8, v60
	v_sub_i16 v55, v55, v63 clamp
	v_sub_i16 v9, v9, v56 clamp
	v_perm_b32 v9, v9, v55, s27
	v_lshl_or_b32 v9, v9, 16, v54
	v_dot4_i32_i8 v3, v2, v3, v50
	v_dot4_i32_i8 v50, v9, v4, v3
	v_bfe_u32 v3, v51, 16, 8
	v_lshlrev_b32_e32 v4, 2, v52
	v_and_or_b32 v3, v4, s23, v3
	v_lshlrev_b32_e32 v3, 2, v3
	global_load_dword v3, v3, s[16:17]
	v_lshrrev_b32_e32 v4, 24, v51
	v_lshlrev_b32_e32 v51, 1, v52
	v_and_or_b32 v4, v51, s23, v4
	v_lshlrev_b32_e32 v4, 2, v4
	global_load_dword v4, v4, s[16:17]
	v_lshrrev_b32_e32 v51, 17, v53
	v_lshrrev_b32_e32 v52, 24, v53
	v_lshl_or_b32 v51, v52, 21, v51
	v_and_b32_e32 v52, 0x1800180, v51
	v_bfe_u32 v51, v51, 24, 1
	v_cmp_ne_u16_e32 vcc, 0, v51
	v_cmp_ne_u16_sdwa s[16:17], v52, v29 src0_sel:BYTE_1 src1_sel:DWORD
	v_lshrrev_b16_e32 v51, 7, v52
	v_lshrrev_b32_e32 v52, 26, v53
	v_cndmask_b32_e64 v54, 0, -1, s[16:17]
	v_cndmask_b32_e64 v56, 0, -1, vcc
	v_bfe_i32 v51, v51, 0, 1
	v_lshlrev_b16_e32 v54, 8, v54
	v_lshlrev_b16_e32 v56, 8, v56
	v_bfe_i32 v52, v52, 0, 1
	v_or_b32_sdwa v55, v51, v54 dst_sel:DWORD dst_unused:UNUSED_PAD src0_sel:BYTE_0 src1_sel:DWORD
	v_or_b32_sdwa v57, v52, v56 dst_sel:WORD_1 dst_unused:UNUSED_PAD src0_sel:BYTE_0 src1_sel:DWORD
	v_or_b32_sdwa v55, v55, v57 dst_sel:DWORD dst_unused:UNUSED_PAD src0_sel:WORD_0 src1_sel:DWORD
	v_lshrrev_b32_e32 v57, 21, v53
	v_lshrrev_b32_e32 v59, 31, v53
	v_lshrrev_b16_e32 v58, 8, v57
	v_cmp_ne_u16_e32 vcc, 0, v59
	v_lshrrev_b32_e32 v53, 30, v53
	v_lshrrev_b16_e32 v57, 7, v57
	v_bfe_i32 v58, v58, 0, 1
	v_cndmask_b32_e64 v60, 0, -1, vcc
	v_lshlrev_b16_e32 v51, 8, v51
	v_lshlrev_b16_e32 v58, 8, v58
	v_bfe_i32 v57, v57, 0, 1
	v_bfe_i32 v53, v53, 0, 1
	v_lshlrev_b16_e32 v60, 8, v60
	v_or_b32_sdwa v59, v57, v58 dst_sel:DWORD dst_unused:UNUSED_PAD src0_sel:BYTE_0 src1_sel:DWORD
	v_or_b32_sdwa v61, v53, v60 dst_sel:WORD_1 dst_unused:UNUSED_PAD src0_sel:BYTE_0 src1_sel:DWORD
	v_lshlrev_b16_e32 v52, 8, v52
	v_or_b32_sdwa v59, v59, v61 dst_sel:DWORD dst_unused:UNUSED_PAD src0_sel:WORD_0 src1_sel:DWORD
	v_lshlrev_b16_e32 v53, 8, v53
	s_waitcnt vmcnt(1)
	v_xor_b32_e32 v3, v3, v55
	v_and_b32_e32 v55, 0xffffff00, v3
	v_sub_i16 v54, v55, v54 clamp
	v_lshlrev_b16_e32 v55, 8, v3
	v_sub_i16 v51, v55, v51 clamp
	v_perm_b32 v51, v51, v54, s27
	v_and_b32_sdwa v54, v3, s26 dst_sel:DWORD dst_unused:UNUSED_PAD src0_sel:WORD_1 src1_sel:DWORD
	v_lshlrev_b16_sdwa v3, v36, v3 dst_sel:DWORD dst_unused:UNUSED_PAD src0_sel:DWORD src1_sel:WORD_1
	v_sub_i16 v54, v54, v56 clamp
	v_sub_i16 v3, v3, v52 clamp
	v_perm_b32 v3, v3, v54, s27
	s_waitcnt vmcnt(0)
	v_xor_b32_e32 v4, v4, v59
	v_lshl_or_b32 v3, v3, 16, v51
	v_and_b32_e32 v51, 0xffffff00, v4
	v_lshlrev_b16_e32 v52, 8, v4
	v_lshlrev_b16_e32 v54, 8, v57
	v_sub_i16 v51, v51, v58 clamp
	v_sub_i16 v52, v52, v54 clamp
	v_perm_b32 v51, v52, v51, s27
	v_and_b32_sdwa v52, v4, s26 dst_sel:DWORD dst_unused:UNUSED_PAD src0_sel:WORD_1 src1_sel:DWORD
	v_lshlrev_b16_sdwa v4, v36, v4 dst_sel:DWORD dst_unused:UNUSED_PAD src0_sel:DWORD src1_sel:WORD_1
	v_sub_i16 v52, v52, v60 clamp
	v_sub_i16 v4, v4, v53 clamp
	v_perm_b32 v4, v4, v52, s27
	v_lshl_or_b32 v4, v4, 16, v51
	v_dot4_i32_i8 v5, v3, v5, v50
	v_dot4_i32_i8 v5, v4, v49, v5
	v_add_co_u32_e32 v49, vcc, v14, v31
	v_addc_co_u32_e32 v50, vcc, 0, v15, vcc
	global_load_ubyte v49, v[49:50], off offset:106
	v_add_co_u32_e32 v10, vcc, 0x900, v10
	v_addc_co_u32_e32 v11, vcc, 0, v11, vcc
	v_cmp_le_u32_e32 vcc, s9, v27
	s_or_b64 s[12:13], vcc, s[12:13]
	s_waitcnt vmcnt(0)
	v_lshrrev_b32_e32 v49, v32, v49
	v_lshlrev_b32_e32 v49, 1, v49
	v_and_or_b32 v49, v49, 30, 1
	v_mul_lo_u32 v50, v5, v49
	global_load_ushort v5, v[14:15], off
	v_cvt_f32_i32_e32 v15, v50
	s_waitcnt vmcnt(0)
	v_cvt_f32_f16_e32 v5, v5
	v_mul_f32_e32 v14, v5, v48
	v_fmac_f32_e32 v26, v14, v15
	v_add_u32_e32 v14, s1, v33
	v_mad_u64_u32 v[14:15], s[16:17], v14, 36, v[12:13]
	global_load_dword v48, v[14:15], off offset:32
	global_load_dwordx4 v[50:53], v[14:15], off offset:16
	global_load_dwordx4 v[54:57], v[14:15], off
	s_waitcnt vmcnt(0)
	v_dot4_i32_i8 v15, v6, v55, 0
	v_dot4_i32_i8 v15, v37, v56, v15
	v_dot4_i32_i8 v15, v38, v57, v15
	v_dot4_i32_i8 v15, v39, v50, v15
	v_dot4_i32_i8 v15, v40, v51, v15
	v_dot4_i32_i8 v15, v41, v52, v15
	v_dot4_i32_i8 v15, v42, v53, v15
	v_dot4_i32_i8 v15, v43, v48, v15
	v_mul_lo_u32 v15, v15, v44
	v_cvt_f32_f16_e32 v14, v54
	v_cvt_f32_i32_e32 v15, v15
	v_mul_f32_e32 v54, v45, v14
	v_mul_f32_e32 v14, v5, v14
	v_fmac_f32_e32 v25, v54, v15
	v_dot4_i32_i8 v15, v46, v55, 0
	v_dot4_i32_i8 v15, v47, v56, v15
	v_dot4_i32_i8 v15, v7, v57, v15
	v_dot4_i32_i8 v15, v8, v50, v15
	v_dot4_i32_i8 v15, v2, v51, v15
	v_dot4_i32_i8 v15, v9, v52, v15
	v_dot4_i32_i8 v15, v3, v53, v15
	v_dot4_i32_i8 v15, v4, v48, v15
	v_mul_lo_u32 v15, v15, v49
	v_cvt_f32_i32_e32 v15, v15
	v_fmac_f32_e32 v24, v14, v15
	v_add_u32_e32 v14, s25, v33
	v_mad_u64_u32 v[14:15], s[16:17], v14, 36, v[12:13]
	global_load_dword v48, v[14:15], off offset:32
	global_load_dwordx4 v[50:53], v[14:15], off offset:16
	global_load_dwordx4 v[54:57], v[14:15], off
	s_waitcnt vmcnt(0)
	v_dot4_i32_i8 v15, v6, v55, 0
	v_dot4_i32_i8 v15, v37, v56, v15
	v_dot4_i32_i8 v15, v38, v57, v15
	v_dot4_i32_i8 v15, v39, v50, v15
	v_dot4_i32_i8 v15, v40, v51, v15
	v_dot4_i32_i8 v15, v41, v52, v15
	v_dot4_i32_i8 v15, v42, v53, v15
	v_dot4_i32_i8 v15, v43, v48, v15
	v_mul_lo_u32 v15, v15, v44
	v_cvt_f32_f16_e32 v14, v54
	v_cvt_f32_i32_e32 v15, v15
	v_mul_f32_e32 v54, v45, v14
	v_mul_f32_e32 v14, v5, v14
	v_fmac_f32_e32 v23, v54, v15
	v_dot4_i32_i8 v15, v46, v55, 0
	v_dot4_i32_i8 v15, v47, v56, v15
	v_dot4_i32_i8 v15, v7, v57, v15
	v_dot4_i32_i8 v15, v8, v50, v15
	v_dot4_i32_i8 v15, v2, v51, v15
	v_dot4_i32_i8 v15, v9, v52, v15
	v_dot4_i32_i8 v15, v3, v53, v15
	v_dot4_i32_i8 v15, v4, v48, v15
	v_mul_lo_u32 v15, v15, v49
	v_cvt_f32_i32_e32 v15, v15
	;; [unrolled: 31-line block ×4, first 2 shown]
	v_fmac_f32_e32 v18, v14, v15
	v_add_u32_e32 v14, s15, v33
	v_mad_u64_u32 v[14:15], s[16:17], v14, 36, v[12:13]
	global_load_dword v48, v[14:15], off offset:32
	global_load_dwordx4 v[50:53], v[14:15], off offset:16
	global_load_dwordx4 v[54:57], v[14:15], off
	v_add_u32_e32 v33, 64, v33
	s_waitcnt vmcnt(0)
	v_dot4_i32_i8 v6, v6, v55, 0
	v_dot4_i32_i8 v6, v37, v56, v6
	;; [unrolled: 1-line block ×8, first 2 shown]
	v_mul_lo_u32 v6, v6, v44
	v_cvt_f32_f16_e32 v14, v54
	v_cvt_f32_i32_e32 v6, v6
	v_mul_f32_e32 v15, v45, v14
	v_fmac_f32_e32 v17, v15, v6
	v_dot4_i32_i8 v6, v46, v55, 0
	v_dot4_i32_i8 v6, v47, v56, v6
	;; [unrolled: 1-line block ×8, first 2 shown]
	v_mul_lo_u32 v2, v2, v49
	v_mul_f32_e32 v3, v5, v14
	v_cvt_f32_i32_e32 v2, v2
	v_fmac_f32_e32 v16, v3, v2
	s_andn2_b64 exec, exec, s[12:13]
	s_cbranch_execnz .LBB261_2
; %bb.3:
	s_or_b64 exec, exec, s[12:13]
.LBB261_4:
	s_or_b64 exec, exec, s[10:11]
	s_mov_b32 s1, 0
	v_cmp_eq_u32_e32 vcc, 0, v1
	; wave barrier
	s_and_saveexec_b64 s[10:11], vcc
	s_cbranch_execz .LBB261_17
; %bb.5:
	v_mbcnt_lo_u32_b32 v1, -1, 0
	v_mbcnt_hi_u32_b32 v6, -1, v1
	v_and_b32_e32 v1, 64, v6
	v_add_u32_e32 v7, 64, v1
	v_xor_b32_e32 v1, 32, v6
	v_cmp_lt_i32_e32 vcc, v1, v7
	v_cndmask_b32_e32 v1, v6, v1, vcc
	v_lshlrev_b32_e32 v1, 2, v1
	ds_bpermute_b32 v5, v1, v28
	ds_bpermute_b32 v8, v1, v26
	v_xor_b32_e32 v2, 16, v6
	v_cmp_lt_i32_e32 vcc, v2, v7
	v_cndmask_b32_e32 v2, v6, v2, vcc
	v_lshlrev_b32_e32 v2, 2, v2
	s_waitcnt lgkmcnt(1)
	v_add_f32_e32 v5, v28, v5
	s_waitcnt lgkmcnt(0)
	v_add_f32_e32 v8, v26, v8
	ds_bpermute_b32 v10, v2, v5
	ds_bpermute_b32 v11, v2, v8
	v_xor_b32_e32 v3, 8, v6
	v_cmp_lt_i32_e32 vcc, v3, v7
	v_cndmask_b32_e32 v3, v6, v3, vcc
	v_lshlrev_b32_e32 v3, 2, v3
	s_waitcnt lgkmcnt(1)
	v_add_f32_e32 v10, v5, v10
	s_waitcnt lgkmcnt(0)
	v_add_f32_e32 v8, v8, v11
	;; [unrolled: 10-line block ×3, first 2 shown]
	ds_bpermute_b32 v12, v4, v10
	ds_bpermute_b32 v11, v4, v8
	v_xor_b32_e32 v9, 2, v6
	v_cmp_lt_i32_e32 vcc, v9, v7
	v_cndmask_b32_e32 v9, v6, v9, vcc
	v_lshlrev_b32_e32 v5, 2, v9
	v_xor_b32_e32 v9, 1, v6
	v_cmp_lt_i32_e32 vcc, v9, v7
	s_waitcnt lgkmcnt(1)
	v_add_f32_e32 v7, v10, v12
	s_waitcnt lgkmcnt(0)
	v_add_f32_e32 v10, v8, v11
	v_cndmask_b32_e32 v6, v6, v9, vcc
	ds_bpermute_b32 v9, v5, v7
	ds_bpermute_b32 v11, v5, v10
	s_load_dwordx2 s[4:5], s[4:5], 0x38
	s_mul_i32 s3, s14, s7
	v_lshlrev_b32_e32 v8, 2, v6
	s_waitcnt lgkmcnt(0)
	v_add_f32_e32 v6, v7, v9
	v_add_f32_e32 v9, v10, v11
	s_mul_i32 s0, s18, s8
	s_add_i32 s3, s3, s6
	ds_bpermute_b32 v7, v8, v6
	ds_bpermute_b32 v10, v8, v9
	s_add_i32 s0, s3, s0
	s_lshl_b64 s[0:1], s[0:1], 2
	s_add_u32 s4, s4, s0
	v_add_u32_e32 v11, s6, v0
	s_addc_u32 s5, s5, s1
	v_cmp_gt_u32_e32 vcc, 2, v0
	v_cmp_gt_u32_e64 s[0:1], s2, v11
	s_and_b64 s[0:1], vcc, s[0:1]
	s_waitcnt lgkmcnt(1)
	v_add_f32_e32 v6, v6, v7
	s_waitcnt lgkmcnt(0)
	v_add_f32_e32 v7, v9, v10
	s_and_saveexec_b64 s[6:7], s[0:1]
	s_cbranch_execz .LBB261_7
; %bb.6:
	v_cmp_eq_u32_e32 vcc, 1, v0
	v_cndmask_b32_e32 v9, v6, v7, vcc
	v_cmp_eq_u32_e32 vcc, 2, v0
	v_cndmask_b32_e32 v9, v9, v25, vcc
	;; [unrolled: 2-line block ×11, first 2 shown]
	v_lshlrev_b32_e32 v10, 2, v0
	global_store_dword v10, v9, s[4:5]
.LBB261_7:
	s_or_b64 exec, exec, s[6:7]
	ds_bpermute_b32 v9, v1, v25
	ds_bpermute_b32 v10, v1, v24
	s_waitcnt lgkmcnt(1)
	v_add_f32_e32 v9, v25, v9
	s_waitcnt lgkmcnt(0)
	v_add_f32_e32 v10, v24, v10
	ds_bpermute_b32 v11, v2, v9
	ds_bpermute_b32 v12, v2, v10
	s_waitcnt lgkmcnt(1)
	v_add_f32_e32 v9, v9, v11
	s_waitcnt lgkmcnt(0)
	v_add_f32_e32 v10, v10, v12
	;; [unrolled: 6-line block ×6, first 2 shown]
	s_and_saveexec_b64 s[6:7], s[0:1]
	s_cbranch_execz .LBB261_9
; %bb.8:
	v_add_u32_e32 v11, 2, v0
	v_cmp_eq_u32_e32 vcc, 1, v11
	v_cndmask_b32_e32 v12, v6, v7, vcc
	v_cmp_eq_u32_e32 vcc, 2, v11
	v_cndmask_b32_e32 v12, v12, v10, vcc
	;; [unrolled: 2-line block ×11, first 2 shown]
	v_add_u32_e32 v11, s2, v0
	v_mov_b32_e32 v12, 0
	v_lshlrev_b64 v[11:12], 2, v[11:12]
	v_mov_b32_e32 v14, s5
	v_add_co_u32_e32 v11, vcc, s4, v11
	v_addc_co_u32_e32 v12, vcc, v14, v12, vcc
	global_store_dword v[11:12], v13, off
.LBB261_9:
	s_or_b64 exec, exec, s[6:7]
	ds_bpermute_b32 v11, v1, v23
	ds_bpermute_b32 v12, v1, v22
	s_waitcnt lgkmcnt(1)
	v_add_f32_e32 v11, v23, v11
	s_waitcnt lgkmcnt(0)
	v_add_f32_e32 v12, v22, v12
	ds_bpermute_b32 v13, v2, v11
	ds_bpermute_b32 v14, v2, v12
	s_waitcnt lgkmcnt(1)
	v_add_f32_e32 v11, v11, v13
	s_waitcnt lgkmcnt(0)
	v_add_f32_e32 v12, v12, v14
	;; [unrolled: 6-line block ×6, first 2 shown]
	s_and_saveexec_b64 s[6:7], s[0:1]
	s_cbranch_execz .LBB261_11
; %bb.10:
	v_add_u32_e32 v13, 4, v0
	v_cmp_eq_u32_e32 vcc, 1, v13
	v_cndmask_b32_e32 v14, v6, v7, vcc
	v_cmp_eq_u32_e32 vcc, 2, v13
	v_cndmask_b32_e32 v14, v14, v10, vcc
	;; [unrolled: 2-line block ×11, first 2 shown]
	v_lshl_or_b32 v13, s2, 1, v0
	v_mov_b32_e32 v14, 0
	v_lshlrev_b64 v[13:14], 2, v[13:14]
	v_mov_b32_e32 v22, s5
	v_add_co_u32_e32 v13, vcc, s4, v13
	v_addc_co_u32_e32 v14, vcc, v22, v14, vcc
	global_store_dword v[13:14], v15, off
.LBB261_11:
	s_or_b64 exec, exec, s[6:7]
	ds_bpermute_b32 v13, v1, v21
	ds_bpermute_b32 v14, v1, v20
	s_waitcnt lgkmcnt(1)
	v_add_f32_e32 v13, v21, v13
	s_waitcnt lgkmcnt(0)
	v_add_f32_e32 v14, v20, v14
	ds_bpermute_b32 v15, v2, v13
	ds_bpermute_b32 v20, v2, v14
	s_waitcnt lgkmcnt(1)
	v_add_f32_e32 v13, v13, v15
	s_waitcnt lgkmcnt(0)
	v_add_f32_e32 v14, v14, v20
	;; [unrolled: 6-line block ×6, first 2 shown]
	s_and_saveexec_b64 s[6:7], s[0:1]
	s_cbranch_execz .LBB261_13
; %bb.12:
	v_add_u32_e32 v15, 6, v0
	v_cmp_eq_u32_e32 vcc, 1, v15
	v_cndmask_b32_e32 v20, v6, v7, vcc
	v_cmp_eq_u32_e32 vcc, 2, v15
	v_cndmask_b32_e32 v20, v20, v10, vcc
	;; [unrolled: 2-line block ×10, first 2 shown]
	v_mad_u64_u32 v[20:21], s[8:9], s2, 3, v[0:1]
	v_mov_b32_e32 v21, 0
	v_cmp_eq_u32_e32 vcc, 11, v15
	v_lshlrev_b64 v[20:21], 2, v[20:21]
	v_cndmask_b32_e32 v15, v22, v16, vcc
	v_mov_b32_e32 v22, s5
	v_add_co_u32_e32 v20, vcc, s4, v20
	v_addc_co_u32_e32 v21, vcc, v22, v21, vcc
	global_store_dword v[20:21], v15, off
.LBB261_13:
	s_or_b64 exec, exec, s[6:7]
	ds_bpermute_b32 v15, v1, v19
	ds_bpermute_b32 v20, v1, v18
	s_waitcnt lgkmcnt(1)
	v_add_f32_e32 v15, v19, v15
	s_waitcnt lgkmcnt(0)
	v_add_f32_e32 v18, v18, v20
	ds_bpermute_b32 v19, v2, v15
	ds_bpermute_b32 v20, v2, v18
	s_waitcnt lgkmcnt(1)
	v_add_f32_e32 v15, v15, v19
	s_waitcnt lgkmcnt(0)
	v_add_f32_e32 v18, v18, v20
	;; [unrolled: 6-line block ×6, first 2 shown]
	s_and_saveexec_b64 s[6:7], s[0:1]
	s_cbranch_execz .LBB261_15
; %bb.14:
	v_add_u32_e32 v19, 8, v0
	v_cmp_eq_u32_e32 vcc, 1, v19
	v_cndmask_b32_e32 v20, v6, v7, vcc
	v_cmp_eq_u32_e32 vcc, 2, v19
	v_cndmask_b32_e32 v20, v20, v10, vcc
	;; [unrolled: 2-line block ×11, first 2 shown]
	v_lshl_or_b32 v19, s2, 2, v0
	v_mov_b32_e32 v20, 0
	v_lshlrev_b64 v[19:20], 2, v[19:20]
	v_mov_b32_e32 v22, s5
	v_add_co_u32_e32 v19, vcc, s4, v19
	v_addc_co_u32_e32 v20, vcc, v22, v20, vcc
	global_store_dword v[19:20], v21, off
.LBB261_15:
	s_or_b64 exec, exec, s[6:7]
	ds_bpermute_b32 v19, v1, v17
	ds_bpermute_b32 v1, v1, v16
	s_waitcnt lgkmcnt(1)
	v_add_f32_e32 v17, v17, v19
	s_waitcnt lgkmcnt(0)
	v_add_f32_e32 v1, v16, v1
	ds_bpermute_b32 v16, v2, v17
	ds_bpermute_b32 v2, v2, v1
	s_waitcnt lgkmcnt(1)
	v_add_f32_e32 v16, v17, v16
	s_waitcnt lgkmcnt(0)
	v_add_f32_e32 v1, v1, v2
	ds_bpermute_b32 v2, v3, v16
	ds_bpermute_b32 v3, v3, v1
	s_waitcnt lgkmcnt(1)
	v_add_f32_e32 v2, v16, v2
	s_waitcnt lgkmcnt(0)
	v_add_f32_e32 v1, v1, v3
	ds_bpermute_b32 v3, v4, v2
	ds_bpermute_b32 v4, v4, v1
	s_waitcnt lgkmcnt(1)
	v_add_f32_e32 v2, v2, v3
	s_waitcnt lgkmcnt(0)
	v_add_f32_e32 v3, v1, v4
	ds_bpermute_b32 v1, v5, v2
	ds_bpermute_b32 v4, v5, v3
	s_waitcnt lgkmcnt(1)
	v_add_f32_e32 v1, v2, v1
	s_waitcnt lgkmcnt(0)
	v_add_f32_e32 v2, v3, v4
	ds_bpermute_b32 v3, v8, v1
	ds_bpermute_b32 v4, v8, v2
	s_and_b64 exec, exec, s[0:1]
	s_cbranch_execz .LBB261_17
; %bb.16:
	s_waitcnt lgkmcnt(1)
	v_add_f32_e32 v1, v1, v3
	v_add_u32_e32 v3, 10, v0
	v_cmp_eq_u32_e32 vcc, 1, v3
	s_waitcnt lgkmcnt(0)
	v_add_f32_e32 v2, v2, v4
	v_cndmask_b32_e32 v4, v6, v7, vcc
	v_cmp_eq_u32_e32 vcc, 2, v3
	v_cndmask_b32_e32 v4, v4, v10, vcc
	v_cmp_eq_u32_e32 vcc, 3, v3
	;; [unrolled: 2-line block ×9, first 2 shown]
	v_cndmask_b32_e32 v4, v4, v1, vcc
	v_mad_u64_u32 v[0:1], s[0:1], s2, 5, v[0:1]
	v_mov_b32_e32 v1, 0
	v_cmp_eq_u32_e32 vcc, 11, v3
	v_lshlrev_b64 v[0:1], 2, v[0:1]
	v_cndmask_b32_e32 v2, v4, v2, vcc
	v_mov_b32_e32 v3, s5
	v_add_co_u32_e32 v0, vcc, s4, v0
	v_addc_co_u32_e32 v1, vcc, v3, v1, vcc
	global_store_dword v[0:1], v2, off
.LBB261_17:
	s_endpgm
	.section	.rodata,"a",@progbits
	.p2align	6, 0x0
	.amdhsa_kernel _ZL13mul_mat_vec_qIL9ggml_type21ELi6ELb0ELb0EEvPKvS2_PKi31ggml_cuda_mm_fusion_args_devicePfj15HIP_vector_typeIjLj3EEjjjS8_jjjS8_jjjj
		.amdhsa_group_segment_fixed_size 0
		.amdhsa_private_segment_fixed_size 0
		.amdhsa_kernarg_size 144
		.amdhsa_user_sgpr_count 6
		.amdhsa_user_sgpr_private_segment_buffer 1
		.amdhsa_user_sgpr_dispatch_ptr 0
		.amdhsa_user_sgpr_queue_ptr 0
		.amdhsa_user_sgpr_kernarg_segment_ptr 1
		.amdhsa_user_sgpr_dispatch_id 0
		.amdhsa_user_sgpr_flat_scratch_init 0
		.amdhsa_user_sgpr_private_segment_size 0
		.amdhsa_uses_dynamic_stack 0
		.amdhsa_system_sgpr_private_segment_wavefront_offset 0
		.amdhsa_system_sgpr_workgroup_id_x 1
		.amdhsa_system_sgpr_workgroup_id_y 1
		.amdhsa_system_sgpr_workgroup_id_z 1
		.amdhsa_system_sgpr_workgroup_info 0
		.amdhsa_system_vgpr_workitem_id 1
		.amdhsa_next_free_vgpr 66
		.amdhsa_next_free_sgpr 30
		.amdhsa_reserve_vcc 1
		.amdhsa_reserve_flat_scratch 0
		.amdhsa_float_round_mode_32 0
		.amdhsa_float_round_mode_16_64 0
		.amdhsa_float_denorm_mode_32 3
		.amdhsa_float_denorm_mode_16_64 3
		.amdhsa_dx10_clamp 1
		.amdhsa_ieee_mode 1
		.amdhsa_fp16_overflow 0
		.amdhsa_exception_fp_ieee_invalid_op 0
		.amdhsa_exception_fp_denorm_src 0
		.amdhsa_exception_fp_ieee_div_zero 0
		.amdhsa_exception_fp_ieee_overflow 0
		.amdhsa_exception_fp_ieee_underflow 0
		.amdhsa_exception_fp_ieee_inexact 0
		.amdhsa_exception_int_div_zero 0
	.end_amdhsa_kernel
	.section	.text._ZL13mul_mat_vec_qIL9ggml_type21ELi6ELb0ELb0EEvPKvS2_PKi31ggml_cuda_mm_fusion_args_devicePfj15HIP_vector_typeIjLj3EEjjjS8_jjjS8_jjjj,"axG",@progbits,_ZL13mul_mat_vec_qIL9ggml_type21ELi6ELb0ELb0EEvPKvS2_PKi31ggml_cuda_mm_fusion_args_devicePfj15HIP_vector_typeIjLj3EEjjjS8_jjjS8_jjjj,comdat
.Lfunc_end261:
	.size	_ZL13mul_mat_vec_qIL9ggml_type21ELi6ELb0ELb0EEvPKvS2_PKi31ggml_cuda_mm_fusion_args_devicePfj15HIP_vector_typeIjLj3EEjjjS8_jjjS8_jjjj, .Lfunc_end261-_ZL13mul_mat_vec_qIL9ggml_type21ELi6ELb0ELb0EEvPKvS2_PKi31ggml_cuda_mm_fusion_args_devicePfj15HIP_vector_typeIjLj3EEjjjS8_jjjS8_jjjj
                                        ; -- End function
	.set _ZL13mul_mat_vec_qIL9ggml_type21ELi6ELb0ELb0EEvPKvS2_PKi31ggml_cuda_mm_fusion_args_devicePfj15HIP_vector_typeIjLj3EEjjjS8_jjjS8_jjjj.num_vgpr, 66
	.set _ZL13mul_mat_vec_qIL9ggml_type21ELi6ELb0ELb0EEvPKvS2_PKi31ggml_cuda_mm_fusion_args_devicePfj15HIP_vector_typeIjLj3EEjjjS8_jjjS8_jjjj.num_agpr, 0
	.set _ZL13mul_mat_vec_qIL9ggml_type21ELi6ELb0ELb0EEvPKvS2_PKi31ggml_cuda_mm_fusion_args_devicePfj15HIP_vector_typeIjLj3EEjjjS8_jjjS8_jjjj.numbered_sgpr, 30
	.set _ZL13mul_mat_vec_qIL9ggml_type21ELi6ELb0ELb0EEvPKvS2_PKi31ggml_cuda_mm_fusion_args_devicePfj15HIP_vector_typeIjLj3EEjjjS8_jjjS8_jjjj.num_named_barrier, 0
	.set _ZL13mul_mat_vec_qIL9ggml_type21ELi6ELb0ELb0EEvPKvS2_PKi31ggml_cuda_mm_fusion_args_devicePfj15HIP_vector_typeIjLj3EEjjjS8_jjjS8_jjjj.private_seg_size, 0
	.set _ZL13mul_mat_vec_qIL9ggml_type21ELi6ELb0ELb0EEvPKvS2_PKi31ggml_cuda_mm_fusion_args_devicePfj15HIP_vector_typeIjLj3EEjjjS8_jjjS8_jjjj.uses_vcc, 1
	.set _ZL13mul_mat_vec_qIL9ggml_type21ELi6ELb0ELb0EEvPKvS2_PKi31ggml_cuda_mm_fusion_args_devicePfj15HIP_vector_typeIjLj3EEjjjS8_jjjS8_jjjj.uses_flat_scratch, 0
	.set _ZL13mul_mat_vec_qIL9ggml_type21ELi6ELb0ELb0EEvPKvS2_PKi31ggml_cuda_mm_fusion_args_devicePfj15HIP_vector_typeIjLj3EEjjjS8_jjjS8_jjjj.has_dyn_sized_stack, 0
	.set _ZL13mul_mat_vec_qIL9ggml_type21ELi6ELb0ELb0EEvPKvS2_PKi31ggml_cuda_mm_fusion_args_devicePfj15HIP_vector_typeIjLj3EEjjjS8_jjjS8_jjjj.has_recursion, 0
	.set _ZL13mul_mat_vec_qIL9ggml_type21ELi6ELb0ELb0EEvPKvS2_PKi31ggml_cuda_mm_fusion_args_devicePfj15HIP_vector_typeIjLj3EEjjjS8_jjjS8_jjjj.has_indirect_call, 0
	.section	.AMDGPU.csdata,"",@progbits
; Kernel info:
; codeLenInByte = 8000
; TotalNumSgprs: 34
; NumVgprs: 66
; ScratchSize: 0
; MemoryBound: 0
; FloatMode: 240
; IeeeMode: 1
; LDSByteSize: 0 bytes/workgroup (compile time only)
; SGPRBlocks: 4
; VGPRBlocks: 16
; NumSGPRsForWavesPerEU: 34
; NumVGPRsForWavesPerEU: 66
; Occupancy: 3
; WaveLimiterHint : 0
; COMPUTE_PGM_RSRC2:SCRATCH_EN: 0
; COMPUTE_PGM_RSRC2:USER_SGPR: 6
; COMPUTE_PGM_RSRC2:TRAP_HANDLER: 0
; COMPUTE_PGM_RSRC2:TGID_X_EN: 1
; COMPUTE_PGM_RSRC2:TGID_Y_EN: 1
; COMPUTE_PGM_RSRC2:TGID_Z_EN: 1
; COMPUTE_PGM_RSRC2:TIDIG_COMP_CNT: 1
	.section	.text._ZL13mul_mat_vec_qIL9ggml_type21ELi7ELb0ELb0EEvPKvS2_PKi31ggml_cuda_mm_fusion_args_devicePfj15HIP_vector_typeIjLj3EEjjjS8_jjjS8_jjjj,"axG",@progbits,_ZL13mul_mat_vec_qIL9ggml_type21ELi7ELb0ELb0EEvPKvS2_PKi31ggml_cuda_mm_fusion_args_devicePfj15HIP_vector_typeIjLj3EEjjjS8_jjjS8_jjjj,comdat
	.globl	_ZL13mul_mat_vec_qIL9ggml_type21ELi7ELb0ELb0EEvPKvS2_PKi31ggml_cuda_mm_fusion_args_devicePfj15HIP_vector_typeIjLj3EEjjjS8_jjjS8_jjjj ; -- Begin function _ZL13mul_mat_vec_qIL9ggml_type21ELi7ELb0ELb0EEvPKvS2_PKi31ggml_cuda_mm_fusion_args_devicePfj15HIP_vector_typeIjLj3EEjjjS8_jjjS8_jjjj
	.p2align	8
	.type	_ZL13mul_mat_vec_qIL9ggml_type21ELi7ELb0ELb0EEvPKvS2_PKi31ggml_cuda_mm_fusion_args_devicePfj15HIP_vector_typeIjLj3EEjjjS8_jjjS8_jjjj,@function
_ZL13mul_mat_vec_qIL9ggml_type21ELi7ELb0ELb0EEvPKvS2_PKi31ggml_cuda_mm_fusion_args_devicePfj15HIP_vector_typeIjLj3EEjjjS8_jjjS8_jjjj: ; @_ZL13mul_mat_vec_qIL9ggml_type21ELi7ELb0ELb0EEvPKvS2_PKi31ggml_cuda_mm_fusion_args_devicePfj15HIP_vector_typeIjLj3EEjjjS8_jjjS8_jjjj
; %bb.0:
	s_load_dword s9, s[4:5], 0x40
	s_load_dwordx4 s[0:3], s[4:5], 0x50
	s_load_dword s25, s[4:5], 0x60
	s_load_dwordx4 s[12:15], s[4:5], 0x68
	;; [unrolled: 2-line block ×3, first 2 shown]
	v_lshl_or_b32 v2, v1, 6, v0
	s_waitcnt lgkmcnt(0)
	s_lshr_b32 s9, s9, 8
	v_lshrrev_b32_e32 v30, 3, v2
	s_lshl_b32 s6, s6, 1
	v_cmp_gt_u32_e32 vcc, s9, v30
	v_mov_b32_e32 v16, 0
	v_mov_b32_e32 v17, 0
	;; [unrolled: 1-line block ×14, first 2 shown]
	s_and_saveexec_b64 s[10:11], vcc
	s_cbranch_execz .LBB262_4
; %bb.1:
	s_mul_hi_u32 s3, s3, s7
	s_add_i32 s3, s7, s3
	s_load_dwordx4 s[20:23], s[4:5], 0x0
	s_lshr_b32 s3, s3, s25
	s_mul_i32 s3, s3, s12
	s_mul_hi_u32 s12, s15, s8
	s_add_i32 s12, s8, s12
	s_lshr_b32 s12, s12, s24
	s_mul_i32 s24, s17, s8
	s_mul_i32 s15, s12, s16
	s_mul_i32 s16, s24, 36
	s_mul_hi_u32 s12, s24, 36
	s_waitcnt lgkmcnt(0)
	s_add_u32 s16, s22, s16
	s_addc_u32 s17, s23, s12
	s_mul_i32 s12, s13, s7
	s_mul_hi_u32 s13, s12, 36
	s_mul_i32 s12, s12, 36
	s_add_u32 s16, s16, s12
	s_addc_u32 s17, s17, s13
	v_lshlrev_b32_e32 v2, 1, v0
	s_add_i32 s19, s6, 1
	v_and_b32_e32 v4, 14, v2
	s_add_i32 s15, s15, s3
	v_bfe_u32 v33, v2, 2, 2
	s_mul_i32 s3, s6, s0
	s_mul_i32 s0, s0, s19
	v_mov_b32_e32 v2, s12
	s_add_i32 s3, s15, s3
	s_add_i32 s0, s15, s0
	s_movk_i32 s15, 0x120
	v_mov_b32_e32 v3, s13
	v_mad_u64_u32 v[2:3], s[12:13], v30, s15, v[2:3]
	v_and_b32_e32 v32, 7, v0
	v_mov_b32_e32 v6, s23
	v_mad_u64_u32 v[2:3], s[12:13], s24, 36, v[2:3]
	v_mad_u64_u32 v[12:13], s[16:17], v32, 36, s[16:17]
	;; [unrolled: 1-line block ×3, first 2 shown]
	v_lshlrev_b32_e32 v5, 1, v4
	v_mov_b32_e32 v31, 0
	v_add_co_u32_e32 v2, vcc, s22, v2
	v_addc_co_u32_e32 v3, vcc, v6, v3, vcc
	v_add_co_u32_e32 v10, vcc, 16, v2
	v_and_b32_e32 v34, 4, v5
	v_lshlrev_b32_e32 v35, 3, v30
	s_mul_i32 s15, s1, 6
	s_mul_i32 s19, s1, 5
	s_lshl_b32 s24, s1, 2
	s_mul_i32 s25, s1, 3
	s_lshl_b32 s26, s1, 1
	v_addc_co_u32_e32 v11, vcc, 0, v3, vcc
	s_mov_b64 s[12:13], 0
	s_movk_i32 s22, 0x6e
	v_lshlrev_b32_e32 v36, 1, v5
	v_lshlrev_b32_e32 v37, 1, v4
	s_movk_i32 s23, 0x100
	s_movk_i32 s27, 0xff00
	s_mov_b32 s28, 0xc0c0105
	v_mov_b32_e32 v38, 8
	v_mov_b32_e32 v29, 0
	;; [unrolled: 1-line block ×15, first 2 shown]
.LBB262_2:                              ; =>This Inner Loop Header: Depth=1
	v_mov_b32_e32 v14, s20
	v_add_u32_e32 v39, s3, v30
	v_mov_b32_e32 v15, s21
	v_mad_i64_i32 v[47:48], s[16:17], v39, s22, v[14:15]
	global_load_dword v51, v[10:11], off offset:16
	global_load_dwordx4 v[2:5], v[10:11], off
	global_load_dwordx4 v[6:9], v[10:11], off offset:-16
	s_getpc_b64 s[16:17]
	s_add_u32 s16, s16, _ZL9iq3s_grid@rel32@lo+4
	s_addc_u32 s17, s17, _ZL9iq3s_grid@rel32@hi+12
	v_add_co_u32_e32 v39, vcc, v47, v36
	v_addc_co_u32_e32 v40, vcc, 0, v48, vcc
	global_load_dwordx2 v[43:44], v[39:40], off offset:2
	v_add_co_u32_e32 v39, vcc, v47, v32
	v_addc_co_u32_e32 v40, vcc, 0, v48, vcc
	global_load_ubyte v45, v[39:40], off offset:66
	v_add_co_u32_e32 v39, vcc, v47, v37
	v_addc_co_u32_e32 v40, vcc, 0, v48, vcc
	global_load_dword v46, v[39:40], off offset:74
	s_waitcnt vmcnt(3)
	v_cvt_f32_f16_e32 v50, v6
	s_waitcnt vmcnt(2)
	v_and_b32_e32 v6, 0xff, v43
	s_waitcnt vmcnt(1)
	v_lshlrev_b32_e32 v39, 8, v45
	v_and_or_b32 v6, v39, s23, v6
	v_lshlrev_b32_e32 v6, 2, v6
	global_load_dword v6, v6, s[16:17]
	v_bfe_u32 v39, v43, 8, 8
	v_lshlrev_b32_e32 v40, 7, v45
	v_and_or_b32 v39, v40, s23, v39
	v_lshlrev_b32_e32 v39, 2, v39
	global_load_dword v39, v39, s[16:17]
	s_waitcnt vmcnt(2)
	v_and_b32_e32 v40, 0xff, v46
	v_lshlrev_b32_e32 v41, 21, v46
	v_lshl_or_b32 v41, v40, 7, v41
	v_and_b32_e32 v49, 0x1800180, v41
	v_bfe_u32 v41, v41, 24, 1
	v_cmp_ne_u16_e32 vcc, 0, v41
	v_cmp_ne_u16_sdwa s[30:31], v49, v31 src0_sel:BYTE_1 src1_sel:DWORD
	v_lshrrev_b16_e32 v41, 7, v49
	v_lshrrev_b32_e32 v49, 2, v46
	v_cndmask_b32_e64 v52, 0, -1, s[30:31]
	v_cndmask_b32_e64 v54, 0, -1, vcc
	v_bfe_i32 v41, v41, 0, 1
	v_lshlrev_b16_e32 v52, 8, v52
	v_lshlrev_b16_e32 v54, 8, v54
	v_bfe_i32 v49, v49, 0, 1
	v_or_b32_sdwa v53, v41, v52 dst_sel:DWORD dst_unused:UNUSED_PAD src0_sel:BYTE_0 src1_sel:DWORD
	v_or_b32_sdwa v55, v49, v54 dst_sel:WORD_1 dst_unused:UNUSED_PAD src0_sel:BYTE_0 src1_sel:DWORD
	v_or_b32_sdwa v53, v53, v55 dst_sel:DWORD dst_unused:UNUSED_PAD src0_sel:WORD_0 src1_sel:DWORD
	v_lshlrev_b32_e32 v55, 17, v46
	v_lshl_or_b32 v40, v40, 3, v55
	v_and_b32_e32 v55, 0x1800180, v40
	v_bfe_u32 v40, v40, 24, 1
	v_cmp_ne_u16_e32 vcc, 0, v40
	v_cmp_ne_u16_sdwa s[30:31], v55, v31 src0_sel:BYTE_1 src1_sel:DWORD
	v_lshrrev_b16_e32 v40, 7, v55
	v_lshrrev_b32_e32 v55, 6, v46
	v_cndmask_b32_e64 v56, 0, -1, s[30:31]
	v_cndmask_b32_e64 v58, 0, -1, vcc
	v_lshlrev_b16_e32 v41, 8, v41
	v_bfe_i32 v40, v40, 0, 1
	v_lshlrev_b16_e32 v56, 8, v56
	v_lshlrev_b16_e32 v58, 8, v58
	v_bfe_i32 v55, v55, 0, 1
	v_or_b32_sdwa v57, v40, v56 dst_sel:DWORD dst_unused:UNUSED_PAD src0_sel:BYTE_0 src1_sel:DWORD
	v_or_b32_sdwa v59, v55, v58 dst_sel:WORD_1 dst_unused:UNUSED_PAD src0_sel:BYTE_0 src1_sel:DWORD
	v_lshlrev_b16_e32 v49, 8, v49
	v_or_b32_sdwa v57, v57, v59 dst_sel:DWORD dst_unused:UNUSED_PAD src0_sel:WORD_0 src1_sel:DWORD
	v_lshlrev_b16_e32 v40, 8, v40
	v_lshrrev_b32_e32 v42, 16, v46
	s_waitcnt vmcnt(1)
	v_xor_b32_e32 v6, v6, v53
	v_and_b32_e32 v53, 0xffffff00, v6
	v_sub_i16 v52, v53, v52 clamp
	v_lshlrev_b16_e32 v53, 8, v6
	v_sub_i16 v41, v53, v41 clamp
	v_perm_b32 v41, v41, v52, s28
	v_and_b32_sdwa v52, v6, s27 dst_sel:DWORD dst_unused:UNUSED_PAD src0_sel:WORD_1 src1_sel:DWORD
	v_lshlrev_b16_sdwa v6, v38, v6 dst_sel:DWORD dst_unused:UNUSED_PAD src0_sel:DWORD src1_sel:WORD_1
	v_sub_i16 v52, v52, v54 clamp
	v_sub_i16 v6, v6, v49 clamp
	v_perm_b32 v6, v6, v52, s28
	s_waitcnt vmcnt(0)
	v_xor_b32_e32 v39, v39, v57
	v_lshl_or_b32 v6, v6, 16, v41
	v_and_b32_e32 v41, 0xffffff00, v39
	v_lshlrev_b16_e32 v49, 8, v39
	v_sub_i16 v41, v41, v56 clamp
	v_sub_i16 v40, v49, v40 clamp
	v_perm_b32 v40, v40, v41, s28
	v_and_b32_sdwa v41, v39, s27 dst_sel:DWORD dst_unused:UNUSED_PAD src0_sel:WORD_1 src1_sel:DWORD
	v_lshlrev_b16_sdwa v39, v38, v39 dst_sel:DWORD dst_unused:UNUSED_PAD src0_sel:DWORD src1_sel:WORD_1
	v_lshlrev_b16_e32 v49, 8, v55
	v_sub_i16 v41, v41, v58 clamp
	v_sub_i16 v39, v39, v49 clamp
	v_perm_b32 v39, v39, v41, s28
	v_lshl_or_b32 v39, v39, 16, v40
	v_dot4_i32_i8 v40, v6, v7, 0
	v_dot4_i32_i8 v49, v39, v8, v40
	v_bfe_u32 v40, v43, 16, 8
	v_lshlrev_b32_e32 v41, 6, v45
	v_and_or_b32 v40, v41, s23, v40
	v_lshlrev_b32_e32 v40, 2, v40
	global_load_dword v40, v40, s[16:17]
	v_lshrrev_b32_e32 v41, 24, v43
	v_lshlrev_b32_e32 v43, 5, v45
	v_and_or_b32 v41, v43, s23, v41
	v_lshlrev_b32_e32 v41, 2, v41
	global_load_dword v41, v41, s[16:17]
	v_lshrrev_b32_e32 v43, 1, v46
	v_and_b32_e32 v43, 0x180, v43
	v_lshrrev_b32_e32 v52, 11, v46
	v_cmp_ne_u16_sdwa s[30:31], v43, v31 src0_sel:BYTE_1 src1_sel:DWORD
	v_lshrrev_b32_e32 v53, 10, v46
	v_lshrrev_b16_e32 v43, 7, v43
	v_cndmask_b32_e64 v54, 0, -1, s[30:31]
	v_bfe_i32 v52, v52, 0, 1
	v_bfe_i32 v43, v43, 0, 1
	v_lshlrev_b16_e32 v54, 8, v54
	v_lshlrev_b16_e32 v52, 8, v52
	v_bfe_i32 v53, v53, 0, 1
	v_or_b32_sdwa v55, v43, v54 dst_sel:DWORD dst_unused:UNUSED_PAD src0_sel:BYTE_0 src1_sel:DWORD
	v_or_b32_sdwa v56, v53, v52 dst_sel:WORD_1 dst_unused:UNUSED_PAD src0_sel:BYTE_0 src1_sel:DWORD
	v_or_b32_sdwa v55, v55, v56 dst_sel:DWORD dst_unused:UNUSED_PAD src0_sel:WORD_0 src1_sel:DWORD
	v_lshrrev_b32_e32 v56, 5, v46
	v_and_b32_e32 v56, 0x180, v56
	v_lshrrev_b32_e32 v57, 15, v46
	v_cmp_ne_u16_sdwa s[30:31], v56, v31 src0_sel:BYTE_1 src1_sel:DWORD
	v_lshrrev_b32_e32 v58, 14, v46
	v_lshrrev_b16_e32 v56, 7, v56
	v_cndmask_b32_e64 v59, 0, -1, s[30:31]
	v_bfe_i32 v57, v57, 0, 1
	v_lshlrev_b16_e32 v43, 8, v43
	v_bfe_i32 v56, v56, 0, 1
	v_lshlrev_b16_e32 v59, 8, v59
	v_lshlrev_b16_e32 v57, 8, v57
	v_bfe_i32 v58, v58, 0, 1
	v_or_b32_sdwa v60, v56, v59 dst_sel:DWORD dst_unused:UNUSED_PAD src0_sel:BYTE_0 src1_sel:DWORD
	v_or_b32_sdwa v61, v58, v57 dst_sel:WORD_1 dst_unused:UNUSED_PAD src0_sel:BYTE_0 src1_sel:DWORD
	v_lshlrev_b16_e32 v53, 8, v53
	v_or_b32_sdwa v60, v60, v61 dst_sel:DWORD dst_unused:UNUSED_PAD src0_sel:WORD_0 src1_sel:DWORD
	s_waitcnt vmcnt(1)
	v_xor_b32_e32 v40, v40, v55
	v_and_b32_e32 v55, 0xffffff00, v40
	v_sub_i16 v54, v55, v54 clamp
	v_lshlrev_b16_e32 v55, 8, v40
	v_sub_i16 v43, v55, v43 clamp
	v_perm_b32 v43, v43, v54, s28
	v_and_b32_sdwa v54, v40, s27 dst_sel:DWORD dst_unused:UNUSED_PAD src0_sel:WORD_1 src1_sel:DWORD
	v_lshlrev_b16_sdwa v40, v38, v40 dst_sel:DWORD dst_unused:UNUSED_PAD src0_sel:DWORD src1_sel:WORD_1
	v_sub_i16 v52, v54, v52 clamp
	v_sub_i16 v40, v40, v53 clamp
	v_perm_b32 v40, v40, v52, s28
	s_waitcnt vmcnt(0)
	v_xor_b32_e32 v41, v41, v60
	v_lshl_or_b32 v40, v40, 16, v43
	v_and_b32_e32 v43, 0xffffff00, v41
	v_lshlrev_b16_e32 v52, 8, v41
	v_lshlrev_b16_e32 v53, 8, v56
	v_sub_i16 v43, v43, v59 clamp
	v_sub_i16 v52, v52, v53 clamp
	v_perm_b32 v43, v52, v43, s28
	v_and_b32_sdwa v52, v41, s27 dst_sel:DWORD dst_unused:UNUSED_PAD src0_sel:WORD_1 src1_sel:DWORD
	v_lshlrev_b16_sdwa v41, v38, v41 dst_sel:DWORD dst_unused:UNUSED_PAD src0_sel:DWORD src1_sel:WORD_1
	v_lshlrev_b16_e32 v53, 8, v58
	v_sub_i16 v52, v52, v57 clamp
	v_sub_i16 v41, v41, v53 clamp
	v_perm_b32 v41, v41, v52, s28
	v_lshl_or_b32 v41, v41, 16, v43
	v_dot4_i32_i8 v43, v40, v9, v49
	v_dot4_i32_i8 v49, v41, v2, v43
	v_and_b32_e32 v43, 0xff, v44
	v_lshlrev_b32_e32 v52, 4, v45
	v_and_or_b32 v43, v52, s23, v43
	v_lshlrev_b32_e32 v43, 2, v43
	global_load_dword v43, v43, s[16:17]
	v_bfe_u32 v52, v44, 8, 8
	v_lshlrev_b32_e32 v53, 3, v45
	v_and_or_b32 v52, v53, s23, v52
	v_lshlrev_b32_e32 v52, 2, v52
	global_load_dword v52, v52, s[16:17]
	v_lshrrev_b32_e32 v53, 9, v46
	v_lshl_or_b32 v53, v42, 21, v53
	v_and_b32_e32 v54, 0x1800180, v53
	v_bfe_u32 v53, v53, 24, 1
	v_cmp_ne_u16_e32 vcc, 0, v53
	v_cmp_ne_u16_sdwa s[30:31], v54, v31 src0_sel:BYTE_1 src1_sel:DWORD
	v_lshrrev_b16_e32 v53, 7, v54
	v_lshrrev_b32_e32 v54, 18, v46
	v_cndmask_b32_e64 v55, 0, -1, s[30:31]
	v_cndmask_b32_e64 v57, 0, -1, vcc
	v_bfe_i32 v53, v53, 0, 1
	v_lshlrev_b16_e32 v55, 8, v55
	v_lshlrev_b16_e32 v57, 8, v57
	v_bfe_i32 v54, v54, 0, 1
	v_or_b32_sdwa v56, v53, v55 dst_sel:DWORD dst_unused:UNUSED_PAD src0_sel:BYTE_0 src1_sel:DWORD
	v_or_b32_sdwa v58, v54, v57 dst_sel:WORD_1 dst_unused:UNUSED_PAD src0_sel:BYTE_0 src1_sel:DWORD
	v_or_b32_sdwa v56, v56, v58 dst_sel:DWORD dst_unused:UNUSED_PAD src0_sel:WORD_0 src1_sel:DWORD
	v_lshrrev_b32_e32 v58, 13, v46
	v_lshl_or_b32 v42, v42, 17, v58
	v_and_b32_e32 v58, 0x1800180, v42
	v_bfe_u32 v42, v42, 24, 1
	v_cmp_ne_u16_e32 vcc, 0, v42
	v_cmp_ne_u16_sdwa s[30:31], v58, v31 src0_sel:BYTE_1 src1_sel:DWORD
	v_lshrrev_b16_e32 v42, 7, v58
	v_lshrrev_b32_e32 v58, 22, v46
	v_bfe_i32 v59, v42, 0, 1
	v_cndmask_b32_e64 v42, 0, -1, s[30:31]
	v_cndmask_b32_e64 v61, 0, -1, vcc
	v_lshlrev_b16_e32 v60, 8, v42
	v_lshlrev_b16_e32 v61, 8, v61
	v_bfe_i32 v58, v58, 0, 1
	v_or_b32_sdwa v42, v59, v60 dst_sel:DWORD dst_unused:UNUSED_PAD src0_sel:BYTE_0 src1_sel:DWORD
	v_or_b32_sdwa v62, v58, v61 dst_sel:WORD_1 dst_unused:UNUSED_PAD src0_sel:BYTE_0 src1_sel:DWORD
	v_or_b32_sdwa v62, v42, v62 dst_sel:DWORD dst_unused:UNUSED_PAD src0_sel:WORD_0 src1_sel:DWORD
	v_lshlrev_b16_e32 v53, 8, v53
	v_lshlrev_b16_e32 v54, 8, v54
	s_waitcnt vmcnt(1)
	v_xor_b32_e32 v42, v43, v56
	v_and_b32_e32 v43, 0xffffff00, v42
	v_sub_i16 v43, v43, v55 clamp
	v_lshlrev_b16_e32 v55, 8, v42
	v_sub_i16 v53, v55, v53 clamp
	v_perm_b32 v43, v53, v43, s28
	v_and_b32_sdwa v53, v42, s27 dst_sel:DWORD dst_unused:UNUSED_PAD src0_sel:WORD_1 src1_sel:DWORD
	v_lshlrev_b16_sdwa v42, v38, v42 dst_sel:DWORD dst_unused:UNUSED_PAD src0_sel:DWORD src1_sel:WORD_1
	v_sub_i16 v53, v53, v57 clamp
	v_sub_i16 v42, v42, v54 clamp
	v_perm_b32 v42, v42, v53, s28
	v_lshl_or_b32 v42, v42, 16, v43
	s_waitcnt vmcnt(0)
	v_xor_b32_e32 v43, v52, v62
	v_and_b32_e32 v52, 0xffffff00, v43
	v_lshlrev_b16_e32 v53, 8, v43
	v_lshlrev_b16_e32 v54, 8, v59
	v_sub_i16 v52, v52, v60 clamp
	v_sub_i16 v53, v53, v54 clamp
	v_perm_b32 v52, v53, v52, s28
	v_and_b32_sdwa v53, v43, s27 dst_sel:DWORD dst_unused:UNUSED_PAD src0_sel:WORD_1 src1_sel:DWORD
	v_lshlrev_b16_sdwa v43, v38, v43 dst_sel:DWORD dst_unused:UNUSED_PAD src0_sel:DWORD src1_sel:WORD_1
	v_lshlrev_b16_e32 v54, 8, v58
	v_sub_i16 v53, v53, v61 clamp
	v_sub_i16 v43, v43, v54 clamp
	v_perm_b32 v43, v43, v53, s28
	v_lshl_or_b32 v43, v43, 16, v52
	v_bfe_u32 v52, v44, 16, 8
	v_lshlrev_b32_e32 v53, 2, v45
	v_and_or_b32 v52, v53, s23, v52
	v_lshlrev_b32_e32 v52, 2, v52
	global_load_dword v52, v52, s[16:17]
	v_lshrrev_b32_e32 v44, 24, v44
	v_lshlrev_b32_e32 v45, 1, v45
	v_and_or_b32 v44, v45, s23, v44
	v_lshlrev_b32_e32 v44, 2, v44
	global_load_dword v45, v44, s[16:17]
	v_lshrrev_b32_e32 v44, 17, v46
	v_lshrrev_b32_e32 v53, 24, v46
	v_lshl_or_b32 v44, v53, 21, v44
	v_and_b32_e32 v53, 0x1800180, v44
	v_bfe_u32 v44, v44, 24, 1
	v_cmp_ne_u16_e32 vcc, 0, v44
	v_cmp_ne_u16_sdwa s[30:31], v53, v31 src0_sel:BYTE_1 src1_sel:DWORD
	v_lshrrev_b16_e32 v44, 7, v53
	v_lshrrev_b32_e32 v53, 26, v46
	v_cndmask_b32_e64 v54, 0, -1, s[30:31]
	v_cndmask_b32_e64 v56, 0, -1, vcc
	v_bfe_i32 v44, v44, 0, 1
	v_lshlrev_b16_e32 v54, 8, v54
	v_lshlrev_b16_e32 v56, 8, v56
	v_bfe_i32 v53, v53, 0, 1
	v_or_b32_sdwa v55, v44, v54 dst_sel:DWORD dst_unused:UNUSED_PAD src0_sel:BYTE_0 src1_sel:DWORD
	v_or_b32_sdwa v57, v53, v56 dst_sel:WORD_1 dst_unused:UNUSED_PAD src0_sel:BYTE_0 src1_sel:DWORD
	v_or_b32_sdwa v55, v55, v57 dst_sel:DWORD dst_unused:UNUSED_PAD src0_sel:WORD_0 src1_sel:DWORD
	v_lshrrev_b32_e32 v57, 21, v46
	v_lshrrev_b32_e32 v59, 31, v46
	v_lshrrev_b16_e32 v58, 8, v57
	v_cmp_ne_u16_e32 vcc, 0, v59
	v_lshrrev_b32_e32 v46, 30, v46
	v_lshrrev_b16_e32 v57, 7, v57
	v_bfe_i32 v58, v58, 0, 1
	v_cndmask_b32_e64 v60, 0, -1, vcc
	v_lshlrev_b16_e32 v44, 8, v44
	v_lshlrev_b16_e32 v58, 8, v58
	v_bfe_i32 v57, v57, 0, 1
	v_bfe_i32 v46, v46, 0, 1
	v_lshlrev_b16_e32 v60, 8, v60
	v_or_b32_sdwa v59, v57, v58 dst_sel:DWORD dst_unused:UNUSED_PAD src0_sel:BYTE_0 src1_sel:DWORD
	v_or_b32_sdwa v61, v46, v60 dst_sel:WORD_1 dst_unused:UNUSED_PAD src0_sel:BYTE_0 src1_sel:DWORD
	v_lshlrev_b16_e32 v53, 8, v53
	v_or_b32_sdwa v59, v59, v61 dst_sel:DWORD dst_unused:UNUSED_PAD src0_sel:WORD_0 src1_sel:DWORD
	v_lshlrev_b16_e32 v46, 8, v46
	v_dot4_i32_i8 v49, v42, v3, v49
	v_dot4_i32_i8 v49, v43, v4, v49
	s_waitcnt vmcnt(1)
	v_xor_b32_e32 v52, v52, v55
	v_and_b32_e32 v55, 0xffffff00, v52
	v_sub_i16 v54, v55, v54 clamp
	v_lshlrev_b16_e32 v55, 8, v52
	v_sub_i16 v44, v55, v44 clamp
	v_perm_b32 v44, v44, v54, s28
	v_and_b32_sdwa v54, v52, s27 dst_sel:DWORD dst_unused:UNUSED_PAD src0_sel:WORD_1 src1_sel:DWORD
	v_lshlrev_b16_sdwa v52, v38, v52 dst_sel:DWORD dst_unused:UNUSED_PAD src0_sel:DWORD src1_sel:WORD_1
	v_sub_i16 v54, v54, v56 clamp
	v_sub_i16 v52, v52, v53 clamp
	v_perm_b32 v52, v52, v54, s28
	s_waitcnt vmcnt(0)
	v_xor_b32_e32 v45, v45, v59
	v_lshl_or_b32 v44, v52, 16, v44
	v_and_b32_e32 v52, 0xffffff00, v45
	v_lshlrev_b16_e32 v53, 8, v45
	v_lshlrev_b16_e32 v54, 8, v57
	v_sub_i16 v52, v52, v58 clamp
	v_sub_i16 v53, v53, v54 clamp
	v_perm_b32 v52, v53, v52, s28
	v_and_b32_sdwa v53, v45, s27 dst_sel:DWORD dst_unused:UNUSED_PAD src0_sel:WORD_1 src1_sel:DWORD
	v_lshlrev_b16_sdwa v45, v38, v45 dst_sel:DWORD dst_unused:UNUSED_PAD src0_sel:DWORD src1_sel:WORD_1
	v_sub_i16 v53, v53, v60 clamp
	v_sub_i16 v45, v45, v46 clamp
	v_perm_b32 v45, v45, v53, s28
	v_lshl_or_b32 v45, v45, 16, v52
	v_add_co_u32_e32 v52, vcc, v47, v33
	v_dot4_i32_i8 v46, v44, v5, v49
	v_addc_co_u32_e32 v53, vcc, 0, v48, vcc
	v_dot4_i32_i8 v49, v45, v51, v46
	global_load_ubyte v46, v[52:53], off offset:106
	s_nop 0
	global_load_ushort v47, v[47:48], off
	s_waitcnt vmcnt(1)
	v_lshrrev_b32_e32 v46, v34, v46
	v_lshlrev_b32_e32 v46, 1, v46
	v_and_or_b32 v46, v46, 30, 1
	v_mul_lo_u32 v49, v49, v46
	s_waitcnt vmcnt(0)
	v_cvt_f32_f16_e32 v47, v47
	v_cvt_f32_i32_e32 v49, v49
	v_mul_f32_e32 v48, v47, v50
	v_fmac_f32_e32 v29, v48, v49
	v_add_u32_e32 v48, s0, v30
	v_mad_i64_i32 v[14:15], s[30:31], v48, s22, v[14:15]
	v_add_u32_e32 v30, 8, v30
	v_add_co_u32_e32 v48, vcc, v14, v36
	v_addc_co_u32_e32 v49, vcc, 0, v15, vcc
	global_load_dwordx2 v[52:53], v[48:49], off offset:2
	v_add_co_u32_e32 v48, vcc, v14, v32
	v_addc_co_u32_e32 v49, vcc, 0, v15, vcc
	global_load_ubyte v54, v[48:49], off offset:66
	v_add_co_u32_e32 v48, vcc, v14, v37
	v_addc_co_u32_e32 v49, vcc, 0, v15, vcc
	global_load_dword v55, v[48:49], off offset:74
	s_waitcnt vmcnt(2)
	v_and_b32_e32 v48, 0xff, v52
	s_waitcnt vmcnt(1)
	v_lshlrev_b32_e32 v49, 8, v54
	v_and_or_b32 v48, v49, s23, v48
	v_lshlrev_b32_e32 v48, 2, v48
	global_load_dword v48, v48, s[16:17]
	v_bfe_u32 v49, v52, 8, 8
	v_lshlrev_b32_e32 v57, 7, v54
	v_and_or_b32 v49, v57, s23, v49
	v_lshlrev_b32_e32 v49, 2, v49
	global_load_dword v49, v49, s[16:17]
	s_waitcnt vmcnt(2)
	v_and_b32_e32 v57, 0xff, v55
	v_lshlrev_b32_e32 v58, 21, v55
	v_lshl_or_b32 v58, v57, 7, v58
	v_and_b32_e32 v59, 0x1800180, v58
	v_bfe_u32 v58, v58, 24, 1
	v_cmp_ne_u16_e32 vcc, 0, v58
	v_cmp_ne_u16_sdwa s[30:31], v59, v31 src0_sel:BYTE_1 src1_sel:DWORD
	v_lshrrev_b16_e32 v58, 7, v59
	v_lshrrev_b32_e32 v59, 2, v55
	v_cndmask_b32_e64 v60, 0, -1, s[30:31]
	v_cndmask_b32_e64 v62, 0, -1, vcc
	v_bfe_i32 v58, v58, 0, 1
	v_lshlrev_b16_e32 v60, 8, v60
	v_lshlrev_b16_e32 v62, 8, v62
	v_bfe_i32 v59, v59, 0, 1
	v_or_b32_sdwa v61, v58, v60 dst_sel:DWORD dst_unused:UNUSED_PAD src0_sel:BYTE_0 src1_sel:DWORD
	v_or_b32_sdwa v63, v59, v62 dst_sel:WORD_1 dst_unused:UNUSED_PAD src0_sel:BYTE_0 src1_sel:DWORD
	v_or_b32_sdwa v61, v61, v63 dst_sel:DWORD dst_unused:UNUSED_PAD src0_sel:WORD_0 src1_sel:DWORD
	v_lshlrev_b32_e32 v63, 17, v55
	v_lshl_or_b32 v57, v57, 3, v63
	v_and_b32_e32 v63, 0x1800180, v57
	v_bfe_u32 v57, v57, 24, 1
	v_cmp_ne_u16_e32 vcc, 0, v57
	v_cmp_ne_u16_sdwa s[30:31], v63, v31 src0_sel:BYTE_1 src1_sel:DWORD
	v_lshrrev_b16_e32 v57, 7, v63
	v_lshrrev_b32_e32 v63, 6, v55
	v_cndmask_b32_e64 v64, 0, -1, s[30:31]
	v_cndmask_b32_e64 v66, 0, -1, vcc
	v_lshlrev_b16_e32 v58, 8, v58
	v_bfe_i32 v57, v57, 0, 1
	v_lshlrev_b16_e32 v64, 8, v64
	v_lshlrev_b16_e32 v66, 8, v66
	v_bfe_i32 v63, v63, 0, 1
	v_or_b32_sdwa v65, v57, v64 dst_sel:DWORD dst_unused:UNUSED_PAD src0_sel:BYTE_0 src1_sel:DWORD
	v_or_b32_sdwa v67, v63, v66 dst_sel:WORD_1 dst_unused:UNUSED_PAD src0_sel:BYTE_0 src1_sel:DWORD
	v_lshlrev_b16_e32 v59, 8, v59
	v_or_b32_sdwa v65, v65, v67 dst_sel:DWORD dst_unused:UNUSED_PAD src0_sel:WORD_0 src1_sel:DWORD
	v_lshlrev_b16_e32 v57, 8, v57
	v_lshrrev_b32_e32 v56, 16, v55
	s_waitcnt vmcnt(1)
	v_xor_b32_e32 v48, v48, v61
	v_and_b32_e32 v61, 0xffffff00, v48
	v_sub_i16 v60, v61, v60 clamp
	v_lshlrev_b16_e32 v61, 8, v48
	v_sub_i16 v58, v61, v58 clamp
	v_perm_b32 v58, v58, v60, s28
	v_and_b32_sdwa v60, v48, s27 dst_sel:DWORD dst_unused:UNUSED_PAD src0_sel:WORD_1 src1_sel:DWORD
	v_lshlrev_b16_sdwa v48, v38, v48 dst_sel:DWORD dst_unused:UNUSED_PAD src0_sel:DWORD src1_sel:WORD_1
	v_sub_i16 v60, v60, v62 clamp
	v_sub_i16 v48, v48, v59 clamp
	v_perm_b32 v48, v48, v60, s28
	s_waitcnt vmcnt(0)
	v_xor_b32_e32 v49, v49, v65
	v_lshl_or_b32 v48, v48, 16, v58
	v_and_b32_e32 v58, 0xffffff00, v49
	v_lshlrev_b16_e32 v59, 8, v49
	v_sub_i16 v58, v58, v64 clamp
	v_sub_i16 v57, v59, v57 clamp
	v_perm_b32 v57, v57, v58, s28
	v_and_b32_sdwa v58, v49, s27 dst_sel:DWORD dst_unused:UNUSED_PAD src0_sel:WORD_1 src1_sel:DWORD
	v_lshlrev_b16_sdwa v49, v38, v49 dst_sel:DWORD dst_unused:UNUSED_PAD src0_sel:DWORD src1_sel:WORD_1
	v_lshlrev_b16_e32 v59, 8, v63
	v_sub_i16 v58, v58, v66 clamp
	v_sub_i16 v49, v49, v59 clamp
	v_perm_b32 v49, v49, v58, s28
	v_lshl_or_b32 v49, v49, 16, v57
	v_dot4_i32_i8 v7, v48, v7, 0
	v_dot4_i32_i8 v57, v49, v8, v7
	v_bfe_u32 v7, v52, 16, 8
	v_lshlrev_b32_e32 v8, 6, v54
	v_and_or_b32 v7, v8, s23, v7
	v_lshlrev_b32_e32 v7, 2, v7
	global_load_dword v7, v7, s[16:17]
	v_lshrrev_b32_e32 v8, 24, v52
	v_lshlrev_b32_e32 v52, 5, v54
	v_and_or_b32 v8, v52, s23, v8
	v_lshlrev_b32_e32 v8, 2, v8
	global_load_dword v8, v8, s[16:17]
	v_lshrrev_b32_e32 v52, 1, v55
	v_and_b32_e32 v52, 0x180, v52
	v_lshrrev_b32_e32 v58, 11, v55
	v_cmp_ne_u16_sdwa s[30:31], v52, v31 src0_sel:BYTE_1 src1_sel:DWORD
	v_lshrrev_b32_e32 v59, 10, v55
	v_lshrrev_b16_e32 v52, 7, v52
	v_cndmask_b32_e64 v60, 0, -1, s[30:31]
	v_bfe_i32 v58, v58, 0, 1
	v_bfe_i32 v52, v52, 0, 1
	v_lshlrev_b16_e32 v60, 8, v60
	v_lshlrev_b16_e32 v58, 8, v58
	v_bfe_i32 v59, v59, 0, 1
	v_or_b32_sdwa v61, v52, v60 dst_sel:DWORD dst_unused:UNUSED_PAD src0_sel:BYTE_0 src1_sel:DWORD
	v_or_b32_sdwa v62, v59, v58 dst_sel:WORD_1 dst_unused:UNUSED_PAD src0_sel:BYTE_0 src1_sel:DWORD
	v_or_b32_sdwa v61, v61, v62 dst_sel:DWORD dst_unused:UNUSED_PAD src0_sel:WORD_0 src1_sel:DWORD
	v_lshrrev_b32_e32 v62, 5, v55
	v_and_b32_e32 v62, 0x180, v62
	v_lshrrev_b32_e32 v63, 15, v55
	v_cmp_ne_u16_sdwa s[30:31], v62, v31 src0_sel:BYTE_1 src1_sel:DWORD
	v_lshrrev_b32_e32 v64, 14, v55
	v_lshrrev_b16_e32 v62, 7, v62
	v_cndmask_b32_e64 v65, 0, -1, s[30:31]
	v_bfe_i32 v63, v63, 0, 1
	v_lshlrev_b16_e32 v52, 8, v52
	v_bfe_i32 v62, v62, 0, 1
	v_lshlrev_b16_e32 v65, 8, v65
	v_lshlrev_b16_e32 v63, 8, v63
	v_bfe_i32 v64, v64, 0, 1
	v_or_b32_sdwa v66, v62, v65 dst_sel:DWORD dst_unused:UNUSED_PAD src0_sel:BYTE_0 src1_sel:DWORD
	v_or_b32_sdwa v67, v64, v63 dst_sel:WORD_1 dst_unused:UNUSED_PAD src0_sel:BYTE_0 src1_sel:DWORD
	v_lshlrev_b16_e32 v59, 8, v59
	v_or_b32_sdwa v66, v66, v67 dst_sel:DWORD dst_unused:UNUSED_PAD src0_sel:WORD_0 src1_sel:DWORD
	s_waitcnt vmcnt(1)
	v_xor_b32_e32 v7, v7, v61
	v_and_b32_e32 v61, 0xffffff00, v7
	v_sub_i16 v60, v61, v60 clamp
	v_lshlrev_b16_e32 v61, 8, v7
	v_sub_i16 v52, v61, v52 clamp
	v_perm_b32 v52, v52, v60, s28
	v_and_b32_sdwa v60, v7, s27 dst_sel:DWORD dst_unused:UNUSED_PAD src0_sel:WORD_1 src1_sel:DWORD
	v_lshlrev_b16_sdwa v7, v38, v7 dst_sel:DWORD dst_unused:UNUSED_PAD src0_sel:DWORD src1_sel:WORD_1
	v_sub_i16 v58, v60, v58 clamp
	v_sub_i16 v7, v7, v59 clamp
	v_perm_b32 v7, v7, v58, s28
	s_waitcnt vmcnt(0)
	v_xor_b32_e32 v8, v8, v66
	v_lshl_or_b32 v7, v7, 16, v52
	v_and_b32_e32 v52, 0xffffff00, v8
	v_lshlrev_b16_e32 v58, 8, v8
	v_lshlrev_b16_e32 v59, 8, v62
	v_sub_i16 v52, v52, v65 clamp
	v_sub_i16 v58, v58, v59 clamp
	v_perm_b32 v52, v58, v52, s28
	v_and_b32_sdwa v58, v8, s27 dst_sel:DWORD dst_unused:UNUSED_PAD src0_sel:WORD_1 src1_sel:DWORD
	v_lshlrev_b16_sdwa v8, v38, v8 dst_sel:DWORD dst_unused:UNUSED_PAD src0_sel:DWORD src1_sel:WORD_1
	v_lshlrev_b16_e32 v59, 8, v64
	v_sub_i16 v58, v58, v63 clamp
	v_sub_i16 v8, v8, v59 clamp
	v_perm_b32 v8, v8, v58, s28
	v_lshl_or_b32 v8, v8, 16, v52
	v_dot4_i32_i8 v9, v7, v9, v57
	v_dot4_i32_i8 v52, v8, v2, v9
	v_and_b32_e32 v2, 0xff, v53
	v_lshlrev_b32_e32 v9, 4, v54
	v_and_or_b32 v2, v9, s23, v2
	v_lshlrev_b32_e32 v2, 2, v2
	global_load_dword v2, v2, s[16:17]
	v_bfe_u32 v9, v53, 8, 8
	v_lshlrev_b32_e32 v57, 3, v54
	v_and_or_b32 v9, v57, s23, v9
	v_lshlrev_b32_e32 v9, 2, v9
	global_load_dword v9, v9, s[16:17]
	v_lshrrev_b32_e32 v57, 9, v55
	v_lshl_or_b32 v57, v56, 21, v57
	v_and_b32_e32 v58, 0x1800180, v57
	v_bfe_u32 v57, v57, 24, 1
	v_cmp_ne_u16_e32 vcc, 0, v57
	v_cmp_ne_u16_sdwa s[30:31], v58, v31 src0_sel:BYTE_1 src1_sel:DWORD
	v_lshrrev_b16_e32 v57, 7, v58
	v_lshrrev_b32_e32 v58, 18, v55
	v_cndmask_b32_e64 v59, 0, -1, s[30:31]
	v_cndmask_b32_e64 v61, 0, -1, vcc
	v_bfe_i32 v57, v57, 0, 1
	v_lshlrev_b16_e32 v59, 8, v59
	v_lshlrev_b16_e32 v61, 8, v61
	v_bfe_i32 v58, v58, 0, 1
	v_or_b32_sdwa v60, v57, v59 dst_sel:DWORD dst_unused:UNUSED_PAD src0_sel:BYTE_0 src1_sel:DWORD
	v_or_b32_sdwa v62, v58, v61 dst_sel:WORD_1 dst_unused:UNUSED_PAD src0_sel:BYTE_0 src1_sel:DWORD
	v_or_b32_sdwa v60, v60, v62 dst_sel:DWORD dst_unused:UNUSED_PAD src0_sel:WORD_0 src1_sel:DWORD
	v_lshrrev_b32_e32 v62, 13, v55
	v_lshl_or_b32 v56, v56, 17, v62
	v_and_b32_e32 v62, 0x1800180, v56
	v_bfe_u32 v56, v56, 24, 1
	v_cmp_ne_u16_e32 vcc, 0, v56
	v_cmp_ne_u16_sdwa s[30:31], v62, v31 src0_sel:BYTE_1 src1_sel:DWORD
	v_lshrrev_b16_e32 v56, 7, v62
	v_lshrrev_b32_e32 v62, 22, v55
	v_cndmask_b32_e64 v63, 0, -1, s[30:31]
	v_cndmask_b32_e64 v65, 0, -1, vcc
	v_lshlrev_b16_e32 v57, 8, v57
	v_bfe_i32 v56, v56, 0, 1
	v_lshlrev_b16_e32 v63, 8, v63
	v_lshlrev_b16_e32 v65, 8, v65
	v_bfe_i32 v62, v62, 0, 1
	v_or_b32_sdwa v64, v56, v63 dst_sel:DWORD dst_unused:UNUSED_PAD src0_sel:BYTE_0 src1_sel:DWORD
	v_or_b32_sdwa v66, v62, v65 dst_sel:WORD_1 dst_unused:UNUSED_PAD src0_sel:BYTE_0 src1_sel:DWORD
	v_lshlrev_b16_e32 v58, 8, v58
	v_or_b32_sdwa v64, v64, v66 dst_sel:DWORD dst_unused:UNUSED_PAD src0_sel:WORD_0 src1_sel:DWORD
	v_lshlrev_b16_e32 v56, 8, v56
	s_waitcnt vmcnt(1)
	v_xor_b32_e32 v2, v2, v60
	v_and_b32_e32 v60, 0xffffff00, v2
	v_sub_i16 v59, v60, v59 clamp
	v_lshlrev_b16_e32 v60, 8, v2
	v_sub_i16 v57, v60, v57 clamp
	v_perm_b32 v57, v57, v59, s28
	v_and_b32_sdwa v59, v2, s27 dst_sel:DWORD dst_unused:UNUSED_PAD src0_sel:WORD_1 src1_sel:DWORD
	v_lshlrev_b16_sdwa v2, v38, v2 dst_sel:DWORD dst_unused:UNUSED_PAD src0_sel:DWORD src1_sel:WORD_1
	v_sub_i16 v59, v59, v61 clamp
	v_sub_i16 v2, v2, v58 clamp
	v_perm_b32 v2, v2, v59, s28
	s_waitcnt vmcnt(0)
	v_xor_b32_e32 v9, v9, v64
	v_lshl_or_b32 v2, v2, 16, v57
	v_and_b32_e32 v57, 0xffffff00, v9
	v_lshlrev_b16_e32 v58, 8, v9
	v_sub_i16 v57, v57, v63 clamp
	v_sub_i16 v56, v58, v56 clamp
	v_perm_b32 v56, v56, v57, s28
	v_and_b32_sdwa v57, v9, s27 dst_sel:DWORD dst_unused:UNUSED_PAD src0_sel:WORD_1 src1_sel:DWORD
	v_lshlrev_b16_sdwa v9, v38, v9 dst_sel:DWORD dst_unused:UNUSED_PAD src0_sel:DWORD src1_sel:WORD_1
	v_lshlrev_b16_e32 v58, 8, v62
	v_sub_i16 v57, v57, v65 clamp
	v_sub_i16 v9, v9, v58 clamp
	v_perm_b32 v9, v9, v57, s28
	v_lshl_or_b32 v9, v9, 16, v56
	v_dot4_i32_i8 v3, v2, v3, v52
	v_dot4_i32_i8 v52, v9, v4, v3
	v_bfe_u32 v3, v53, 16, 8
	v_lshlrev_b32_e32 v4, 2, v54
	v_and_or_b32 v3, v4, s23, v3
	v_lshlrev_b32_e32 v3, 2, v3
	global_load_dword v3, v3, s[16:17]
	v_lshrrev_b32_e32 v4, 24, v53
	v_lshlrev_b32_e32 v53, 1, v54
	v_and_or_b32 v4, v53, s23, v4
	v_lshlrev_b32_e32 v4, 2, v4
	global_load_dword v4, v4, s[16:17]
	v_lshrrev_b32_e32 v53, 17, v55
	v_lshrrev_b32_e32 v54, 24, v55
	v_lshl_or_b32 v53, v54, 21, v53
	v_and_b32_e32 v54, 0x1800180, v53
	v_bfe_u32 v53, v53, 24, 1
	v_cmp_ne_u16_e32 vcc, 0, v53
	v_cmp_ne_u16_sdwa s[16:17], v54, v31 src0_sel:BYTE_1 src1_sel:DWORD
	v_lshrrev_b16_e32 v53, 7, v54
	v_lshrrev_b32_e32 v54, 26, v55
	v_cndmask_b32_e64 v56, 0, -1, s[16:17]
	v_cndmask_b32_e64 v58, 0, -1, vcc
	v_bfe_i32 v53, v53, 0, 1
	v_lshlrev_b16_e32 v56, 8, v56
	v_lshlrev_b16_e32 v58, 8, v58
	v_bfe_i32 v54, v54, 0, 1
	v_or_b32_sdwa v57, v53, v56 dst_sel:DWORD dst_unused:UNUSED_PAD src0_sel:BYTE_0 src1_sel:DWORD
	v_or_b32_sdwa v59, v54, v58 dst_sel:WORD_1 dst_unused:UNUSED_PAD src0_sel:BYTE_0 src1_sel:DWORD
	v_or_b32_sdwa v57, v57, v59 dst_sel:DWORD dst_unused:UNUSED_PAD src0_sel:WORD_0 src1_sel:DWORD
	v_lshrrev_b32_e32 v59, 21, v55
	v_lshrrev_b32_e32 v61, 31, v55
	v_lshrrev_b16_e32 v60, 8, v59
	v_cmp_ne_u16_e32 vcc, 0, v61
	v_lshrrev_b32_e32 v55, 30, v55
	v_lshrrev_b16_e32 v59, 7, v59
	v_bfe_i32 v60, v60, 0, 1
	v_cndmask_b32_e64 v62, 0, -1, vcc
	v_lshlrev_b16_e32 v53, 8, v53
	v_lshlrev_b16_e32 v60, 8, v60
	v_bfe_i32 v59, v59, 0, 1
	v_bfe_i32 v55, v55, 0, 1
	v_lshlrev_b16_e32 v62, 8, v62
	v_or_b32_sdwa v61, v59, v60 dst_sel:DWORD dst_unused:UNUSED_PAD src0_sel:BYTE_0 src1_sel:DWORD
	v_or_b32_sdwa v63, v55, v62 dst_sel:WORD_1 dst_unused:UNUSED_PAD src0_sel:BYTE_0 src1_sel:DWORD
	v_lshlrev_b16_e32 v54, 8, v54
	v_or_b32_sdwa v61, v61, v63 dst_sel:DWORD dst_unused:UNUSED_PAD src0_sel:WORD_0 src1_sel:DWORD
	v_lshlrev_b16_e32 v55, 8, v55
	s_waitcnt vmcnt(1)
	v_xor_b32_e32 v3, v3, v57
	v_and_b32_e32 v57, 0xffffff00, v3
	v_sub_i16 v56, v57, v56 clamp
	v_lshlrev_b16_e32 v57, 8, v3
	v_sub_i16 v53, v57, v53 clamp
	v_perm_b32 v53, v53, v56, s28
	v_and_b32_sdwa v56, v3, s27 dst_sel:DWORD dst_unused:UNUSED_PAD src0_sel:WORD_1 src1_sel:DWORD
	v_lshlrev_b16_sdwa v3, v38, v3 dst_sel:DWORD dst_unused:UNUSED_PAD src0_sel:DWORD src1_sel:WORD_1
	v_sub_i16 v56, v56, v58 clamp
	v_sub_i16 v3, v3, v54 clamp
	v_perm_b32 v3, v3, v56, s28
	s_waitcnt vmcnt(0)
	v_xor_b32_e32 v4, v4, v61
	v_lshl_or_b32 v3, v3, 16, v53
	v_and_b32_e32 v53, 0xffffff00, v4
	v_lshlrev_b16_e32 v54, 8, v4
	v_lshlrev_b16_e32 v56, 8, v59
	v_sub_i16 v53, v53, v60 clamp
	v_sub_i16 v54, v54, v56 clamp
	v_perm_b32 v53, v54, v53, s28
	v_and_b32_sdwa v54, v4, s27 dst_sel:DWORD dst_unused:UNUSED_PAD src0_sel:WORD_1 src1_sel:DWORD
	v_lshlrev_b16_sdwa v4, v38, v4 dst_sel:DWORD dst_unused:UNUSED_PAD src0_sel:DWORD src1_sel:WORD_1
	v_sub_i16 v54, v54, v62 clamp
	v_sub_i16 v4, v4, v55 clamp
	v_perm_b32 v4, v4, v54, s28
	v_lshl_or_b32 v4, v4, 16, v53
	v_dot4_i32_i8 v5, v3, v5, v52
	v_dot4_i32_i8 v5, v4, v51, v5
	v_add_co_u32_e32 v51, vcc, v14, v33
	v_addc_co_u32_e32 v52, vcc, 0, v15, vcc
	global_load_ubyte v51, v[51:52], off offset:106
	v_add_co_u32_e32 v10, vcc, 0x900, v10
	v_addc_co_u32_e32 v11, vcc, 0, v11, vcc
	v_cmp_le_u32_e32 vcc, s9, v30
	s_or_b64 s[12:13], vcc, s[12:13]
	s_waitcnt vmcnt(0)
	v_lshrrev_b32_e32 v51, v34, v51
	v_lshlrev_b32_e32 v51, 1, v51
	v_and_or_b32 v51, v51, 30, 1
	v_mul_lo_u32 v52, v5, v51
	global_load_ushort v5, v[14:15], off
	v_cvt_f32_i32_e32 v15, v52
	s_waitcnt vmcnt(0)
	v_cvt_f32_f16_e32 v5, v5
	v_mul_f32_e32 v14, v5, v50
	v_fmac_f32_e32 v28, v14, v15
	v_add_u32_e32 v14, s1, v35
	v_mad_u64_u32 v[14:15], s[16:17], v14, 36, v[12:13]
	global_load_dword v50, v[14:15], off offset:32
	global_load_dwordx4 v[52:55], v[14:15], off offset:16
	global_load_dwordx4 v[56:59], v[14:15], off
	s_waitcnt vmcnt(0)
	v_dot4_i32_i8 v15, v6, v57, 0
	v_dot4_i32_i8 v15, v39, v58, v15
	v_dot4_i32_i8 v15, v40, v59, v15
	v_dot4_i32_i8 v15, v41, v52, v15
	v_dot4_i32_i8 v15, v42, v53, v15
	v_dot4_i32_i8 v15, v43, v54, v15
	v_dot4_i32_i8 v15, v44, v55, v15
	v_dot4_i32_i8 v15, v45, v50, v15
	v_mul_lo_u32 v15, v15, v46
	v_cvt_f32_f16_e32 v14, v56
	v_cvt_f32_i32_e32 v15, v15
	v_mul_f32_e32 v56, v47, v14
	v_mul_f32_e32 v14, v5, v14
	v_fmac_f32_e32 v27, v56, v15
	v_dot4_i32_i8 v15, v48, v57, 0
	v_dot4_i32_i8 v15, v49, v58, v15
	v_dot4_i32_i8 v15, v7, v59, v15
	v_dot4_i32_i8 v15, v8, v52, v15
	v_dot4_i32_i8 v15, v2, v53, v15
	v_dot4_i32_i8 v15, v9, v54, v15
	v_dot4_i32_i8 v15, v3, v55, v15
	v_dot4_i32_i8 v15, v4, v50, v15
	v_mul_lo_u32 v15, v15, v51
	v_cvt_f32_i32_e32 v15, v15
	v_fmac_f32_e32 v26, v14, v15
	v_add_u32_e32 v14, s26, v35
	v_mad_u64_u32 v[14:15], s[16:17], v14, 36, v[12:13]
	global_load_dword v50, v[14:15], off offset:32
	global_load_dwordx4 v[52:55], v[14:15], off offset:16
	global_load_dwordx4 v[56:59], v[14:15], off
	s_waitcnt vmcnt(0)
	v_dot4_i32_i8 v15, v6, v57, 0
	v_dot4_i32_i8 v15, v39, v58, v15
	v_dot4_i32_i8 v15, v40, v59, v15
	v_dot4_i32_i8 v15, v41, v52, v15
	v_dot4_i32_i8 v15, v42, v53, v15
	v_dot4_i32_i8 v15, v43, v54, v15
	v_dot4_i32_i8 v15, v44, v55, v15
	v_dot4_i32_i8 v15, v45, v50, v15
	v_mul_lo_u32 v15, v15, v46
	v_cvt_f32_f16_e32 v14, v56
	v_cvt_f32_i32_e32 v15, v15
	v_mul_f32_e32 v56, v47, v14
	v_mul_f32_e32 v14, v5, v14
	v_fmac_f32_e32 v25, v56, v15
	v_dot4_i32_i8 v15, v48, v57, 0
	v_dot4_i32_i8 v15, v49, v58, v15
	v_dot4_i32_i8 v15, v7, v59, v15
	v_dot4_i32_i8 v15, v8, v52, v15
	v_dot4_i32_i8 v15, v2, v53, v15
	v_dot4_i32_i8 v15, v9, v54, v15
	v_dot4_i32_i8 v15, v3, v55, v15
	v_dot4_i32_i8 v15, v4, v50, v15
	v_mul_lo_u32 v15, v15, v51
	v_cvt_f32_i32_e32 v15, v15
	;; [unrolled: 31-line block ×5, first 2 shown]
	v_fmac_f32_e32 v19, v14, v15
	v_add_u32_e32 v14, s15, v35
	v_mad_u64_u32 v[14:15], s[16:17], v14, 36, v[12:13]
	global_load_dword v50, v[14:15], off offset:32
	global_load_dwordx4 v[52:55], v[14:15], off offset:16
	global_load_dwordx4 v[56:59], v[14:15], off
	v_add_u32_e32 v35, 64, v35
	s_waitcnt vmcnt(0)
	v_dot4_i32_i8 v6, v6, v57, 0
	v_dot4_i32_i8 v6, v39, v58, v6
	;; [unrolled: 1-line block ×8, first 2 shown]
	v_mul_lo_u32 v6, v6, v46
	v_cvt_f32_f16_e32 v14, v56
	v_cvt_f32_i32_e32 v6, v6
	v_mul_f32_e32 v15, v47, v14
	v_fmac_f32_e32 v17, v15, v6
	v_dot4_i32_i8 v6, v48, v57, 0
	v_dot4_i32_i8 v6, v49, v58, v6
	;; [unrolled: 1-line block ×8, first 2 shown]
	v_mul_lo_u32 v2, v2, v51
	v_mul_f32_e32 v3, v5, v14
	v_cvt_f32_i32_e32 v2, v2
	v_fmac_f32_e32 v16, v3, v2
	s_andn2_b64 exec, exec, s[12:13]
	s_cbranch_execnz .LBB262_2
; %bb.3:
	s_or_b64 exec, exec, s[12:13]
.LBB262_4:
	s_or_b64 exec, exec, s[10:11]
	s_mov_b32 s1, 0
	v_cmp_eq_u32_e32 vcc, 0, v1
	; wave barrier
	s_and_saveexec_b64 s[10:11], vcc
	s_cbranch_execz .LBB262_19
; %bb.5:
	v_mbcnt_lo_u32_b32 v1, -1, 0
	v_mbcnt_hi_u32_b32 v6, -1, v1
	v_and_b32_e32 v1, 64, v6
	v_add_u32_e32 v7, 64, v1
	v_xor_b32_e32 v1, 32, v6
	v_cmp_lt_i32_e32 vcc, v1, v7
	v_cndmask_b32_e32 v1, v6, v1, vcc
	v_lshlrev_b32_e32 v1, 2, v1
	ds_bpermute_b32 v5, v1, v29
	ds_bpermute_b32 v8, v1, v28
	v_xor_b32_e32 v2, 16, v6
	v_cmp_lt_i32_e32 vcc, v2, v7
	v_cndmask_b32_e32 v2, v6, v2, vcc
	v_lshlrev_b32_e32 v2, 2, v2
	s_waitcnt lgkmcnt(1)
	v_add_f32_e32 v5, v29, v5
	s_waitcnt lgkmcnt(0)
	v_add_f32_e32 v8, v28, v8
	ds_bpermute_b32 v10, v2, v5
	ds_bpermute_b32 v11, v2, v8
	v_xor_b32_e32 v3, 8, v6
	v_cmp_lt_i32_e32 vcc, v3, v7
	v_cndmask_b32_e32 v3, v6, v3, vcc
	v_lshlrev_b32_e32 v3, 2, v3
	s_waitcnt lgkmcnt(1)
	v_add_f32_e32 v10, v5, v10
	s_waitcnt lgkmcnt(0)
	v_add_f32_e32 v8, v8, v11
	;; [unrolled: 10-line block ×3, first 2 shown]
	ds_bpermute_b32 v12, v4, v10
	ds_bpermute_b32 v11, v4, v8
	v_xor_b32_e32 v9, 2, v6
	v_cmp_lt_i32_e32 vcc, v9, v7
	v_cndmask_b32_e32 v9, v6, v9, vcc
	v_lshlrev_b32_e32 v5, 2, v9
	v_xor_b32_e32 v9, 1, v6
	v_cmp_lt_i32_e32 vcc, v9, v7
	s_waitcnt lgkmcnt(1)
	v_add_f32_e32 v7, v10, v12
	s_waitcnt lgkmcnt(0)
	v_add_f32_e32 v10, v8, v11
	v_cndmask_b32_e32 v6, v6, v9, vcc
	ds_bpermute_b32 v9, v5, v7
	ds_bpermute_b32 v11, v5, v10
	s_load_dwordx2 s[4:5], s[4:5], 0x38
	s_mul_i32 s3, s14, s7
	v_lshlrev_b32_e32 v8, 2, v6
	s_waitcnt lgkmcnt(0)
	v_add_f32_e32 v6, v7, v9
	v_add_f32_e32 v9, v10, v11
	s_mul_i32 s0, s18, s8
	s_add_i32 s3, s3, s6
	ds_bpermute_b32 v7, v8, v6
	ds_bpermute_b32 v10, v8, v9
	s_add_i32 s0, s3, s0
	s_lshl_b64 s[0:1], s[0:1], 2
	s_add_u32 s4, s4, s0
	v_add_u32_e32 v11, s6, v0
	s_addc_u32 s5, s5, s1
	v_cmp_gt_u32_e32 vcc, 2, v0
	v_cmp_gt_u32_e64 s[0:1], s2, v11
	s_and_b64 s[0:1], vcc, s[0:1]
	s_waitcnt lgkmcnt(1)
	v_add_f32_e32 v6, v6, v7
	s_waitcnt lgkmcnt(0)
	v_add_f32_e32 v7, v9, v10
	s_and_saveexec_b64 s[6:7], s[0:1]
	s_cbranch_execz .LBB262_7
; %bb.6:
	v_cmp_eq_u32_e32 vcc, 1, v0
	v_cndmask_b32_e32 v9, v6, v7, vcc
	v_cmp_eq_u32_e32 vcc, 2, v0
	v_cndmask_b32_e32 v9, v9, v27, vcc
	;; [unrolled: 2-line block ×13, first 2 shown]
	v_lshlrev_b32_e32 v10, 2, v0
	global_store_dword v10, v9, s[4:5]
.LBB262_7:
	s_or_b64 exec, exec, s[6:7]
	ds_bpermute_b32 v9, v1, v27
	ds_bpermute_b32 v10, v1, v26
	s_waitcnt lgkmcnt(1)
	v_add_f32_e32 v9, v27, v9
	s_waitcnt lgkmcnt(0)
	v_add_f32_e32 v10, v26, v10
	ds_bpermute_b32 v11, v2, v9
	ds_bpermute_b32 v12, v2, v10
	s_waitcnt lgkmcnt(1)
	v_add_f32_e32 v9, v9, v11
	s_waitcnt lgkmcnt(0)
	v_add_f32_e32 v10, v10, v12
	ds_bpermute_b32 v11, v3, v9
	ds_bpermute_b32 v12, v3, v10
	s_waitcnt lgkmcnt(1)
	v_add_f32_e32 v9, v9, v11
	s_waitcnt lgkmcnt(0)
	v_add_f32_e32 v10, v10, v12
	ds_bpermute_b32 v11, v4, v9
	ds_bpermute_b32 v12, v4, v10
	s_waitcnt lgkmcnt(1)
	v_add_f32_e32 v9, v9, v11
	s_waitcnt lgkmcnt(0)
	v_add_f32_e32 v10, v10, v12
	ds_bpermute_b32 v11, v5, v9
	ds_bpermute_b32 v12, v5, v10
	s_waitcnt lgkmcnt(1)
	v_add_f32_e32 v9, v9, v11
	s_waitcnt lgkmcnt(0)
	v_add_f32_e32 v11, v10, v12
	ds_bpermute_b32 v10, v8, v9
	ds_bpermute_b32 v12, v8, v11
	s_waitcnt lgkmcnt(1)
	v_add_f32_e32 v10, v9, v10
	s_waitcnt lgkmcnt(0)
	v_add_f32_e32 v9, v11, v12
	s_and_saveexec_b64 s[6:7], s[0:1]
	s_cbranch_execz .LBB262_9
; %bb.8:
	v_add_u32_e32 v11, 2, v0
	v_cmp_eq_u32_e32 vcc, 1, v11
	v_cndmask_b32_e32 v12, v6, v7, vcc
	v_cmp_eq_u32_e32 vcc, 2, v11
	v_cndmask_b32_e32 v12, v12, v10, vcc
	;; [unrolled: 2-line block ×13, first 2 shown]
	v_add_u32_e32 v11, s2, v0
	v_mov_b32_e32 v12, 0
	v_lshlrev_b64 v[11:12], 2, v[11:12]
	v_mov_b32_e32 v14, s5
	v_add_co_u32_e32 v11, vcc, s4, v11
	v_addc_co_u32_e32 v12, vcc, v14, v12, vcc
	global_store_dword v[11:12], v13, off
.LBB262_9:
	s_or_b64 exec, exec, s[6:7]
	ds_bpermute_b32 v11, v1, v25
	ds_bpermute_b32 v12, v1, v24
	s_waitcnt lgkmcnt(1)
	v_add_f32_e32 v11, v25, v11
	s_waitcnt lgkmcnt(0)
	v_add_f32_e32 v12, v24, v12
	ds_bpermute_b32 v13, v2, v11
	ds_bpermute_b32 v14, v2, v12
	s_waitcnt lgkmcnt(1)
	v_add_f32_e32 v11, v11, v13
	s_waitcnt lgkmcnt(0)
	v_add_f32_e32 v12, v12, v14
	ds_bpermute_b32 v13, v3, v11
	ds_bpermute_b32 v14, v3, v12
	s_waitcnt lgkmcnt(1)
	v_add_f32_e32 v11, v11, v13
	s_waitcnt lgkmcnt(0)
	v_add_f32_e32 v12, v12, v14
	ds_bpermute_b32 v13, v4, v11
	ds_bpermute_b32 v14, v4, v12
	s_waitcnt lgkmcnt(1)
	v_add_f32_e32 v11, v11, v13
	s_waitcnt lgkmcnt(0)
	v_add_f32_e32 v12, v12, v14
	ds_bpermute_b32 v13, v5, v11
	ds_bpermute_b32 v14, v5, v12
	s_waitcnt lgkmcnt(1)
	v_add_f32_e32 v11, v11, v13
	s_waitcnt lgkmcnt(0)
	v_add_f32_e32 v13, v12, v14
	ds_bpermute_b32 v12, v8, v11
	ds_bpermute_b32 v14, v8, v13
	s_waitcnt lgkmcnt(1)
	v_add_f32_e32 v12, v11, v12
	s_waitcnt lgkmcnt(0)
	v_add_f32_e32 v11, v13, v14
	s_and_saveexec_b64 s[6:7], s[0:1]
	s_cbranch_execz .LBB262_11
; %bb.10:
	v_add_u32_e32 v13, 4, v0
	v_cmp_eq_u32_e32 vcc, 1, v13
	v_cndmask_b32_e32 v14, v6, v7, vcc
	v_cmp_eq_u32_e32 vcc, 2, v13
	v_cndmask_b32_e32 v14, v14, v10, vcc
	;; [unrolled: 2-line block ×13, first 2 shown]
	v_lshl_or_b32 v13, s2, 1, v0
	v_mov_b32_e32 v14, 0
	v_lshlrev_b64 v[13:14], 2, v[13:14]
	v_mov_b32_e32 v24, s5
	v_add_co_u32_e32 v13, vcc, s4, v13
	v_addc_co_u32_e32 v14, vcc, v24, v14, vcc
	global_store_dword v[13:14], v15, off
.LBB262_11:
	s_or_b64 exec, exec, s[6:7]
	ds_bpermute_b32 v13, v1, v23
	ds_bpermute_b32 v14, v1, v22
	s_waitcnt lgkmcnt(1)
	v_add_f32_e32 v13, v23, v13
	s_waitcnt lgkmcnt(0)
	v_add_f32_e32 v14, v22, v14
	ds_bpermute_b32 v15, v2, v13
	ds_bpermute_b32 v22, v2, v14
	s_waitcnt lgkmcnt(1)
	v_add_f32_e32 v13, v13, v15
	s_waitcnt lgkmcnt(0)
	v_add_f32_e32 v14, v14, v22
	ds_bpermute_b32 v15, v3, v13
	ds_bpermute_b32 v22, v3, v14
	s_waitcnt lgkmcnt(1)
	v_add_f32_e32 v13, v13, v15
	s_waitcnt lgkmcnt(0)
	v_add_f32_e32 v14, v14, v22
	ds_bpermute_b32 v15, v4, v13
	ds_bpermute_b32 v22, v4, v14
	s_waitcnt lgkmcnt(1)
	v_add_f32_e32 v13, v13, v15
	s_waitcnt lgkmcnt(0)
	v_add_f32_e32 v14, v14, v22
	ds_bpermute_b32 v15, v5, v13
	ds_bpermute_b32 v22, v5, v14
	s_waitcnt lgkmcnt(1)
	v_add_f32_e32 v13, v13, v15
	s_waitcnt lgkmcnt(0)
	v_add_f32_e32 v15, v14, v22
	ds_bpermute_b32 v14, v8, v13
	ds_bpermute_b32 v22, v8, v15
	s_waitcnt lgkmcnt(1)
	v_add_f32_e32 v14, v13, v14
	s_waitcnt lgkmcnt(0)
	v_add_f32_e32 v13, v15, v22
	s_and_saveexec_b64 s[6:7], s[0:1]
	s_cbranch_execz .LBB262_13
; %bb.12:
	v_add_u32_e32 v15, 6, v0
	v_cmp_eq_u32_e32 vcc, 1, v15
	v_cndmask_b32_e32 v22, v6, v7, vcc
	v_cmp_eq_u32_e32 vcc, 2, v15
	v_cndmask_b32_e32 v22, v22, v10, vcc
	;; [unrolled: 2-line block ×12, first 2 shown]
	v_mad_u64_u32 v[22:23], s[8:9], s2, 3, v[0:1]
	v_mov_b32_e32 v23, 0
	v_cmp_eq_u32_e32 vcc, 13, v15
	v_lshlrev_b64 v[22:23], 2, v[22:23]
	v_cndmask_b32_e32 v15, v24, v16, vcc
	v_mov_b32_e32 v24, s5
	v_add_co_u32_e32 v22, vcc, s4, v22
	v_addc_co_u32_e32 v23, vcc, v24, v23, vcc
	global_store_dword v[22:23], v15, off
.LBB262_13:
	s_or_b64 exec, exec, s[6:7]
	ds_bpermute_b32 v15, v1, v21
	ds_bpermute_b32 v22, v1, v20
	s_waitcnt lgkmcnt(1)
	v_add_f32_e32 v15, v21, v15
	s_waitcnt lgkmcnt(0)
	v_add_f32_e32 v20, v20, v22
	ds_bpermute_b32 v21, v2, v15
	ds_bpermute_b32 v22, v2, v20
	s_waitcnt lgkmcnt(1)
	v_add_f32_e32 v15, v15, v21
	s_waitcnt lgkmcnt(0)
	v_add_f32_e32 v20, v20, v22
	;; [unrolled: 6-line block ×6, first 2 shown]
	s_and_saveexec_b64 s[6:7], s[0:1]
	s_cbranch_execz .LBB262_15
; %bb.14:
	v_add_u32_e32 v21, 8, v0
	v_cmp_eq_u32_e32 vcc, 1, v21
	v_cndmask_b32_e32 v22, v6, v7, vcc
	v_cmp_eq_u32_e32 vcc, 2, v21
	v_cndmask_b32_e32 v22, v22, v10, vcc
	;; [unrolled: 2-line block ×13, first 2 shown]
	v_lshl_or_b32 v21, s2, 2, v0
	v_mov_b32_e32 v22, 0
	v_lshlrev_b64 v[21:22], 2, v[21:22]
	v_mov_b32_e32 v24, s5
	v_add_co_u32_e32 v21, vcc, s4, v21
	v_addc_co_u32_e32 v22, vcc, v24, v22, vcc
	global_store_dword v[21:22], v23, off
.LBB262_15:
	s_or_b64 exec, exec, s[6:7]
	ds_bpermute_b32 v21, v1, v18
	ds_bpermute_b32 v22, v1, v19
	s_waitcnt lgkmcnt(1)
	v_add_f32_e32 v18, v18, v21
	s_waitcnt lgkmcnt(0)
	v_add_f32_e32 v19, v19, v22
	ds_bpermute_b32 v21, v2, v18
	ds_bpermute_b32 v22, v2, v19
	s_waitcnt lgkmcnt(1)
	v_add_f32_e32 v18, v18, v21
	s_waitcnt lgkmcnt(0)
	v_add_f32_e32 v19, v19, v22
	;; [unrolled: 6-line block ×6, first 2 shown]
	s_and_saveexec_b64 s[6:7], s[0:1]
	s_cbranch_execz .LBB262_17
; %bb.16:
	v_add_u32_e32 v23, 10, v0
	v_cmp_eq_u32_e32 vcc, 1, v23
	v_cndmask_b32_e32 v21, v6, v7, vcc
	v_cmp_eq_u32_e32 vcc, 2, v23
	v_cndmask_b32_e32 v21, v21, v10, vcc
	;; [unrolled: 2-line block ×12, first 2 shown]
	v_mad_u64_u32 v[21:22], s[8:9], s2, 5, v[0:1]
	v_mov_b32_e32 v22, 0
	v_cmp_eq_u32_e32 vcc, 13, v23
	v_lshlrev_b64 v[21:22], 2, v[21:22]
	v_cndmask_b32_e32 v23, v24, v16, vcc
	v_mov_b32_e32 v24, s5
	v_add_co_u32_e32 v21, vcc, s4, v21
	v_addc_co_u32_e32 v22, vcc, v24, v22, vcc
	global_store_dword v[21:22], v23, off
.LBB262_17:
	s_or_b64 exec, exec, s[6:7]
	ds_bpermute_b32 v21, v1, v17
	ds_bpermute_b32 v1, v1, v16
	s_waitcnt lgkmcnt(1)
	v_add_f32_e32 v17, v17, v21
	s_waitcnt lgkmcnt(0)
	v_add_f32_e32 v1, v16, v1
	ds_bpermute_b32 v16, v2, v17
	ds_bpermute_b32 v2, v2, v1
	s_waitcnt lgkmcnt(1)
	v_add_f32_e32 v16, v17, v16
	s_waitcnt lgkmcnt(0)
	v_add_f32_e32 v1, v1, v2
	;; [unrolled: 6-line block ×5, first 2 shown]
	ds_bpermute_b32 v3, v8, v1
	ds_bpermute_b32 v4, v8, v2
	s_and_b64 exec, exec, s[0:1]
	s_cbranch_execz .LBB262_19
; %bb.18:
	s_waitcnt lgkmcnt(1)
	v_add_f32_e32 v1, v1, v3
	v_add_u32_e32 v3, 12, v0
	v_cmp_eq_u32_e32 vcc, 1, v3
	s_waitcnt lgkmcnt(0)
	v_add_f32_e32 v2, v2, v4
	v_cndmask_b32_e32 v4, v6, v7, vcc
	v_cmp_eq_u32_e32 vcc, 2, v3
	v_cndmask_b32_e32 v4, v4, v10, vcc
	v_cmp_eq_u32_e32 vcc, 3, v3
	;; [unrolled: 2-line block ×12, first 2 shown]
	s_mul_i32 s0, s2, 6
	v_cndmask_b32_e32 v2, v1, v2, vcc
	v_or_b32_e32 v0, s0, v0
	v_mov_b32_e32 v1, 0
	v_lshlrev_b64 v[0:1], 2, v[0:1]
	v_mov_b32_e32 v3, s5
	v_add_co_u32_e32 v0, vcc, s4, v0
	v_addc_co_u32_e32 v1, vcc, v3, v1, vcc
	global_store_dword v[0:1], v2, off
.LBB262_19:
	s_endpgm
	.section	.rodata,"a",@progbits
	.p2align	6, 0x0
	.amdhsa_kernel _ZL13mul_mat_vec_qIL9ggml_type21ELi7ELb0ELb0EEvPKvS2_PKi31ggml_cuda_mm_fusion_args_devicePfj15HIP_vector_typeIjLj3EEjjjS8_jjjS8_jjjj
		.amdhsa_group_segment_fixed_size 0
		.amdhsa_private_segment_fixed_size 0
		.amdhsa_kernarg_size 144
		.amdhsa_user_sgpr_count 6
		.amdhsa_user_sgpr_private_segment_buffer 1
		.amdhsa_user_sgpr_dispatch_ptr 0
		.amdhsa_user_sgpr_queue_ptr 0
		.amdhsa_user_sgpr_kernarg_segment_ptr 1
		.amdhsa_user_sgpr_dispatch_id 0
		.amdhsa_user_sgpr_flat_scratch_init 0
		.amdhsa_user_sgpr_private_segment_size 0
		.amdhsa_uses_dynamic_stack 0
		.amdhsa_system_sgpr_private_segment_wavefront_offset 0
		.amdhsa_system_sgpr_workgroup_id_x 1
		.amdhsa_system_sgpr_workgroup_id_y 1
		.amdhsa_system_sgpr_workgroup_id_z 1
		.amdhsa_system_sgpr_workgroup_info 0
		.amdhsa_system_vgpr_workitem_id 1
		.amdhsa_next_free_vgpr 68
		.amdhsa_next_free_sgpr 32
		.amdhsa_reserve_vcc 1
		.amdhsa_reserve_flat_scratch 0
		.amdhsa_float_round_mode_32 0
		.amdhsa_float_round_mode_16_64 0
		.amdhsa_float_denorm_mode_32 3
		.amdhsa_float_denorm_mode_16_64 3
		.amdhsa_dx10_clamp 1
		.amdhsa_ieee_mode 1
		.amdhsa_fp16_overflow 0
		.amdhsa_exception_fp_ieee_invalid_op 0
		.amdhsa_exception_fp_denorm_src 0
		.amdhsa_exception_fp_ieee_div_zero 0
		.amdhsa_exception_fp_ieee_overflow 0
		.amdhsa_exception_fp_ieee_underflow 0
		.amdhsa_exception_fp_ieee_inexact 0
		.amdhsa_exception_int_div_zero 0
	.end_amdhsa_kernel
	.section	.text._ZL13mul_mat_vec_qIL9ggml_type21ELi7ELb0ELb0EEvPKvS2_PKi31ggml_cuda_mm_fusion_args_devicePfj15HIP_vector_typeIjLj3EEjjjS8_jjjS8_jjjj,"axG",@progbits,_ZL13mul_mat_vec_qIL9ggml_type21ELi7ELb0ELb0EEvPKvS2_PKi31ggml_cuda_mm_fusion_args_devicePfj15HIP_vector_typeIjLj3EEjjjS8_jjjS8_jjjj,comdat
.Lfunc_end262:
	.size	_ZL13mul_mat_vec_qIL9ggml_type21ELi7ELb0ELb0EEvPKvS2_PKi31ggml_cuda_mm_fusion_args_devicePfj15HIP_vector_typeIjLj3EEjjjS8_jjjS8_jjjj, .Lfunc_end262-_ZL13mul_mat_vec_qIL9ggml_type21ELi7ELb0ELb0EEvPKvS2_PKi31ggml_cuda_mm_fusion_args_devicePfj15HIP_vector_typeIjLj3EEjjjS8_jjjS8_jjjj
                                        ; -- End function
	.set _ZL13mul_mat_vec_qIL9ggml_type21ELi7ELb0ELb0EEvPKvS2_PKi31ggml_cuda_mm_fusion_args_devicePfj15HIP_vector_typeIjLj3EEjjjS8_jjjS8_jjjj.num_vgpr, 68
	.set _ZL13mul_mat_vec_qIL9ggml_type21ELi7ELb0ELb0EEvPKvS2_PKi31ggml_cuda_mm_fusion_args_devicePfj15HIP_vector_typeIjLj3EEjjjS8_jjjS8_jjjj.num_agpr, 0
	.set _ZL13mul_mat_vec_qIL9ggml_type21ELi7ELb0ELb0EEvPKvS2_PKi31ggml_cuda_mm_fusion_args_devicePfj15HIP_vector_typeIjLj3EEjjjS8_jjjS8_jjjj.numbered_sgpr, 32
	.set _ZL13mul_mat_vec_qIL9ggml_type21ELi7ELb0ELb0EEvPKvS2_PKi31ggml_cuda_mm_fusion_args_devicePfj15HIP_vector_typeIjLj3EEjjjS8_jjjS8_jjjj.num_named_barrier, 0
	.set _ZL13mul_mat_vec_qIL9ggml_type21ELi7ELb0ELb0EEvPKvS2_PKi31ggml_cuda_mm_fusion_args_devicePfj15HIP_vector_typeIjLj3EEjjjS8_jjjS8_jjjj.private_seg_size, 0
	.set _ZL13mul_mat_vec_qIL9ggml_type21ELi7ELb0ELb0EEvPKvS2_PKi31ggml_cuda_mm_fusion_args_devicePfj15HIP_vector_typeIjLj3EEjjjS8_jjjS8_jjjj.uses_vcc, 1
	.set _ZL13mul_mat_vec_qIL9ggml_type21ELi7ELb0ELb0EEvPKvS2_PKi31ggml_cuda_mm_fusion_args_devicePfj15HIP_vector_typeIjLj3EEjjjS8_jjjS8_jjjj.uses_flat_scratch, 0
	.set _ZL13mul_mat_vec_qIL9ggml_type21ELi7ELb0ELb0EEvPKvS2_PKi31ggml_cuda_mm_fusion_args_devicePfj15HIP_vector_typeIjLj3EEjjjS8_jjjS8_jjjj.has_dyn_sized_stack, 0
	.set _ZL13mul_mat_vec_qIL9ggml_type21ELi7ELb0ELb0EEvPKvS2_PKi31ggml_cuda_mm_fusion_args_devicePfj15HIP_vector_typeIjLj3EEjjjS8_jjjS8_jjjj.has_recursion, 0
	.set _ZL13mul_mat_vec_qIL9ggml_type21ELi7ELb0ELb0EEvPKvS2_PKi31ggml_cuda_mm_fusion_args_devicePfj15HIP_vector_typeIjLj3EEjjjS8_jjjS8_jjjj.has_indirect_call, 0
	.section	.AMDGPU.csdata,"",@progbits
; Kernel info:
; codeLenInByte = 8680
; TotalNumSgprs: 36
; NumVgprs: 68
; ScratchSize: 0
; MemoryBound: 0
; FloatMode: 240
; IeeeMode: 1
; LDSByteSize: 0 bytes/workgroup (compile time only)
; SGPRBlocks: 4
; VGPRBlocks: 16
; NumSGPRsForWavesPerEU: 36
; NumVGPRsForWavesPerEU: 68
; Occupancy: 3
; WaveLimiterHint : 0
; COMPUTE_PGM_RSRC2:SCRATCH_EN: 0
; COMPUTE_PGM_RSRC2:USER_SGPR: 6
; COMPUTE_PGM_RSRC2:TRAP_HANDLER: 0
; COMPUTE_PGM_RSRC2:TGID_X_EN: 1
; COMPUTE_PGM_RSRC2:TGID_Y_EN: 1
; COMPUTE_PGM_RSRC2:TGID_Z_EN: 1
; COMPUTE_PGM_RSRC2:TIDIG_COMP_CNT: 1
	.section	.text._ZL13mul_mat_vec_qIL9ggml_type21ELi8ELb0ELb0EEvPKvS2_PKi31ggml_cuda_mm_fusion_args_devicePfj15HIP_vector_typeIjLj3EEjjjS8_jjjS8_jjjj,"axG",@progbits,_ZL13mul_mat_vec_qIL9ggml_type21ELi8ELb0ELb0EEvPKvS2_PKi31ggml_cuda_mm_fusion_args_devicePfj15HIP_vector_typeIjLj3EEjjjS8_jjjS8_jjjj,comdat
	.globl	_ZL13mul_mat_vec_qIL9ggml_type21ELi8ELb0ELb0EEvPKvS2_PKi31ggml_cuda_mm_fusion_args_devicePfj15HIP_vector_typeIjLj3EEjjjS8_jjjS8_jjjj ; -- Begin function _ZL13mul_mat_vec_qIL9ggml_type21ELi8ELb0ELb0EEvPKvS2_PKi31ggml_cuda_mm_fusion_args_devicePfj15HIP_vector_typeIjLj3EEjjjS8_jjjS8_jjjj
	.p2align	8
	.type	_ZL13mul_mat_vec_qIL9ggml_type21ELi8ELb0ELb0EEvPKvS2_PKi31ggml_cuda_mm_fusion_args_devicePfj15HIP_vector_typeIjLj3EEjjjS8_jjjS8_jjjj,@function
_ZL13mul_mat_vec_qIL9ggml_type21ELi8ELb0ELb0EEvPKvS2_PKi31ggml_cuda_mm_fusion_args_devicePfj15HIP_vector_typeIjLj3EEjjjS8_jjjS8_jjjj: ; @_ZL13mul_mat_vec_qIL9ggml_type21ELi8ELb0ELb0EEvPKvS2_PKi31ggml_cuda_mm_fusion_args_devicePfj15HIP_vector_typeIjLj3EEjjjS8_jjjS8_jjjj
; %bb.0:
	s_load_dword s9, s[4:5], 0x40
	s_load_dwordx4 s[0:3], s[4:5], 0x50
	s_load_dword s25, s[4:5], 0x60
	s_load_dwordx4 s[12:15], s[4:5], 0x68
	;; [unrolled: 2-line block ×3, first 2 shown]
	v_lshl_or_b32 v2, v1, 6, v0
	s_waitcnt lgkmcnt(0)
	s_lshr_b32 s9, s9, 8
	v_lshrrev_b32_e32 v32, 3, v2
	v_mov_b32_e32 v16, 0
	s_lshl_b32 s6, s6, 1
	v_cmp_gt_u32_e32 vcc, s9, v32
	v_mov_b32_e32 v17, v16
	v_mov_b32_e32 v19, v16
	;; [unrolled: 1-line block ×15, first 2 shown]
	s_and_saveexec_b64 s[10:11], vcc
	s_cbranch_execz .LBB263_4
; %bb.1:
	s_mul_hi_u32 s3, s3, s7
	s_add_i32 s3, s7, s3
	s_load_dwordx4 s[20:23], s[4:5], 0x0
	s_lshr_b32 s3, s3, s25
	s_mul_i32 s3, s3, s12
	s_mul_hi_u32 s12, s15, s8
	s_add_i32 s12, s8, s12
	s_lshr_b32 s12, s12, s24
	s_mul_i32 s25, s17, s8
	s_mul_i32 s15, s12, s16
	;; [unrolled: 1-line block ×3, first 2 shown]
	s_mul_hi_u32 s12, s25, 36
	s_waitcnt lgkmcnt(0)
	s_add_u32 s16, s22, s16
	s_addc_u32 s17, s23, s12
	s_mul_i32 s12, s13, s7
	s_mul_hi_u32 s13, s12, 36
	s_mul_i32 s12, s12, 36
	s_add_u32 s16, s16, s12
	v_lshlrev_b32_e32 v2, 1, v0
	s_addc_u32 s17, s17, s13
	v_and_b32_e32 v4, 14, v2
	v_bfe_u32 v35, v2, 2, 2
	s_add_i32 s19, s6, 1
	v_mov_b32_e32 v2, s12
	s_add_i32 s15, s15, s3
	s_mul_i32 s3, s6, s0
	s_mul_i32 s0, s0, s19
	s_movk_i32 s19, 0x120
	v_mov_b32_e32 v3, s13
	v_mad_u64_u32 v[2:3], s[12:13], v32, s19, v[2:3]
	v_and_b32_e32 v34, 7, v0
	v_mov_b32_e32 v6, s23
	v_mad_u64_u32 v[2:3], s[12:13], s25, 36, v[2:3]
	v_mad_u64_u32 v[12:13], s[16:17], v34, 36, s[16:17]
	;; [unrolled: 1-line block ×3, first 2 shown]
	v_lshlrev_b32_e32 v5, 1, v4
	v_mov_b32_e32 v33, 0
	v_add_co_u32_e32 v2, vcc, s22, v2
	v_addc_co_u32_e32 v3, vcc, v6, v3, vcc
	v_add_co_u32_e32 v10, vcc, 16, v2
	v_and_b32_e32 v36, 4, v5
	s_add_i32 s3, s15, s3
	s_add_i32 s0, s15, s0
	v_lshlrev_b32_e32 v37, 3, v32
	s_mul_i32 s15, s1, 7
	s_mul_i32 s19, s1, 6
	;; [unrolled: 1-line block ×3, first 2 shown]
	s_lshl_b32 s25, s1, 2
	s_mul_i32 s26, s1, 3
	s_lshl_b32 s27, s1, 1
	v_addc_co_u32_e32 v11, vcc, 0, v3, vcc
	s_mov_b64 s[12:13], 0
	s_movk_i32 s22, 0x6e
	v_lshlrev_b32_e32 v38, 1, v5
	v_lshlrev_b32_e32 v39, 1, v4
	s_movk_i32 s23, 0x100
	s_movk_i32 s28, 0xff00
	s_mov_b32 s29, 0xc0c0105
	v_mov_b32_e32 v40, 8
	v_mov_b32_e32 v31, 0
	;; [unrolled: 1-line block ×17, first 2 shown]
.LBB263_2:                              ; =>This Inner Loop Header: Depth=1
	v_mov_b32_e32 v14, s20
	v_add_u32_e32 v41, s3, v32
	v_mov_b32_e32 v15, s21
	v_mad_i64_i32 v[49:50], s[16:17], v41, s22, v[14:15]
	global_load_dword v53, v[10:11], off offset:16
	global_load_dwordx4 v[2:5], v[10:11], off
	global_load_dwordx4 v[6:9], v[10:11], off offset:-16
	s_getpc_b64 s[16:17]
	s_add_u32 s16, s16, _ZL9iq3s_grid@rel32@lo+4
	s_addc_u32 s17, s17, _ZL9iq3s_grid@rel32@hi+12
	v_add_co_u32_e32 v41, vcc, v49, v38
	v_addc_co_u32_e32 v42, vcc, 0, v50, vcc
	global_load_dwordx2 v[45:46], v[41:42], off offset:2
	v_add_co_u32_e32 v41, vcc, v49, v34
	v_addc_co_u32_e32 v42, vcc, 0, v50, vcc
	global_load_ubyte v47, v[41:42], off offset:66
	v_add_co_u32_e32 v41, vcc, v49, v39
	v_addc_co_u32_e32 v42, vcc, 0, v50, vcc
	global_load_dword v48, v[41:42], off offset:74
	s_waitcnt vmcnt(3)
	v_cvt_f32_f16_e32 v52, v6
	s_waitcnt vmcnt(2)
	v_and_b32_e32 v6, 0xff, v45
	s_waitcnt vmcnt(1)
	v_lshlrev_b32_e32 v41, 8, v47
	v_and_or_b32 v6, v41, s23, v6
	v_lshlrev_b32_e32 v6, 2, v6
	global_load_dword v6, v6, s[16:17]
	v_bfe_u32 v41, v45, 8, 8
	v_lshlrev_b32_e32 v42, 7, v47
	v_and_or_b32 v41, v42, s23, v41
	v_lshlrev_b32_e32 v41, 2, v41
	global_load_dword v41, v41, s[16:17]
	s_waitcnt vmcnt(2)
	v_and_b32_e32 v42, 0xff, v48
	v_lshlrev_b32_e32 v43, 21, v48
	v_lshl_or_b32 v43, v42, 7, v43
	v_and_b32_e32 v51, 0x1800180, v43
	v_bfe_u32 v43, v43, 24, 1
	v_cmp_ne_u16_e32 vcc, 0, v43
	v_cmp_ne_u16_sdwa s[30:31], v51, v33 src0_sel:BYTE_1 src1_sel:DWORD
	v_lshrrev_b16_e32 v43, 7, v51
	v_lshrrev_b32_e32 v51, 2, v48
	v_cndmask_b32_e64 v54, 0, -1, s[30:31]
	v_cndmask_b32_e64 v56, 0, -1, vcc
	v_bfe_i32 v43, v43, 0, 1
	v_lshlrev_b16_e32 v54, 8, v54
	v_lshlrev_b16_e32 v56, 8, v56
	v_bfe_i32 v51, v51, 0, 1
	v_or_b32_sdwa v55, v43, v54 dst_sel:DWORD dst_unused:UNUSED_PAD src0_sel:BYTE_0 src1_sel:DWORD
	v_or_b32_sdwa v57, v51, v56 dst_sel:WORD_1 dst_unused:UNUSED_PAD src0_sel:BYTE_0 src1_sel:DWORD
	v_or_b32_sdwa v55, v55, v57 dst_sel:DWORD dst_unused:UNUSED_PAD src0_sel:WORD_0 src1_sel:DWORD
	v_lshlrev_b32_e32 v57, 17, v48
	v_lshl_or_b32 v42, v42, 3, v57
	v_and_b32_e32 v57, 0x1800180, v42
	v_bfe_u32 v42, v42, 24, 1
	v_cmp_ne_u16_e32 vcc, 0, v42
	v_cmp_ne_u16_sdwa s[30:31], v57, v33 src0_sel:BYTE_1 src1_sel:DWORD
	v_lshrrev_b16_e32 v42, 7, v57
	v_lshrrev_b32_e32 v57, 6, v48
	v_cndmask_b32_e64 v58, 0, -1, s[30:31]
	v_cndmask_b32_e64 v60, 0, -1, vcc
	v_lshlrev_b16_e32 v43, 8, v43
	v_bfe_i32 v42, v42, 0, 1
	v_lshlrev_b16_e32 v58, 8, v58
	v_lshlrev_b16_e32 v60, 8, v60
	v_bfe_i32 v57, v57, 0, 1
	v_or_b32_sdwa v59, v42, v58 dst_sel:DWORD dst_unused:UNUSED_PAD src0_sel:BYTE_0 src1_sel:DWORD
	v_or_b32_sdwa v61, v57, v60 dst_sel:WORD_1 dst_unused:UNUSED_PAD src0_sel:BYTE_0 src1_sel:DWORD
	v_lshlrev_b16_e32 v51, 8, v51
	v_or_b32_sdwa v59, v59, v61 dst_sel:DWORD dst_unused:UNUSED_PAD src0_sel:WORD_0 src1_sel:DWORD
	v_lshlrev_b16_e32 v42, 8, v42
	v_lshrrev_b32_e32 v44, 16, v48
	s_waitcnt vmcnt(1)
	v_xor_b32_e32 v6, v6, v55
	v_and_b32_e32 v55, 0xffffff00, v6
	v_sub_i16 v54, v55, v54 clamp
	v_lshlrev_b16_e32 v55, 8, v6
	v_sub_i16 v43, v55, v43 clamp
	v_perm_b32 v43, v43, v54, s29
	v_and_b32_sdwa v54, v6, s28 dst_sel:DWORD dst_unused:UNUSED_PAD src0_sel:WORD_1 src1_sel:DWORD
	v_lshlrev_b16_sdwa v6, v40, v6 dst_sel:DWORD dst_unused:UNUSED_PAD src0_sel:DWORD src1_sel:WORD_1
	v_sub_i16 v54, v54, v56 clamp
	v_sub_i16 v6, v6, v51 clamp
	v_perm_b32 v6, v6, v54, s29
	s_waitcnt vmcnt(0)
	v_xor_b32_e32 v41, v41, v59
	v_lshl_or_b32 v6, v6, 16, v43
	v_and_b32_e32 v43, 0xffffff00, v41
	v_lshlrev_b16_e32 v51, 8, v41
	v_sub_i16 v43, v43, v58 clamp
	v_sub_i16 v42, v51, v42 clamp
	v_perm_b32 v42, v42, v43, s29
	v_and_b32_sdwa v43, v41, s28 dst_sel:DWORD dst_unused:UNUSED_PAD src0_sel:WORD_1 src1_sel:DWORD
	v_lshlrev_b16_sdwa v41, v40, v41 dst_sel:DWORD dst_unused:UNUSED_PAD src0_sel:DWORD src1_sel:WORD_1
	v_lshlrev_b16_e32 v51, 8, v57
	v_sub_i16 v43, v43, v60 clamp
	v_sub_i16 v41, v41, v51 clamp
	v_perm_b32 v41, v41, v43, s29
	v_lshl_or_b32 v41, v41, 16, v42
	v_dot4_i32_i8 v42, v6, v7, 0
	v_dot4_i32_i8 v51, v41, v8, v42
	v_bfe_u32 v42, v45, 16, 8
	v_lshlrev_b32_e32 v43, 6, v47
	v_and_or_b32 v42, v43, s23, v42
	v_lshlrev_b32_e32 v42, 2, v42
	global_load_dword v42, v42, s[16:17]
	v_lshrrev_b32_e32 v43, 24, v45
	v_lshlrev_b32_e32 v45, 5, v47
	v_and_or_b32 v43, v45, s23, v43
	v_lshlrev_b32_e32 v43, 2, v43
	global_load_dword v43, v43, s[16:17]
	v_lshrrev_b32_e32 v45, 1, v48
	v_and_b32_e32 v45, 0x180, v45
	v_lshrrev_b32_e32 v54, 11, v48
	v_cmp_ne_u16_sdwa s[30:31], v45, v33 src0_sel:BYTE_1 src1_sel:DWORD
	v_lshrrev_b32_e32 v55, 10, v48
	v_lshrrev_b16_e32 v45, 7, v45
	v_cndmask_b32_e64 v56, 0, -1, s[30:31]
	v_bfe_i32 v54, v54, 0, 1
	v_bfe_i32 v45, v45, 0, 1
	v_lshlrev_b16_e32 v56, 8, v56
	v_lshlrev_b16_e32 v54, 8, v54
	v_bfe_i32 v55, v55, 0, 1
	v_or_b32_sdwa v57, v45, v56 dst_sel:DWORD dst_unused:UNUSED_PAD src0_sel:BYTE_0 src1_sel:DWORD
	v_or_b32_sdwa v58, v55, v54 dst_sel:WORD_1 dst_unused:UNUSED_PAD src0_sel:BYTE_0 src1_sel:DWORD
	v_or_b32_sdwa v57, v57, v58 dst_sel:DWORD dst_unused:UNUSED_PAD src0_sel:WORD_0 src1_sel:DWORD
	v_lshrrev_b32_e32 v58, 5, v48
	v_and_b32_e32 v58, 0x180, v58
	v_lshrrev_b32_e32 v59, 15, v48
	v_cmp_ne_u16_sdwa s[30:31], v58, v33 src0_sel:BYTE_1 src1_sel:DWORD
	v_lshrrev_b32_e32 v60, 14, v48
	v_lshrrev_b16_e32 v58, 7, v58
	v_cndmask_b32_e64 v61, 0, -1, s[30:31]
	v_bfe_i32 v59, v59, 0, 1
	v_lshlrev_b16_e32 v45, 8, v45
	v_bfe_i32 v58, v58, 0, 1
	v_lshlrev_b16_e32 v61, 8, v61
	v_lshlrev_b16_e32 v59, 8, v59
	v_bfe_i32 v60, v60, 0, 1
	v_or_b32_sdwa v62, v58, v61 dst_sel:DWORD dst_unused:UNUSED_PAD src0_sel:BYTE_0 src1_sel:DWORD
	v_or_b32_sdwa v63, v60, v59 dst_sel:WORD_1 dst_unused:UNUSED_PAD src0_sel:BYTE_0 src1_sel:DWORD
	v_lshlrev_b16_e32 v55, 8, v55
	v_or_b32_sdwa v62, v62, v63 dst_sel:DWORD dst_unused:UNUSED_PAD src0_sel:WORD_0 src1_sel:DWORD
	s_waitcnt vmcnt(1)
	v_xor_b32_e32 v42, v42, v57
	v_and_b32_e32 v57, 0xffffff00, v42
	v_sub_i16 v56, v57, v56 clamp
	v_lshlrev_b16_e32 v57, 8, v42
	v_sub_i16 v45, v57, v45 clamp
	v_perm_b32 v45, v45, v56, s29
	v_and_b32_sdwa v56, v42, s28 dst_sel:DWORD dst_unused:UNUSED_PAD src0_sel:WORD_1 src1_sel:DWORD
	v_lshlrev_b16_sdwa v42, v40, v42 dst_sel:DWORD dst_unused:UNUSED_PAD src0_sel:DWORD src1_sel:WORD_1
	v_sub_i16 v54, v56, v54 clamp
	v_sub_i16 v42, v42, v55 clamp
	v_perm_b32 v42, v42, v54, s29
	s_waitcnt vmcnt(0)
	v_xor_b32_e32 v43, v43, v62
	v_lshl_or_b32 v42, v42, 16, v45
	v_and_b32_e32 v45, 0xffffff00, v43
	v_lshlrev_b16_e32 v54, 8, v43
	v_lshlrev_b16_e32 v55, 8, v58
	v_sub_i16 v45, v45, v61 clamp
	v_sub_i16 v54, v54, v55 clamp
	v_perm_b32 v45, v54, v45, s29
	v_and_b32_sdwa v54, v43, s28 dst_sel:DWORD dst_unused:UNUSED_PAD src0_sel:WORD_1 src1_sel:DWORD
	v_lshlrev_b16_sdwa v43, v40, v43 dst_sel:DWORD dst_unused:UNUSED_PAD src0_sel:DWORD src1_sel:WORD_1
	v_lshlrev_b16_e32 v55, 8, v60
	v_sub_i16 v54, v54, v59 clamp
	v_sub_i16 v43, v43, v55 clamp
	v_perm_b32 v43, v43, v54, s29
	v_lshl_or_b32 v43, v43, 16, v45
	v_dot4_i32_i8 v45, v42, v9, v51
	v_dot4_i32_i8 v51, v43, v2, v45
	v_and_b32_e32 v45, 0xff, v46
	v_lshlrev_b32_e32 v54, 4, v47
	v_and_or_b32 v45, v54, s23, v45
	v_lshlrev_b32_e32 v45, 2, v45
	global_load_dword v45, v45, s[16:17]
	v_bfe_u32 v54, v46, 8, 8
	v_lshlrev_b32_e32 v55, 3, v47
	v_and_or_b32 v54, v55, s23, v54
	v_lshlrev_b32_e32 v54, 2, v54
	global_load_dword v54, v54, s[16:17]
	v_lshrrev_b32_e32 v55, 9, v48
	v_lshl_or_b32 v55, v44, 21, v55
	v_and_b32_e32 v56, 0x1800180, v55
	v_bfe_u32 v55, v55, 24, 1
	v_cmp_ne_u16_e32 vcc, 0, v55
	v_cmp_ne_u16_sdwa s[30:31], v56, v33 src0_sel:BYTE_1 src1_sel:DWORD
	v_lshrrev_b16_e32 v55, 7, v56
	v_lshrrev_b32_e32 v56, 18, v48
	v_cndmask_b32_e64 v57, 0, -1, s[30:31]
	v_cndmask_b32_e64 v59, 0, -1, vcc
	v_bfe_i32 v55, v55, 0, 1
	v_lshlrev_b16_e32 v57, 8, v57
	v_lshlrev_b16_e32 v59, 8, v59
	v_bfe_i32 v56, v56, 0, 1
	v_or_b32_sdwa v58, v55, v57 dst_sel:DWORD dst_unused:UNUSED_PAD src0_sel:BYTE_0 src1_sel:DWORD
	v_or_b32_sdwa v60, v56, v59 dst_sel:WORD_1 dst_unused:UNUSED_PAD src0_sel:BYTE_0 src1_sel:DWORD
	v_or_b32_sdwa v58, v58, v60 dst_sel:DWORD dst_unused:UNUSED_PAD src0_sel:WORD_0 src1_sel:DWORD
	v_lshrrev_b32_e32 v60, 13, v48
	v_lshl_or_b32 v44, v44, 17, v60
	v_and_b32_e32 v60, 0x1800180, v44
	v_bfe_u32 v44, v44, 24, 1
	v_cmp_ne_u16_e32 vcc, 0, v44
	v_cmp_ne_u16_sdwa s[30:31], v60, v33 src0_sel:BYTE_1 src1_sel:DWORD
	v_lshrrev_b16_e32 v44, 7, v60
	v_lshrrev_b32_e32 v60, 22, v48
	v_bfe_i32 v61, v44, 0, 1
	v_cndmask_b32_e64 v44, 0, -1, s[30:31]
	v_cndmask_b32_e64 v63, 0, -1, vcc
	v_lshlrev_b16_e32 v62, 8, v44
	v_lshlrev_b16_e32 v63, 8, v63
	v_bfe_i32 v60, v60, 0, 1
	v_or_b32_sdwa v44, v61, v62 dst_sel:DWORD dst_unused:UNUSED_PAD src0_sel:BYTE_0 src1_sel:DWORD
	v_or_b32_sdwa v64, v60, v63 dst_sel:WORD_1 dst_unused:UNUSED_PAD src0_sel:BYTE_0 src1_sel:DWORD
	v_or_b32_sdwa v64, v44, v64 dst_sel:DWORD dst_unused:UNUSED_PAD src0_sel:WORD_0 src1_sel:DWORD
	v_lshlrev_b16_e32 v55, 8, v55
	v_lshlrev_b16_e32 v56, 8, v56
	s_waitcnt vmcnt(1)
	v_xor_b32_e32 v44, v45, v58
	v_and_b32_e32 v45, 0xffffff00, v44
	v_sub_i16 v45, v45, v57 clamp
	v_lshlrev_b16_e32 v57, 8, v44
	v_sub_i16 v55, v57, v55 clamp
	v_perm_b32 v45, v55, v45, s29
	v_and_b32_sdwa v55, v44, s28 dst_sel:DWORD dst_unused:UNUSED_PAD src0_sel:WORD_1 src1_sel:DWORD
	v_lshlrev_b16_sdwa v44, v40, v44 dst_sel:DWORD dst_unused:UNUSED_PAD src0_sel:DWORD src1_sel:WORD_1
	v_sub_i16 v55, v55, v59 clamp
	v_sub_i16 v44, v44, v56 clamp
	v_perm_b32 v44, v44, v55, s29
	v_lshl_or_b32 v44, v44, 16, v45
	s_waitcnt vmcnt(0)
	v_xor_b32_e32 v45, v54, v64
	v_and_b32_e32 v54, 0xffffff00, v45
	v_lshlrev_b16_e32 v55, 8, v45
	v_lshlrev_b16_e32 v56, 8, v61
	v_sub_i16 v54, v54, v62 clamp
	v_sub_i16 v55, v55, v56 clamp
	v_perm_b32 v54, v55, v54, s29
	v_and_b32_sdwa v55, v45, s28 dst_sel:DWORD dst_unused:UNUSED_PAD src0_sel:WORD_1 src1_sel:DWORD
	v_lshlrev_b16_sdwa v45, v40, v45 dst_sel:DWORD dst_unused:UNUSED_PAD src0_sel:DWORD src1_sel:WORD_1
	v_lshlrev_b16_e32 v56, 8, v60
	v_sub_i16 v55, v55, v63 clamp
	v_sub_i16 v45, v45, v56 clamp
	v_perm_b32 v45, v45, v55, s29
	v_lshl_or_b32 v45, v45, 16, v54
	v_bfe_u32 v54, v46, 16, 8
	v_lshlrev_b32_e32 v55, 2, v47
	v_and_or_b32 v54, v55, s23, v54
	v_lshlrev_b32_e32 v54, 2, v54
	global_load_dword v54, v54, s[16:17]
	v_lshrrev_b32_e32 v46, 24, v46
	v_lshlrev_b32_e32 v47, 1, v47
	v_and_or_b32 v46, v47, s23, v46
	v_lshlrev_b32_e32 v46, 2, v46
	global_load_dword v47, v46, s[16:17]
	v_lshrrev_b32_e32 v46, 17, v48
	v_lshrrev_b32_e32 v55, 24, v48
	v_lshl_or_b32 v46, v55, 21, v46
	v_and_b32_e32 v55, 0x1800180, v46
	v_bfe_u32 v46, v46, 24, 1
	v_cmp_ne_u16_e32 vcc, 0, v46
	v_cmp_ne_u16_sdwa s[30:31], v55, v33 src0_sel:BYTE_1 src1_sel:DWORD
	v_lshrrev_b16_e32 v46, 7, v55
	v_lshrrev_b32_e32 v55, 26, v48
	v_cndmask_b32_e64 v56, 0, -1, s[30:31]
	v_cndmask_b32_e64 v58, 0, -1, vcc
	v_bfe_i32 v46, v46, 0, 1
	v_lshlrev_b16_e32 v56, 8, v56
	v_lshlrev_b16_e32 v58, 8, v58
	v_bfe_i32 v55, v55, 0, 1
	v_or_b32_sdwa v57, v46, v56 dst_sel:DWORD dst_unused:UNUSED_PAD src0_sel:BYTE_0 src1_sel:DWORD
	v_or_b32_sdwa v59, v55, v58 dst_sel:WORD_1 dst_unused:UNUSED_PAD src0_sel:BYTE_0 src1_sel:DWORD
	v_or_b32_sdwa v57, v57, v59 dst_sel:DWORD dst_unused:UNUSED_PAD src0_sel:WORD_0 src1_sel:DWORD
	v_lshrrev_b32_e32 v59, 21, v48
	v_lshrrev_b32_e32 v61, 31, v48
	v_lshrrev_b16_e32 v60, 8, v59
	v_cmp_ne_u16_e32 vcc, 0, v61
	v_lshrrev_b32_e32 v48, 30, v48
	v_lshrrev_b16_e32 v59, 7, v59
	v_bfe_i32 v60, v60, 0, 1
	v_cndmask_b32_e64 v62, 0, -1, vcc
	v_lshlrev_b16_e32 v46, 8, v46
	v_lshlrev_b16_e32 v60, 8, v60
	v_bfe_i32 v59, v59, 0, 1
	v_bfe_i32 v48, v48, 0, 1
	v_lshlrev_b16_e32 v62, 8, v62
	v_or_b32_sdwa v61, v59, v60 dst_sel:DWORD dst_unused:UNUSED_PAD src0_sel:BYTE_0 src1_sel:DWORD
	v_or_b32_sdwa v63, v48, v62 dst_sel:WORD_1 dst_unused:UNUSED_PAD src0_sel:BYTE_0 src1_sel:DWORD
	v_lshlrev_b16_e32 v55, 8, v55
	v_or_b32_sdwa v61, v61, v63 dst_sel:DWORD dst_unused:UNUSED_PAD src0_sel:WORD_0 src1_sel:DWORD
	v_lshlrev_b16_e32 v48, 8, v48
	v_dot4_i32_i8 v51, v44, v3, v51
	v_dot4_i32_i8 v51, v45, v4, v51
	s_waitcnt vmcnt(1)
	v_xor_b32_e32 v54, v54, v57
	v_and_b32_e32 v57, 0xffffff00, v54
	v_sub_i16 v56, v57, v56 clamp
	v_lshlrev_b16_e32 v57, 8, v54
	v_sub_i16 v46, v57, v46 clamp
	v_perm_b32 v46, v46, v56, s29
	v_and_b32_sdwa v56, v54, s28 dst_sel:DWORD dst_unused:UNUSED_PAD src0_sel:WORD_1 src1_sel:DWORD
	v_lshlrev_b16_sdwa v54, v40, v54 dst_sel:DWORD dst_unused:UNUSED_PAD src0_sel:DWORD src1_sel:WORD_1
	v_sub_i16 v56, v56, v58 clamp
	v_sub_i16 v54, v54, v55 clamp
	v_perm_b32 v54, v54, v56, s29
	s_waitcnt vmcnt(0)
	v_xor_b32_e32 v47, v47, v61
	v_lshl_or_b32 v46, v54, 16, v46
	v_and_b32_e32 v54, 0xffffff00, v47
	v_lshlrev_b16_e32 v55, 8, v47
	v_lshlrev_b16_e32 v56, 8, v59
	v_sub_i16 v54, v54, v60 clamp
	v_sub_i16 v55, v55, v56 clamp
	v_perm_b32 v54, v55, v54, s29
	v_and_b32_sdwa v55, v47, s28 dst_sel:DWORD dst_unused:UNUSED_PAD src0_sel:WORD_1 src1_sel:DWORD
	v_lshlrev_b16_sdwa v47, v40, v47 dst_sel:DWORD dst_unused:UNUSED_PAD src0_sel:DWORD src1_sel:WORD_1
	v_sub_i16 v55, v55, v62 clamp
	v_sub_i16 v47, v47, v48 clamp
	v_perm_b32 v47, v47, v55, s29
	v_lshl_or_b32 v47, v47, 16, v54
	v_add_co_u32_e32 v54, vcc, v49, v35
	v_dot4_i32_i8 v48, v46, v5, v51
	v_addc_co_u32_e32 v55, vcc, 0, v50, vcc
	v_dot4_i32_i8 v51, v47, v53, v48
	global_load_ubyte v48, v[54:55], off offset:106
	s_nop 0
	global_load_ushort v49, v[49:50], off
	s_waitcnt vmcnt(1)
	v_lshrrev_b32_e32 v48, v36, v48
	v_lshlrev_b32_e32 v48, 1, v48
	v_and_or_b32 v48, v48, 30, 1
	v_mul_lo_u32 v51, v51, v48
	s_waitcnt vmcnt(0)
	v_cvt_f32_f16_e32 v49, v49
	v_cvt_f32_i32_e32 v51, v51
	v_mul_f32_e32 v50, v49, v52
	v_fmac_f32_e32 v31, v50, v51
	v_add_u32_e32 v50, s0, v32
	v_mad_i64_i32 v[14:15], s[30:31], v50, s22, v[14:15]
	v_add_u32_e32 v32, 8, v32
	v_add_co_u32_e32 v50, vcc, v14, v38
	v_addc_co_u32_e32 v51, vcc, 0, v15, vcc
	global_load_dwordx2 v[54:55], v[50:51], off offset:2
	v_add_co_u32_e32 v50, vcc, v14, v34
	v_addc_co_u32_e32 v51, vcc, 0, v15, vcc
	global_load_ubyte v56, v[50:51], off offset:66
	v_add_co_u32_e32 v50, vcc, v14, v39
	v_addc_co_u32_e32 v51, vcc, 0, v15, vcc
	global_load_dword v57, v[50:51], off offset:74
	s_waitcnt vmcnt(2)
	v_and_b32_e32 v50, 0xff, v54
	s_waitcnt vmcnt(1)
	v_lshlrev_b32_e32 v51, 8, v56
	v_and_or_b32 v50, v51, s23, v50
	v_lshlrev_b32_e32 v50, 2, v50
	global_load_dword v50, v50, s[16:17]
	v_bfe_u32 v51, v54, 8, 8
	v_lshlrev_b32_e32 v59, 7, v56
	v_and_or_b32 v51, v59, s23, v51
	v_lshlrev_b32_e32 v51, 2, v51
	global_load_dword v51, v51, s[16:17]
	s_waitcnt vmcnt(2)
	v_and_b32_e32 v59, 0xff, v57
	v_lshlrev_b32_e32 v60, 21, v57
	v_lshl_or_b32 v60, v59, 7, v60
	v_and_b32_e32 v61, 0x1800180, v60
	v_bfe_u32 v60, v60, 24, 1
	v_cmp_ne_u16_e32 vcc, 0, v60
	v_cmp_ne_u16_sdwa s[30:31], v61, v33 src0_sel:BYTE_1 src1_sel:DWORD
	v_lshrrev_b16_e32 v60, 7, v61
	v_lshrrev_b32_e32 v61, 2, v57
	v_cndmask_b32_e64 v62, 0, -1, s[30:31]
	v_cndmask_b32_e64 v64, 0, -1, vcc
	v_bfe_i32 v60, v60, 0, 1
	v_lshlrev_b16_e32 v62, 8, v62
	v_lshlrev_b16_e32 v64, 8, v64
	v_bfe_i32 v61, v61, 0, 1
	v_or_b32_sdwa v63, v60, v62 dst_sel:DWORD dst_unused:UNUSED_PAD src0_sel:BYTE_0 src1_sel:DWORD
	v_or_b32_sdwa v65, v61, v64 dst_sel:WORD_1 dst_unused:UNUSED_PAD src0_sel:BYTE_0 src1_sel:DWORD
	v_or_b32_sdwa v63, v63, v65 dst_sel:DWORD dst_unused:UNUSED_PAD src0_sel:WORD_0 src1_sel:DWORD
	v_lshlrev_b32_e32 v65, 17, v57
	v_lshl_or_b32 v59, v59, 3, v65
	v_and_b32_e32 v65, 0x1800180, v59
	v_bfe_u32 v59, v59, 24, 1
	v_cmp_ne_u16_e32 vcc, 0, v59
	v_cmp_ne_u16_sdwa s[30:31], v65, v33 src0_sel:BYTE_1 src1_sel:DWORD
	v_lshrrev_b16_e32 v59, 7, v65
	v_lshrrev_b32_e32 v65, 6, v57
	v_cndmask_b32_e64 v66, 0, -1, s[30:31]
	v_cndmask_b32_e64 v68, 0, -1, vcc
	v_lshlrev_b16_e32 v60, 8, v60
	v_bfe_i32 v59, v59, 0, 1
	v_lshlrev_b16_e32 v66, 8, v66
	v_lshlrev_b16_e32 v68, 8, v68
	v_bfe_i32 v65, v65, 0, 1
	v_or_b32_sdwa v67, v59, v66 dst_sel:DWORD dst_unused:UNUSED_PAD src0_sel:BYTE_0 src1_sel:DWORD
	v_or_b32_sdwa v69, v65, v68 dst_sel:WORD_1 dst_unused:UNUSED_PAD src0_sel:BYTE_0 src1_sel:DWORD
	v_lshlrev_b16_e32 v61, 8, v61
	v_or_b32_sdwa v67, v67, v69 dst_sel:DWORD dst_unused:UNUSED_PAD src0_sel:WORD_0 src1_sel:DWORD
	v_lshlrev_b16_e32 v59, 8, v59
	v_lshrrev_b32_e32 v58, 16, v57
	s_waitcnt vmcnt(1)
	v_xor_b32_e32 v50, v50, v63
	v_and_b32_e32 v63, 0xffffff00, v50
	v_sub_i16 v62, v63, v62 clamp
	v_lshlrev_b16_e32 v63, 8, v50
	v_sub_i16 v60, v63, v60 clamp
	v_perm_b32 v60, v60, v62, s29
	v_and_b32_sdwa v62, v50, s28 dst_sel:DWORD dst_unused:UNUSED_PAD src0_sel:WORD_1 src1_sel:DWORD
	v_lshlrev_b16_sdwa v50, v40, v50 dst_sel:DWORD dst_unused:UNUSED_PAD src0_sel:DWORD src1_sel:WORD_1
	v_sub_i16 v62, v62, v64 clamp
	v_sub_i16 v50, v50, v61 clamp
	v_perm_b32 v50, v50, v62, s29
	s_waitcnt vmcnt(0)
	v_xor_b32_e32 v51, v51, v67
	v_lshl_or_b32 v50, v50, 16, v60
	v_and_b32_e32 v60, 0xffffff00, v51
	v_lshlrev_b16_e32 v61, 8, v51
	v_sub_i16 v60, v60, v66 clamp
	v_sub_i16 v59, v61, v59 clamp
	v_perm_b32 v59, v59, v60, s29
	v_and_b32_sdwa v60, v51, s28 dst_sel:DWORD dst_unused:UNUSED_PAD src0_sel:WORD_1 src1_sel:DWORD
	v_lshlrev_b16_sdwa v51, v40, v51 dst_sel:DWORD dst_unused:UNUSED_PAD src0_sel:DWORD src1_sel:WORD_1
	v_lshlrev_b16_e32 v61, 8, v65
	v_sub_i16 v60, v60, v68 clamp
	v_sub_i16 v51, v51, v61 clamp
	v_perm_b32 v51, v51, v60, s29
	v_lshl_or_b32 v51, v51, 16, v59
	v_dot4_i32_i8 v7, v50, v7, 0
	v_dot4_i32_i8 v59, v51, v8, v7
	v_bfe_u32 v7, v54, 16, 8
	v_lshlrev_b32_e32 v8, 6, v56
	v_and_or_b32 v7, v8, s23, v7
	v_lshlrev_b32_e32 v7, 2, v7
	global_load_dword v7, v7, s[16:17]
	v_lshrrev_b32_e32 v8, 24, v54
	v_lshlrev_b32_e32 v54, 5, v56
	v_and_or_b32 v8, v54, s23, v8
	v_lshlrev_b32_e32 v8, 2, v8
	global_load_dword v8, v8, s[16:17]
	v_lshrrev_b32_e32 v54, 1, v57
	v_and_b32_e32 v54, 0x180, v54
	v_lshrrev_b32_e32 v60, 11, v57
	v_cmp_ne_u16_sdwa s[30:31], v54, v33 src0_sel:BYTE_1 src1_sel:DWORD
	v_lshrrev_b32_e32 v61, 10, v57
	v_lshrrev_b16_e32 v54, 7, v54
	v_cndmask_b32_e64 v62, 0, -1, s[30:31]
	v_bfe_i32 v60, v60, 0, 1
	v_bfe_i32 v54, v54, 0, 1
	v_lshlrev_b16_e32 v62, 8, v62
	v_lshlrev_b16_e32 v60, 8, v60
	v_bfe_i32 v61, v61, 0, 1
	v_or_b32_sdwa v63, v54, v62 dst_sel:DWORD dst_unused:UNUSED_PAD src0_sel:BYTE_0 src1_sel:DWORD
	v_or_b32_sdwa v64, v61, v60 dst_sel:WORD_1 dst_unused:UNUSED_PAD src0_sel:BYTE_0 src1_sel:DWORD
	v_or_b32_sdwa v63, v63, v64 dst_sel:DWORD dst_unused:UNUSED_PAD src0_sel:WORD_0 src1_sel:DWORD
	v_lshrrev_b32_e32 v64, 5, v57
	v_and_b32_e32 v64, 0x180, v64
	v_lshrrev_b32_e32 v65, 15, v57
	v_cmp_ne_u16_sdwa s[30:31], v64, v33 src0_sel:BYTE_1 src1_sel:DWORD
	v_lshrrev_b32_e32 v66, 14, v57
	v_lshrrev_b16_e32 v64, 7, v64
	v_cndmask_b32_e64 v67, 0, -1, s[30:31]
	v_bfe_i32 v65, v65, 0, 1
	v_lshlrev_b16_e32 v54, 8, v54
	v_bfe_i32 v64, v64, 0, 1
	v_lshlrev_b16_e32 v67, 8, v67
	v_lshlrev_b16_e32 v65, 8, v65
	v_bfe_i32 v66, v66, 0, 1
	v_or_b32_sdwa v68, v64, v67 dst_sel:DWORD dst_unused:UNUSED_PAD src0_sel:BYTE_0 src1_sel:DWORD
	v_or_b32_sdwa v69, v66, v65 dst_sel:WORD_1 dst_unused:UNUSED_PAD src0_sel:BYTE_0 src1_sel:DWORD
	v_lshlrev_b16_e32 v61, 8, v61
	v_or_b32_sdwa v68, v68, v69 dst_sel:DWORD dst_unused:UNUSED_PAD src0_sel:WORD_0 src1_sel:DWORD
	s_waitcnt vmcnt(1)
	v_xor_b32_e32 v7, v7, v63
	v_and_b32_e32 v63, 0xffffff00, v7
	v_sub_i16 v62, v63, v62 clamp
	v_lshlrev_b16_e32 v63, 8, v7
	v_sub_i16 v54, v63, v54 clamp
	v_perm_b32 v54, v54, v62, s29
	v_and_b32_sdwa v62, v7, s28 dst_sel:DWORD dst_unused:UNUSED_PAD src0_sel:WORD_1 src1_sel:DWORD
	v_lshlrev_b16_sdwa v7, v40, v7 dst_sel:DWORD dst_unused:UNUSED_PAD src0_sel:DWORD src1_sel:WORD_1
	v_sub_i16 v60, v62, v60 clamp
	v_sub_i16 v7, v7, v61 clamp
	v_perm_b32 v7, v7, v60, s29
	s_waitcnt vmcnt(0)
	v_xor_b32_e32 v8, v8, v68
	v_lshl_or_b32 v7, v7, 16, v54
	v_and_b32_e32 v54, 0xffffff00, v8
	v_lshlrev_b16_e32 v60, 8, v8
	v_lshlrev_b16_e32 v61, 8, v64
	v_sub_i16 v54, v54, v67 clamp
	v_sub_i16 v60, v60, v61 clamp
	v_perm_b32 v54, v60, v54, s29
	v_and_b32_sdwa v60, v8, s28 dst_sel:DWORD dst_unused:UNUSED_PAD src0_sel:WORD_1 src1_sel:DWORD
	v_lshlrev_b16_sdwa v8, v40, v8 dst_sel:DWORD dst_unused:UNUSED_PAD src0_sel:DWORD src1_sel:WORD_1
	v_lshlrev_b16_e32 v61, 8, v66
	v_sub_i16 v60, v60, v65 clamp
	v_sub_i16 v8, v8, v61 clamp
	v_perm_b32 v8, v8, v60, s29
	v_lshl_or_b32 v8, v8, 16, v54
	v_dot4_i32_i8 v9, v7, v9, v59
	v_dot4_i32_i8 v54, v8, v2, v9
	v_and_b32_e32 v2, 0xff, v55
	v_lshlrev_b32_e32 v9, 4, v56
	v_and_or_b32 v2, v9, s23, v2
	v_lshlrev_b32_e32 v2, 2, v2
	global_load_dword v2, v2, s[16:17]
	v_bfe_u32 v9, v55, 8, 8
	v_lshlrev_b32_e32 v59, 3, v56
	v_and_or_b32 v9, v59, s23, v9
	v_lshlrev_b32_e32 v9, 2, v9
	global_load_dword v9, v9, s[16:17]
	v_lshrrev_b32_e32 v59, 9, v57
	v_lshl_or_b32 v59, v58, 21, v59
	v_and_b32_e32 v60, 0x1800180, v59
	v_bfe_u32 v59, v59, 24, 1
	v_cmp_ne_u16_e32 vcc, 0, v59
	v_cmp_ne_u16_sdwa s[30:31], v60, v33 src0_sel:BYTE_1 src1_sel:DWORD
	v_lshrrev_b16_e32 v59, 7, v60
	v_lshrrev_b32_e32 v60, 18, v57
	v_cndmask_b32_e64 v61, 0, -1, s[30:31]
	v_cndmask_b32_e64 v63, 0, -1, vcc
	v_bfe_i32 v59, v59, 0, 1
	v_lshlrev_b16_e32 v61, 8, v61
	v_lshlrev_b16_e32 v63, 8, v63
	v_bfe_i32 v60, v60, 0, 1
	v_or_b32_sdwa v62, v59, v61 dst_sel:DWORD dst_unused:UNUSED_PAD src0_sel:BYTE_0 src1_sel:DWORD
	v_or_b32_sdwa v64, v60, v63 dst_sel:WORD_1 dst_unused:UNUSED_PAD src0_sel:BYTE_0 src1_sel:DWORD
	v_or_b32_sdwa v62, v62, v64 dst_sel:DWORD dst_unused:UNUSED_PAD src0_sel:WORD_0 src1_sel:DWORD
	v_lshrrev_b32_e32 v64, 13, v57
	v_lshl_or_b32 v58, v58, 17, v64
	v_and_b32_e32 v64, 0x1800180, v58
	v_bfe_u32 v58, v58, 24, 1
	v_cmp_ne_u16_e32 vcc, 0, v58
	v_cmp_ne_u16_sdwa s[30:31], v64, v33 src0_sel:BYTE_1 src1_sel:DWORD
	v_lshrrev_b16_e32 v58, 7, v64
	v_lshrrev_b32_e32 v64, 22, v57
	v_cndmask_b32_e64 v65, 0, -1, s[30:31]
	v_cndmask_b32_e64 v67, 0, -1, vcc
	v_lshlrev_b16_e32 v59, 8, v59
	v_bfe_i32 v58, v58, 0, 1
	v_lshlrev_b16_e32 v65, 8, v65
	v_lshlrev_b16_e32 v67, 8, v67
	v_bfe_i32 v64, v64, 0, 1
	v_or_b32_sdwa v66, v58, v65 dst_sel:DWORD dst_unused:UNUSED_PAD src0_sel:BYTE_0 src1_sel:DWORD
	v_or_b32_sdwa v68, v64, v67 dst_sel:WORD_1 dst_unused:UNUSED_PAD src0_sel:BYTE_0 src1_sel:DWORD
	v_lshlrev_b16_e32 v60, 8, v60
	v_or_b32_sdwa v66, v66, v68 dst_sel:DWORD dst_unused:UNUSED_PAD src0_sel:WORD_0 src1_sel:DWORD
	v_lshlrev_b16_e32 v58, 8, v58
	s_waitcnt vmcnt(1)
	v_xor_b32_e32 v2, v2, v62
	v_and_b32_e32 v62, 0xffffff00, v2
	v_sub_i16 v61, v62, v61 clamp
	v_lshlrev_b16_e32 v62, 8, v2
	v_sub_i16 v59, v62, v59 clamp
	v_perm_b32 v59, v59, v61, s29
	v_and_b32_sdwa v61, v2, s28 dst_sel:DWORD dst_unused:UNUSED_PAD src0_sel:WORD_1 src1_sel:DWORD
	v_lshlrev_b16_sdwa v2, v40, v2 dst_sel:DWORD dst_unused:UNUSED_PAD src0_sel:DWORD src1_sel:WORD_1
	v_sub_i16 v61, v61, v63 clamp
	v_sub_i16 v2, v2, v60 clamp
	v_perm_b32 v2, v2, v61, s29
	s_waitcnt vmcnt(0)
	v_xor_b32_e32 v9, v9, v66
	v_lshl_or_b32 v2, v2, 16, v59
	v_and_b32_e32 v59, 0xffffff00, v9
	v_lshlrev_b16_e32 v60, 8, v9
	v_sub_i16 v59, v59, v65 clamp
	v_sub_i16 v58, v60, v58 clamp
	v_perm_b32 v58, v58, v59, s29
	v_and_b32_sdwa v59, v9, s28 dst_sel:DWORD dst_unused:UNUSED_PAD src0_sel:WORD_1 src1_sel:DWORD
	v_lshlrev_b16_sdwa v9, v40, v9 dst_sel:DWORD dst_unused:UNUSED_PAD src0_sel:DWORD src1_sel:WORD_1
	v_lshlrev_b16_e32 v60, 8, v64
	v_sub_i16 v59, v59, v67 clamp
	v_sub_i16 v9, v9, v60 clamp
	v_perm_b32 v9, v9, v59, s29
	v_lshl_or_b32 v9, v9, 16, v58
	v_dot4_i32_i8 v3, v2, v3, v54
	v_dot4_i32_i8 v54, v9, v4, v3
	v_bfe_u32 v3, v55, 16, 8
	v_lshlrev_b32_e32 v4, 2, v56
	v_and_or_b32 v3, v4, s23, v3
	v_lshlrev_b32_e32 v3, 2, v3
	global_load_dword v3, v3, s[16:17]
	v_lshrrev_b32_e32 v4, 24, v55
	v_lshlrev_b32_e32 v55, 1, v56
	v_and_or_b32 v4, v55, s23, v4
	v_lshlrev_b32_e32 v4, 2, v4
	global_load_dword v4, v4, s[16:17]
	v_lshrrev_b32_e32 v55, 17, v57
	v_lshrrev_b32_e32 v56, 24, v57
	v_lshl_or_b32 v55, v56, 21, v55
	v_and_b32_e32 v56, 0x1800180, v55
	v_bfe_u32 v55, v55, 24, 1
	v_cmp_ne_u16_e32 vcc, 0, v55
	v_cmp_ne_u16_sdwa s[16:17], v56, v33 src0_sel:BYTE_1 src1_sel:DWORD
	v_lshrrev_b16_e32 v55, 7, v56
	v_lshrrev_b32_e32 v56, 26, v57
	v_cndmask_b32_e64 v58, 0, -1, s[16:17]
	v_cndmask_b32_e64 v60, 0, -1, vcc
	v_bfe_i32 v55, v55, 0, 1
	v_lshlrev_b16_e32 v58, 8, v58
	v_lshlrev_b16_e32 v60, 8, v60
	v_bfe_i32 v56, v56, 0, 1
	v_or_b32_sdwa v59, v55, v58 dst_sel:DWORD dst_unused:UNUSED_PAD src0_sel:BYTE_0 src1_sel:DWORD
	v_or_b32_sdwa v61, v56, v60 dst_sel:WORD_1 dst_unused:UNUSED_PAD src0_sel:BYTE_0 src1_sel:DWORD
	v_or_b32_sdwa v59, v59, v61 dst_sel:DWORD dst_unused:UNUSED_PAD src0_sel:WORD_0 src1_sel:DWORD
	v_lshrrev_b32_e32 v61, 21, v57
	v_lshrrev_b32_e32 v63, 31, v57
	v_lshrrev_b16_e32 v62, 8, v61
	v_cmp_ne_u16_e32 vcc, 0, v63
	v_lshrrev_b32_e32 v57, 30, v57
	v_lshrrev_b16_e32 v61, 7, v61
	v_bfe_i32 v62, v62, 0, 1
	v_cndmask_b32_e64 v64, 0, -1, vcc
	v_lshlrev_b16_e32 v55, 8, v55
	v_lshlrev_b16_e32 v62, 8, v62
	v_bfe_i32 v61, v61, 0, 1
	v_bfe_i32 v57, v57, 0, 1
	v_lshlrev_b16_e32 v64, 8, v64
	v_or_b32_sdwa v63, v61, v62 dst_sel:DWORD dst_unused:UNUSED_PAD src0_sel:BYTE_0 src1_sel:DWORD
	v_or_b32_sdwa v65, v57, v64 dst_sel:WORD_1 dst_unused:UNUSED_PAD src0_sel:BYTE_0 src1_sel:DWORD
	v_lshlrev_b16_e32 v56, 8, v56
	v_or_b32_sdwa v63, v63, v65 dst_sel:DWORD dst_unused:UNUSED_PAD src0_sel:WORD_0 src1_sel:DWORD
	v_lshlrev_b16_e32 v57, 8, v57
	s_waitcnt vmcnt(1)
	v_xor_b32_e32 v3, v3, v59
	v_and_b32_e32 v59, 0xffffff00, v3
	v_sub_i16 v58, v59, v58 clamp
	v_lshlrev_b16_e32 v59, 8, v3
	v_sub_i16 v55, v59, v55 clamp
	v_perm_b32 v55, v55, v58, s29
	v_and_b32_sdwa v58, v3, s28 dst_sel:DWORD dst_unused:UNUSED_PAD src0_sel:WORD_1 src1_sel:DWORD
	v_lshlrev_b16_sdwa v3, v40, v3 dst_sel:DWORD dst_unused:UNUSED_PAD src0_sel:DWORD src1_sel:WORD_1
	v_sub_i16 v58, v58, v60 clamp
	v_sub_i16 v3, v3, v56 clamp
	v_perm_b32 v3, v3, v58, s29
	s_waitcnt vmcnt(0)
	v_xor_b32_e32 v4, v4, v63
	v_lshl_or_b32 v3, v3, 16, v55
	v_and_b32_e32 v55, 0xffffff00, v4
	v_lshlrev_b16_e32 v56, 8, v4
	v_lshlrev_b16_e32 v58, 8, v61
	v_sub_i16 v55, v55, v62 clamp
	v_sub_i16 v56, v56, v58 clamp
	v_perm_b32 v55, v56, v55, s29
	v_and_b32_sdwa v56, v4, s28 dst_sel:DWORD dst_unused:UNUSED_PAD src0_sel:WORD_1 src1_sel:DWORD
	v_lshlrev_b16_sdwa v4, v40, v4 dst_sel:DWORD dst_unused:UNUSED_PAD src0_sel:DWORD src1_sel:WORD_1
	v_sub_i16 v56, v56, v64 clamp
	v_sub_i16 v4, v4, v57 clamp
	v_perm_b32 v4, v4, v56, s29
	v_lshl_or_b32 v4, v4, 16, v55
	v_dot4_i32_i8 v5, v3, v5, v54
	v_dot4_i32_i8 v5, v4, v53, v5
	v_add_co_u32_e32 v53, vcc, v14, v35
	v_addc_co_u32_e32 v54, vcc, 0, v15, vcc
	global_load_ubyte v53, v[53:54], off offset:106
	v_add_co_u32_e32 v10, vcc, 0x900, v10
	v_addc_co_u32_e32 v11, vcc, 0, v11, vcc
	v_cmp_le_u32_e32 vcc, s9, v32
	s_or_b64 s[12:13], vcc, s[12:13]
	s_waitcnt vmcnt(0)
	v_lshrrev_b32_e32 v53, v36, v53
	v_lshlrev_b32_e32 v53, 1, v53
	v_and_or_b32 v53, v53, 30, 1
	v_mul_lo_u32 v54, v5, v53
	global_load_ushort v5, v[14:15], off
	v_cvt_f32_i32_e32 v15, v54
	s_waitcnt vmcnt(0)
	v_cvt_f32_f16_e32 v5, v5
	v_mul_f32_e32 v14, v5, v52
	v_fmac_f32_e32 v30, v14, v15
	v_add_u32_e32 v14, s1, v37
	v_mad_u64_u32 v[14:15], s[16:17], v14, 36, v[12:13]
	global_load_dword v52, v[14:15], off offset:32
	global_load_dwordx4 v[54:57], v[14:15], off offset:16
	global_load_dwordx4 v[58:61], v[14:15], off
	s_waitcnt vmcnt(0)
	v_dot4_i32_i8 v15, v6, v59, 0
	v_dot4_i32_i8 v15, v41, v60, v15
	v_dot4_i32_i8 v15, v42, v61, v15
	v_dot4_i32_i8 v15, v43, v54, v15
	v_dot4_i32_i8 v15, v44, v55, v15
	v_dot4_i32_i8 v15, v45, v56, v15
	v_dot4_i32_i8 v15, v46, v57, v15
	v_dot4_i32_i8 v15, v47, v52, v15
	v_mul_lo_u32 v15, v15, v48
	v_cvt_f32_f16_e32 v14, v58
	v_cvt_f32_i32_e32 v15, v15
	v_mul_f32_e32 v58, v49, v14
	v_mul_f32_e32 v14, v5, v14
	v_fmac_f32_e32 v29, v58, v15
	v_dot4_i32_i8 v15, v50, v59, 0
	v_dot4_i32_i8 v15, v51, v60, v15
	v_dot4_i32_i8 v15, v7, v61, v15
	v_dot4_i32_i8 v15, v8, v54, v15
	v_dot4_i32_i8 v15, v2, v55, v15
	v_dot4_i32_i8 v15, v9, v56, v15
	v_dot4_i32_i8 v15, v3, v57, v15
	v_dot4_i32_i8 v15, v4, v52, v15
	v_mul_lo_u32 v15, v15, v53
	v_cvt_f32_i32_e32 v15, v15
	v_fmac_f32_e32 v28, v14, v15
	v_add_u32_e32 v14, s27, v37
	v_mad_u64_u32 v[14:15], s[16:17], v14, 36, v[12:13]
	global_load_dword v52, v[14:15], off offset:32
	global_load_dwordx4 v[54:57], v[14:15], off offset:16
	global_load_dwordx4 v[58:61], v[14:15], off
	s_waitcnt vmcnt(0)
	v_dot4_i32_i8 v15, v6, v59, 0
	v_dot4_i32_i8 v15, v41, v60, v15
	v_dot4_i32_i8 v15, v42, v61, v15
	v_dot4_i32_i8 v15, v43, v54, v15
	v_dot4_i32_i8 v15, v44, v55, v15
	v_dot4_i32_i8 v15, v45, v56, v15
	v_dot4_i32_i8 v15, v46, v57, v15
	v_dot4_i32_i8 v15, v47, v52, v15
	v_mul_lo_u32 v15, v15, v48
	v_cvt_f32_f16_e32 v14, v58
	v_cvt_f32_i32_e32 v15, v15
	v_mul_f32_e32 v58, v49, v14
	v_mul_f32_e32 v14, v5, v14
	v_fmac_f32_e32 v27, v58, v15
	v_dot4_i32_i8 v15, v50, v59, 0
	v_dot4_i32_i8 v15, v51, v60, v15
	v_dot4_i32_i8 v15, v7, v61, v15
	v_dot4_i32_i8 v15, v8, v54, v15
	v_dot4_i32_i8 v15, v2, v55, v15
	v_dot4_i32_i8 v15, v9, v56, v15
	v_dot4_i32_i8 v15, v3, v57, v15
	v_dot4_i32_i8 v15, v4, v52, v15
	v_mul_lo_u32 v15, v15, v53
	v_cvt_f32_i32_e32 v15, v15
	;; [unrolled: 31-line block ×6, first 2 shown]
	v_fmac_f32_e32 v19, v14, v15
	v_add_u32_e32 v14, s15, v37
	v_mad_u64_u32 v[14:15], s[16:17], v14, 36, v[12:13]
	global_load_dword v52, v[14:15], off offset:32
	global_load_dwordx4 v[54:57], v[14:15], off offset:16
	global_load_dwordx4 v[58:61], v[14:15], off
	v_add_u32_e32 v37, 64, v37
	s_waitcnt vmcnt(0)
	v_dot4_i32_i8 v6, v6, v59, 0
	v_dot4_i32_i8 v6, v41, v60, v6
	;; [unrolled: 1-line block ×8, first 2 shown]
	v_mul_lo_u32 v6, v6, v48
	v_cvt_f32_f16_e32 v14, v58
	v_cvt_f32_i32_e32 v6, v6
	v_mul_f32_e32 v15, v49, v14
	v_fmac_f32_e32 v17, v15, v6
	v_dot4_i32_i8 v6, v50, v59, 0
	v_dot4_i32_i8 v6, v51, v60, v6
	;; [unrolled: 1-line block ×8, first 2 shown]
	v_mul_lo_u32 v2, v2, v53
	v_mul_f32_e32 v3, v5, v14
	v_cvt_f32_i32_e32 v2, v2
	v_fmac_f32_e32 v16, v3, v2
	s_andn2_b64 exec, exec, s[12:13]
	s_cbranch_execnz .LBB263_2
; %bb.3:
	s_or_b64 exec, exec, s[12:13]
.LBB263_4:
	s_or_b64 exec, exec, s[10:11]
	s_mov_b32 s1, 0
	v_cmp_eq_u32_e32 vcc, 0, v1
	; wave barrier
	s_and_saveexec_b64 s[10:11], vcc
	s_cbranch_execz .LBB263_21
; %bb.5:
	v_mbcnt_lo_u32_b32 v1, -1, 0
	v_mbcnt_hi_u32_b32 v6, -1, v1
	v_and_b32_e32 v1, 64, v6
	v_add_u32_e32 v7, 64, v1
	v_xor_b32_e32 v1, 32, v6
	v_cmp_lt_i32_e32 vcc, v1, v7
	v_cndmask_b32_e32 v1, v6, v1, vcc
	v_lshlrev_b32_e32 v1, 2, v1
	ds_bpermute_b32 v5, v1, v31
	ds_bpermute_b32 v8, v1, v30
	v_xor_b32_e32 v2, 16, v6
	v_cmp_lt_i32_e32 vcc, v2, v7
	v_cndmask_b32_e32 v2, v6, v2, vcc
	v_lshlrev_b32_e32 v2, 2, v2
	s_waitcnt lgkmcnt(1)
	v_add_f32_e32 v5, v31, v5
	s_waitcnt lgkmcnt(0)
	v_add_f32_e32 v8, v30, v8
	ds_bpermute_b32 v10, v2, v5
	ds_bpermute_b32 v11, v2, v8
	v_xor_b32_e32 v3, 8, v6
	v_cmp_lt_i32_e32 vcc, v3, v7
	v_cndmask_b32_e32 v3, v6, v3, vcc
	v_lshlrev_b32_e32 v3, 2, v3
	s_waitcnt lgkmcnt(1)
	v_add_f32_e32 v10, v5, v10
	s_waitcnt lgkmcnt(0)
	v_add_f32_e32 v8, v8, v11
	;; [unrolled: 10-line block ×3, first 2 shown]
	ds_bpermute_b32 v12, v4, v10
	ds_bpermute_b32 v11, v4, v8
	v_xor_b32_e32 v9, 2, v6
	v_cmp_lt_i32_e32 vcc, v9, v7
	v_cndmask_b32_e32 v9, v6, v9, vcc
	v_lshlrev_b32_e32 v5, 2, v9
	v_xor_b32_e32 v9, 1, v6
	v_cmp_lt_i32_e32 vcc, v9, v7
	s_waitcnt lgkmcnt(1)
	v_add_f32_e32 v7, v10, v12
	s_waitcnt lgkmcnt(0)
	v_add_f32_e32 v10, v8, v11
	v_cndmask_b32_e32 v6, v6, v9, vcc
	ds_bpermute_b32 v9, v5, v7
	ds_bpermute_b32 v11, v5, v10
	s_load_dwordx2 s[4:5], s[4:5], 0x38
	s_mul_i32 s3, s14, s7
	v_lshlrev_b32_e32 v8, 2, v6
	s_waitcnt lgkmcnt(0)
	v_add_f32_e32 v6, v7, v9
	v_add_f32_e32 v9, v10, v11
	s_mul_i32 s0, s18, s8
	s_add_i32 s3, s3, s6
	ds_bpermute_b32 v7, v8, v6
	ds_bpermute_b32 v10, v8, v9
	s_add_i32 s0, s3, s0
	s_lshl_b64 s[0:1], s[0:1], 2
	s_add_u32 s4, s4, s0
	v_add_u32_e32 v11, s6, v0
	s_addc_u32 s5, s5, s1
	v_cmp_gt_u32_e32 vcc, 2, v0
	v_cmp_gt_u32_e64 s[0:1], s2, v11
	s_and_b64 s[0:1], vcc, s[0:1]
	s_waitcnt lgkmcnt(1)
	v_add_f32_e32 v6, v6, v7
	s_waitcnt lgkmcnt(0)
	v_add_f32_e32 v7, v9, v10
	s_and_saveexec_b64 s[6:7], s[0:1]
	s_cbranch_execz .LBB263_7
; %bb.6:
	v_cmp_eq_u32_e32 vcc, 1, v0
	v_cndmask_b32_e32 v9, v6, v7, vcc
	v_cmp_eq_u32_e32 vcc, 2, v0
	v_cndmask_b32_e32 v9, v9, v29, vcc
	;; [unrolled: 2-line block ×15, first 2 shown]
	v_lshlrev_b32_e32 v10, 2, v0
	global_store_dword v10, v9, s[4:5]
.LBB263_7:
	s_or_b64 exec, exec, s[6:7]
	ds_bpermute_b32 v9, v1, v29
	ds_bpermute_b32 v10, v1, v28
	s_waitcnt lgkmcnt(1)
	v_add_f32_e32 v9, v29, v9
	s_waitcnt lgkmcnt(0)
	v_add_f32_e32 v10, v28, v10
	ds_bpermute_b32 v11, v2, v9
	ds_bpermute_b32 v12, v2, v10
	s_waitcnt lgkmcnt(1)
	v_add_f32_e32 v9, v9, v11
	s_waitcnt lgkmcnt(0)
	v_add_f32_e32 v10, v10, v12
	;; [unrolled: 6-line block ×6, first 2 shown]
	s_and_saveexec_b64 s[6:7], s[0:1]
	s_cbranch_execz .LBB263_9
; %bb.8:
	v_add_u32_e32 v11, 2, v0
	v_cmp_eq_u32_e32 vcc, 1, v11
	v_cndmask_b32_e32 v12, v6, v7, vcc
	v_cmp_eq_u32_e32 vcc, 2, v11
	v_cndmask_b32_e32 v12, v12, v10, vcc
	;; [unrolled: 2-line block ×15, first 2 shown]
	v_add_u32_e32 v11, s2, v0
	v_mov_b32_e32 v12, 0
	v_lshlrev_b64 v[11:12], 2, v[11:12]
	v_mov_b32_e32 v14, s5
	v_add_co_u32_e32 v11, vcc, s4, v11
	v_addc_co_u32_e32 v12, vcc, v14, v12, vcc
	global_store_dword v[11:12], v13, off
.LBB263_9:
	s_or_b64 exec, exec, s[6:7]
	ds_bpermute_b32 v11, v1, v27
	ds_bpermute_b32 v12, v1, v26
	s_waitcnt lgkmcnt(1)
	v_add_f32_e32 v11, v27, v11
	s_waitcnt lgkmcnt(0)
	v_add_f32_e32 v12, v26, v12
	ds_bpermute_b32 v13, v2, v11
	ds_bpermute_b32 v14, v2, v12
	s_waitcnt lgkmcnt(1)
	v_add_f32_e32 v11, v11, v13
	s_waitcnt lgkmcnt(0)
	v_add_f32_e32 v12, v12, v14
	;; [unrolled: 6-line block ×6, first 2 shown]
	s_and_saveexec_b64 s[6:7], s[0:1]
	s_cbranch_execz .LBB263_11
; %bb.10:
	v_add_u32_e32 v13, 4, v0
	v_cmp_eq_u32_e32 vcc, 1, v13
	v_cndmask_b32_e32 v14, v6, v7, vcc
	v_cmp_eq_u32_e32 vcc, 2, v13
	v_cndmask_b32_e32 v14, v14, v10, vcc
	;; [unrolled: 2-line block ×15, first 2 shown]
	v_lshl_or_b32 v13, s2, 1, v0
	v_mov_b32_e32 v14, 0
	v_lshlrev_b64 v[13:14], 2, v[13:14]
	v_mov_b32_e32 v26, s5
	v_add_co_u32_e32 v13, vcc, s4, v13
	v_addc_co_u32_e32 v14, vcc, v26, v14, vcc
	global_store_dword v[13:14], v15, off
.LBB263_11:
	s_or_b64 exec, exec, s[6:7]
	ds_bpermute_b32 v13, v1, v25
	ds_bpermute_b32 v14, v1, v24
	s_waitcnt lgkmcnt(1)
	v_add_f32_e32 v13, v25, v13
	s_waitcnt lgkmcnt(0)
	v_add_f32_e32 v14, v24, v14
	ds_bpermute_b32 v15, v2, v13
	ds_bpermute_b32 v24, v2, v14
	s_waitcnt lgkmcnt(1)
	v_add_f32_e32 v13, v13, v15
	s_waitcnt lgkmcnt(0)
	v_add_f32_e32 v14, v14, v24
	;; [unrolled: 6-line block ×6, first 2 shown]
	s_and_saveexec_b64 s[6:7], s[0:1]
	s_cbranch_execz .LBB263_13
; %bb.12:
	v_add_u32_e32 v15, 6, v0
	v_cmp_eq_u32_e32 vcc, 1, v15
	v_cndmask_b32_e32 v24, v6, v7, vcc
	v_cmp_eq_u32_e32 vcc, 2, v15
	v_cndmask_b32_e32 v24, v24, v10, vcc
	;; [unrolled: 2-line block ×14, first 2 shown]
	v_mad_u64_u32 v[24:25], s[8:9], s2, 3, v[0:1]
	v_mov_b32_e32 v25, 0
	v_cmp_eq_u32_e32 vcc, 15, v15
	v_lshlrev_b64 v[24:25], 2, v[24:25]
	v_cndmask_b32_e32 v15, v26, v16, vcc
	v_mov_b32_e32 v26, s5
	v_add_co_u32_e32 v24, vcc, s4, v24
	v_addc_co_u32_e32 v25, vcc, v26, v25, vcc
	global_store_dword v[24:25], v15, off
.LBB263_13:
	s_or_b64 exec, exec, s[6:7]
	ds_bpermute_b32 v15, v1, v23
	ds_bpermute_b32 v24, v1, v22
	s_waitcnt lgkmcnt(1)
	v_add_f32_e32 v15, v23, v15
	s_waitcnt lgkmcnt(0)
	v_add_f32_e32 v22, v22, v24
	ds_bpermute_b32 v23, v2, v15
	ds_bpermute_b32 v24, v2, v22
	s_waitcnt lgkmcnt(1)
	v_add_f32_e32 v15, v15, v23
	s_waitcnt lgkmcnt(0)
	v_add_f32_e32 v22, v22, v24
	;; [unrolled: 6-line block ×6, first 2 shown]
	s_and_saveexec_b64 s[6:7], s[0:1]
	s_cbranch_execz .LBB263_15
; %bb.14:
	v_add_u32_e32 v23, 8, v0
	v_cmp_eq_u32_e32 vcc, 1, v23
	v_cndmask_b32_e32 v24, v6, v7, vcc
	v_cmp_eq_u32_e32 vcc, 2, v23
	v_cndmask_b32_e32 v24, v24, v10, vcc
	;; [unrolled: 2-line block ×15, first 2 shown]
	v_lshl_or_b32 v23, s2, 2, v0
	v_mov_b32_e32 v24, 0
	v_lshlrev_b64 v[23:24], 2, v[23:24]
	v_mov_b32_e32 v26, s5
	v_add_co_u32_e32 v23, vcc, s4, v23
	v_addc_co_u32_e32 v24, vcc, v26, v24, vcc
	global_store_dword v[23:24], v25, off
.LBB263_15:
	s_or_b64 exec, exec, s[6:7]
	ds_bpermute_b32 v23, v1, v21
	ds_bpermute_b32 v24, v1, v20
	s_waitcnt lgkmcnt(1)
	v_add_f32_e32 v21, v21, v23
	s_waitcnt lgkmcnt(0)
	v_add_f32_e32 v20, v20, v24
	ds_bpermute_b32 v23, v2, v21
	ds_bpermute_b32 v24, v2, v20
	s_waitcnt lgkmcnt(1)
	v_add_f32_e32 v21, v21, v23
	s_waitcnt lgkmcnt(0)
	v_add_f32_e32 v20, v20, v24
	;; [unrolled: 6-line block ×6, first 2 shown]
	s_and_saveexec_b64 s[6:7], s[0:1]
	s_cbranch_execz .LBB263_17
; %bb.16:
	v_add_u32_e32 v25, 10, v0
	v_cmp_eq_u32_e32 vcc, 1, v25
	v_cndmask_b32_e32 v23, v6, v7, vcc
	v_cmp_eq_u32_e32 vcc, 2, v25
	v_cndmask_b32_e32 v23, v23, v10, vcc
	;; [unrolled: 2-line block ×14, first 2 shown]
	v_mad_u64_u32 v[23:24], s[8:9], s2, 5, v[0:1]
	v_mov_b32_e32 v24, 0
	v_cmp_eq_u32_e32 vcc, 15, v25
	v_lshlrev_b64 v[23:24], 2, v[23:24]
	v_cndmask_b32_e32 v25, v26, v16, vcc
	v_mov_b32_e32 v26, s5
	v_add_co_u32_e32 v23, vcc, s4, v23
	v_addc_co_u32_e32 v24, vcc, v26, v24, vcc
	global_store_dword v[23:24], v25, off
.LBB263_17:
	s_or_b64 exec, exec, s[6:7]
	ds_bpermute_b32 v23, v1, v18
	ds_bpermute_b32 v24, v1, v19
	s_waitcnt lgkmcnt(1)
	v_add_f32_e32 v18, v18, v23
	s_waitcnt lgkmcnt(0)
	v_add_f32_e32 v19, v19, v24
	ds_bpermute_b32 v23, v2, v18
	ds_bpermute_b32 v24, v2, v19
	s_waitcnt lgkmcnt(1)
	v_add_f32_e32 v18, v18, v23
	s_waitcnt lgkmcnt(0)
	v_add_f32_e32 v19, v19, v24
	;; [unrolled: 6-line block ×6, first 2 shown]
	s_and_saveexec_b64 s[6:7], s[0:1]
	s_cbranch_execz .LBB263_19
; %bb.18:
	v_add_u32_e32 v23, 12, v0
	v_cmp_eq_u32_e32 vcc, 1, v23
	v_cndmask_b32_e32 v24, v6, v7, vcc
	v_cmp_eq_u32_e32 vcc, 2, v23
	v_cndmask_b32_e32 v24, v24, v10, vcc
	;; [unrolled: 2-line block ×14, first 2 shown]
	v_cmp_eq_u32_e32 vcc, 15, v23
	s_mul_i32 s3, s2, 6
	v_cndmask_b32_e32 v25, v24, v16, vcc
	v_or_b32_e32 v23, s3, v0
	v_mov_b32_e32 v24, 0
	v_lshlrev_b64 v[23:24], 2, v[23:24]
	v_mov_b32_e32 v26, s5
	v_add_co_u32_e32 v23, vcc, s4, v23
	v_addc_co_u32_e32 v24, vcc, v26, v24, vcc
	global_store_dword v[23:24], v25, off
.LBB263_19:
	s_or_b64 exec, exec, s[6:7]
	ds_bpermute_b32 v23, v1, v17
	ds_bpermute_b32 v1, v1, v16
	s_waitcnt lgkmcnt(1)
	v_add_f32_e32 v17, v17, v23
	s_waitcnt lgkmcnt(0)
	v_add_f32_e32 v1, v16, v1
	ds_bpermute_b32 v16, v2, v17
	ds_bpermute_b32 v2, v2, v1
	s_waitcnt lgkmcnt(1)
	v_add_f32_e32 v16, v17, v16
	s_waitcnt lgkmcnt(0)
	v_add_f32_e32 v1, v1, v2
	;; [unrolled: 6-line block ×5, first 2 shown]
	ds_bpermute_b32 v3, v8, v1
	ds_bpermute_b32 v4, v8, v2
	s_and_b64 exec, exec, s[0:1]
	s_cbranch_execz .LBB263_21
; %bb.20:
	s_waitcnt lgkmcnt(1)
	v_add_f32_e32 v1, v1, v3
	v_add_u32_e32 v3, 14, v0
	v_cmp_eq_u32_e32 vcc, 1, v3
	s_waitcnt lgkmcnt(0)
	v_add_f32_e32 v2, v2, v4
	v_cndmask_b32_e32 v4, v6, v7, vcc
	v_cmp_eq_u32_e32 vcc, 2, v3
	v_cndmask_b32_e32 v4, v4, v10, vcc
	v_cmp_eq_u32_e32 vcc, 3, v3
	;; [unrolled: 2-line block ×13, first 2 shown]
	v_cndmask_b32_e32 v4, v4, v1, vcc
	v_mad_u64_u32 v[0:1], s[0:1], s2, 7, v[0:1]
	v_mov_b32_e32 v1, 0
	v_cmp_eq_u32_e32 vcc, 15, v3
	v_lshlrev_b64 v[0:1], 2, v[0:1]
	v_cndmask_b32_e32 v2, v4, v2, vcc
	v_mov_b32_e32 v3, s5
	v_add_co_u32_e32 v0, vcc, s4, v0
	v_addc_co_u32_e32 v1, vcc, v3, v1, vcc
	global_store_dword v[0:1], v2, off
.LBB263_21:
	s_endpgm
	.section	.rodata,"a",@progbits
	.p2align	6, 0x0
	.amdhsa_kernel _ZL13mul_mat_vec_qIL9ggml_type21ELi8ELb0ELb0EEvPKvS2_PKi31ggml_cuda_mm_fusion_args_devicePfj15HIP_vector_typeIjLj3EEjjjS8_jjjS8_jjjj
		.amdhsa_group_segment_fixed_size 0
		.amdhsa_private_segment_fixed_size 0
		.amdhsa_kernarg_size 144
		.amdhsa_user_sgpr_count 6
		.amdhsa_user_sgpr_private_segment_buffer 1
		.amdhsa_user_sgpr_dispatch_ptr 0
		.amdhsa_user_sgpr_queue_ptr 0
		.amdhsa_user_sgpr_kernarg_segment_ptr 1
		.amdhsa_user_sgpr_dispatch_id 0
		.amdhsa_user_sgpr_flat_scratch_init 0
		.amdhsa_user_sgpr_private_segment_size 0
		.amdhsa_uses_dynamic_stack 0
		.amdhsa_system_sgpr_private_segment_wavefront_offset 0
		.amdhsa_system_sgpr_workgroup_id_x 1
		.amdhsa_system_sgpr_workgroup_id_y 1
		.amdhsa_system_sgpr_workgroup_id_z 1
		.amdhsa_system_sgpr_workgroup_info 0
		.amdhsa_system_vgpr_workitem_id 1
		.amdhsa_next_free_vgpr 70
		.amdhsa_next_free_sgpr 32
		.amdhsa_reserve_vcc 1
		.amdhsa_reserve_flat_scratch 0
		.amdhsa_float_round_mode_32 0
		.amdhsa_float_round_mode_16_64 0
		.amdhsa_float_denorm_mode_32 3
		.amdhsa_float_denorm_mode_16_64 3
		.amdhsa_dx10_clamp 1
		.amdhsa_ieee_mode 1
		.amdhsa_fp16_overflow 0
		.amdhsa_exception_fp_ieee_invalid_op 0
		.amdhsa_exception_fp_denorm_src 0
		.amdhsa_exception_fp_ieee_div_zero 0
		.amdhsa_exception_fp_ieee_overflow 0
		.amdhsa_exception_fp_ieee_underflow 0
		.amdhsa_exception_fp_ieee_inexact 0
		.amdhsa_exception_int_div_zero 0
	.end_amdhsa_kernel
	.section	.text._ZL13mul_mat_vec_qIL9ggml_type21ELi8ELb0ELb0EEvPKvS2_PKi31ggml_cuda_mm_fusion_args_devicePfj15HIP_vector_typeIjLj3EEjjjS8_jjjS8_jjjj,"axG",@progbits,_ZL13mul_mat_vec_qIL9ggml_type21ELi8ELb0ELb0EEvPKvS2_PKi31ggml_cuda_mm_fusion_args_devicePfj15HIP_vector_typeIjLj3EEjjjS8_jjjS8_jjjj,comdat
.Lfunc_end263:
	.size	_ZL13mul_mat_vec_qIL9ggml_type21ELi8ELb0ELb0EEvPKvS2_PKi31ggml_cuda_mm_fusion_args_devicePfj15HIP_vector_typeIjLj3EEjjjS8_jjjS8_jjjj, .Lfunc_end263-_ZL13mul_mat_vec_qIL9ggml_type21ELi8ELb0ELb0EEvPKvS2_PKi31ggml_cuda_mm_fusion_args_devicePfj15HIP_vector_typeIjLj3EEjjjS8_jjjS8_jjjj
                                        ; -- End function
	.set _ZL13mul_mat_vec_qIL9ggml_type21ELi8ELb0ELb0EEvPKvS2_PKi31ggml_cuda_mm_fusion_args_devicePfj15HIP_vector_typeIjLj3EEjjjS8_jjjS8_jjjj.num_vgpr, 70
	.set _ZL13mul_mat_vec_qIL9ggml_type21ELi8ELb0ELb0EEvPKvS2_PKi31ggml_cuda_mm_fusion_args_devicePfj15HIP_vector_typeIjLj3EEjjjS8_jjjS8_jjjj.num_agpr, 0
	.set _ZL13mul_mat_vec_qIL9ggml_type21ELi8ELb0ELb0EEvPKvS2_PKi31ggml_cuda_mm_fusion_args_devicePfj15HIP_vector_typeIjLj3EEjjjS8_jjjS8_jjjj.numbered_sgpr, 32
	.set _ZL13mul_mat_vec_qIL9ggml_type21ELi8ELb0ELb0EEvPKvS2_PKi31ggml_cuda_mm_fusion_args_devicePfj15HIP_vector_typeIjLj3EEjjjS8_jjjS8_jjjj.num_named_barrier, 0
	.set _ZL13mul_mat_vec_qIL9ggml_type21ELi8ELb0ELb0EEvPKvS2_PKi31ggml_cuda_mm_fusion_args_devicePfj15HIP_vector_typeIjLj3EEjjjS8_jjjS8_jjjj.private_seg_size, 0
	.set _ZL13mul_mat_vec_qIL9ggml_type21ELi8ELb0ELb0EEvPKvS2_PKi31ggml_cuda_mm_fusion_args_devicePfj15HIP_vector_typeIjLj3EEjjjS8_jjjS8_jjjj.uses_vcc, 1
	.set _ZL13mul_mat_vec_qIL9ggml_type21ELi8ELb0ELb0EEvPKvS2_PKi31ggml_cuda_mm_fusion_args_devicePfj15HIP_vector_typeIjLj3EEjjjS8_jjjS8_jjjj.uses_flat_scratch, 0
	.set _ZL13mul_mat_vec_qIL9ggml_type21ELi8ELb0ELb0EEvPKvS2_PKi31ggml_cuda_mm_fusion_args_devicePfj15HIP_vector_typeIjLj3EEjjjS8_jjjS8_jjjj.has_dyn_sized_stack, 0
	.set _ZL13mul_mat_vec_qIL9ggml_type21ELi8ELb0ELb0EEvPKvS2_PKi31ggml_cuda_mm_fusion_args_devicePfj15HIP_vector_typeIjLj3EEjjjS8_jjjS8_jjjj.has_recursion, 0
	.set _ZL13mul_mat_vec_qIL9ggml_type21ELi8ELb0ELb0EEvPKvS2_PKi31ggml_cuda_mm_fusion_args_devicePfj15HIP_vector_typeIjLj3EEjjjS8_jjjS8_jjjj.has_indirect_call, 0
	.section	.AMDGPU.csdata,"",@progbits
; Kernel info:
; codeLenInByte = 9392
; TotalNumSgprs: 36
; NumVgprs: 70
; ScratchSize: 0
; MemoryBound: 0
; FloatMode: 240
; IeeeMode: 1
; LDSByteSize: 0 bytes/workgroup (compile time only)
; SGPRBlocks: 4
; VGPRBlocks: 17
; NumSGPRsForWavesPerEU: 36
; NumVGPRsForWavesPerEU: 70
; Occupancy: 3
; WaveLimiterHint : 0
; COMPUTE_PGM_RSRC2:SCRATCH_EN: 0
; COMPUTE_PGM_RSRC2:USER_SGPR: 6
; COMPUTE_PGM_RSRC2:TRAP_HANDLER: 0
; COMPUTE_PGM_RSRC2:TGID_X_EN: 1
; COMPUTE_PGM_RSRC2:TGID_Y_EN: 1
; COMPUTE_PGM_RSRC2:TGID_Z_EN: 1
; COMPUTE_PGM_RSRC2:TIDIG_COMP_CNT: 1
	.section	.AMDGPU.gpr_maximums,"",@progbits
	.set amdgpu.max_num_vgpr, 0
	.set amdgpu.max_num_agpr, 0
	.set amdgpu.max_num_sgpr, 0
	.section	.AMDGPU.csdata,"",@progbits
	.type	_ZL11iq2xxs_grid,@object        ; @_ZL11iq2xxs_grid
	.section	.rodata,"a",@progbits
	.p2align	4, 0x0
_ZL11iq2xxs_grid:
	.quad	578721382704613384              ; 0x808080808080808
	.quad	578721382704613419              ; 0x80808080808082b
	;; [unrolled: 1-line block ×132, first 2 shown]
	.quad	1803700481349388313             ; 0x1908080808080819
	.quad	1803700481349392648             ; 0x1908080808081908
	;; [unrolled: 1-line block ×124, first 2 shown]
	.size	_ZL11iq2xxs_grid, 2048

	.type	_ZL10iq2xs_grid,@object         ; @_ZL10iq2xs_grid
	.p2align	4, 0x0
_ZL10iq2xs_grid:
	.quad	578721382704613384              ; 0x808080808080808
	.quad	578721382704613419              ; 0x80808080808082b
	;; [unrolled: 1-line block ×254, first 2 shown]
	.quad	1803700481349388313             ; 0x1908080808080819
	.quad	1803700481349392648             ; 0x1908080808081908
	.quad	1803700481349392683             ; 0x190808080808192b
	.quad	1803700481349397273             ; 0x1908080808082b19
	.quad	1803700481350502408             ; 0x1908080808190808
	.quad	1803700481350502443             ; 0x190808080819082b
	.quad	1803700481350506777             ; 0x1908080808191919
	.quad	1803700481350511368             ; 0x1908080808192b08
	.quad	1803700481351682073             ; 0x19080808082b0819
	.quad	1803700481351686408             ; 0x19080808082b1908
	.quad	1803700481634600968             ; 0x1908080819080808
	.quad	1803700481634601003             ; 0x190808081908082b
	.quad	1803700481634605337             ; 0x1908080819081919
	.quad	1803700481634609928             ; 0x1908080819082b08
	.quad	1803700481634609963             ; 0x1908080819082b2b
	.quad	1803700481635715097             ; 0x1908080819190819
	.quad	1803700481635719432             ; 0x1908080819191908
	.quad	1803700481636894728             ; 0x19080808192b0808
	.quad	1803700481636899097             ; 0x19080808192b1919
	.quad	1803700481936590873             ; 0x190808082b080819
	.quad	1803700481936595208             ; 0x190808082b081908
	.quad	1803700481937704968             ; 0x190808082b190808
	.quad	1803700554363832328             ; 0x1908081908080808
	.quad	1803700554363832363             ; 0x190808190808082b
	.quad	1803700554363836697             ; 0x1908081908081919
	.quad	1803700554363841288             ; 0x1908081908082b08
	.quad	1803700554364946457             ; 0x1908081908190819
	.quad	1803700554364950792             ; 0x1908081908191908
	.quad	1803700554366126088             ; 0x19080819082b0808
	.quad	1803700554649045017             ; 0x1908081919080819
	.quad	1803700554649049352             ; 0x1908081919081908
	.quad	1803700554650159112             ; 0x1908081919190808
	.quad	1803700554951034888             ; 0x190808192b080808
	.quad	1803700554951039257             ; 0x190808192b081919
	.quad	1803700554953328683             ; 0x190808192b2b082b
	.quad	1803700631673243673             ; 0x1908082b08080819
	.quad	1803700631673248008             ; 0x1908082b08081908
	.quad	1803700631674357768             ; 0x1908082b08190808
	.quad	1803700631674357803             ; 0x1908082b0819082b
	.quad	1803700631675546393             ; 0x1908082b082b2b19
	.quad	1803700631958456328             ; 0x1908082b19080808
	.quad	1803719173047060488             ; 0x1908190808080808
	.quad	1803719173047060523             ; 0x190819080808082b
	.quad	1803719173047064857             ; 0x1908190808081919
	.quad	1803719173047069448             ; 0x1908190808082b08
	.quad	1803719173048174617             ; 0x1908190808190819
	.quad	1803719173048178952             ; 0x1908190808191908
	.quad	1803719173048183577             ; 0x1908190808192b19
	.quad	1803719173049354248             ; 0x19081908082b0808
	.quad	1803719173332273177             ; 0x1908190819080819
	.quad	1803719173332277512             ; 0x1908190819081908
	.quad	1803719173333387272             ; 0x1908190819190808
	.quad	1803719173634263048             ; 0x190819082b080808
	.quad	1803719173635381512             ; 0x190819082b191908
	.quad	1803719246061504537             ; 0x1908191908080819
	.quad	1803719246061508872             ; 0x1908191908081908
	.quad	1803719246062618632             ; 0x1908191908190808
	.quad	1803719246063802632             ; 0x19081919082b1908
	.quad	1803719246346717192             ; 0x1908191919080808
	.quad	1803719246649830187             ; 0x190819192b192b2b
	.quad	1803719323370915848             ; 0x1908192b08080808
	.quad	1803719323370924843             ; 0x1908192b08082b2b
	.quad	1803719323656132872             ; 0x1908192b19081908
	.quad	1803719323657242632             ; 0x1908192b19190808
	.quad	1803738964256360473             ; 0x19082b0808080819
	.quad	1803738964256364808             ; 0x19082b0808081908
	.quad	1803738964257474568             ; 0x19082b0808190808
	.quad	1803738964541573128             ; 0x19082b0819080808
	.quad	1803738964541577497             ; 0x19082b0819081919
	.quad	1803738964542691592             ; 0x19082b0819191908
	.quad	1803738964543866923             ; 0x19082b08192b082b
	.quad	1803739037270804488             ; 0x19082b1908080808
	.quad	1803739037271918617             ; 0x19082b1908190819
	.quad	1803739037556021512             ; 0x19082b1919081908
	.quad	1803739037557131272             ; 0x19082b1919190808
	.quad	1803739037558319897             ; 0x19082b19192b2b19
	.quad	1803739114580220168             ; 0x19082b2b08081908
	.quad	1808485555953469448             ; 0x1919080808080808
	.quad	1808485555953469483             ; 0x191908080808082b
	.quad	1808485555953473817             ; 0x1919080808081919
	.quad	1808485555953478408             ; 0x1919080808082b08
	.quad	1808485555954583577             ; 0x1919080808190819
	.quad	1808485555954587912             ; 0x1919080808191908
	.quad	1808485555955763208             ; 0x19190808082b0808
	.quad	1808485555955772168             ; 0x19190808082b2b08
	.quad	1808485556238682137             ; 0x1919080819080819
	.quad	1808485556238686472             ; 0x1919080819081908
	.quad	1808485556239796232             ; 0x1919080819190808
	.quad	1808485556540672008             ; 0x191908082b080808
	.quad	1808485628967913497             ; 0x1919081908080819
	.quad	1808485628967917832             ; 0x1919081908081908
	.quad	1808485628969027592             ; 0x1919081908190808
	.quad	1808485628969031961             ; 0x1919081908191919
	.quad	1808485629253126152             ; 0x1919081919080808
	.quad	1808485629253126187             ; 0x191908191908082b
	.quad	1808485706277324808             ; 0x1919082b08080808
	.quad	1808485706562541832             ; 0x1919082b19081908
	.quad	1808485706866830123             ; 0x1919082b2b2b2b2b
	.quad	1808504247651141657             ; 0x1919190808080819
	.quad	1808504247651145992             ; 0x1919190808081908
	.quad	1808504247652255752             ; 0x1919190808190808
	.quad	1808504247653435417             ; 0x19191908082b0819
	.quad	1808504247936354312             ; 0x1919190819080808
	.quad	1808504247938648072             ; 0x19191908192b0808
	.quad	1808504248238344217             ; 0x191919082b080819
	.quad	1808504248240637977             ; 0x191919082b2b0819
	.quad	1808504320665585672             ; 0x1919191908080808
	.quad	1808504320665594632             ; 0x1919191908082b08
	.quad	1808504321252788232             ; 0x191919192b080808
	.quad	1808504321252797192             ; 0x191919192b082b08
	.quad	1808504397977290777             ; 0x1919192b082b0819
	.quad	1808504398262512392             ; 0x1919192b192b2b08
	.quad	1808504398564493337             ; 0x1919192b2b2b0819
	.quad	1808524038860441608             ; 0x19192b0808080808
	.quad	1808524038861560072             ; 0x19192b0808191908
	.quad	1808524039145654297             ; 0x19192b0819080819
	.quad	1808524039146768392             ; 0x19192b0819190808
	.quad	1808524039448767257             ; 0x19192b082b192b19
	.quad	1808524111876008747             ; 0x19192b1908192b2b
	.quad	1808524112160098312             ; 0x19192b1919080808
	.quad	1808524112160098347             ; 0x19192b191908082b
	.quad	1808524189771503897             ; 0x19192b2b2b081919
	.quad	1813552105534261273             ; 0x192b080808080819
	.quad	1813552105534265608             ; 0x192b080808081908
	.quad	1813552105535375368             ; 0x192b080808190808
	.quad	1813552105819473928             ; 0x192b080819080808
	.quad	1813552105820592392             ; 0x192b080819191908
	.quad	1813552105821767723             ; 0x192b0808192b082b
	.quad	1813552106121468203             ; 0x192b08082b08192b
	.quad	1813552106123766553             ; 0x192b08082b2b2b19
	.quad	1813552178548705288             ; 0x192b081908080808
	.quad	1813552255860414728             ; 0x192b082b082b1908
	.quad	1813552256143338283             ; 0x192b082b19082b2b
	.quad	1813552256446433323             ; 0x192b082b2b19082b
	.quad	1813570797231933448             ; 0x192b190808080808
	.quad	1813570797233051947             ; 0x192b19080819192b
	.quad	1813570870247491592             ; 0x192b191908190808
	.quad	1813570870531590152             ; 0x192b191919080808
	.quad	1813570870531594521             ; 0x192b191919081919
	.quad	1813570870835878152             ; 0x192b19192b2b1908
	.quad	1813590588441233433             ; 0x192b2b0808080819
	.quad	1813590588728748843             ; 0x192b2b08192b2b2b
	.quad	1813590661457975577             ; 0x192b2b19082b1919
	.quad	1813590738765093163             ; 0x192b2b2b0808192b
	.quad	1813590739051419912             ; 0x192b2b2b19191908
	.quad	1813590739052595243             ; 0x192b2b2b192b082b
	.quad	3100737174032091144             ; 0x2b08080808080808
	.quad	3100737174032091179             ; 0x2b0808080808082b
	.quad	3100737174032095513             ; 0x2b08080808081919
	.quad	3100737174032100104             ; 0x2b08080808082b08
	.quad	3100737174033205273             ; 0x2b08080808190819
	.quad	3100737174033209608             ; 0x2b08080808191908
	.quad	3100737174034384904             ; 0x2b080808082b0808
	.quad	3100737174034393899             ; 0x2b080808082b2b2b
	.quad	3100737174317303833             ; 0x2b08080819080819
	.quad	3100737174317308168             ; 0x2b08080819081908
	.quad	3100737174318417928             ; 0x2b08080819190808
	.quad	3100737174619293704             ; 0x2b0808082b080808
	.quad	3100737174619293739             ; 0x2b0808082b08082b
	.quad	3100737174621596424             ; 0x2b0808082b2b2b08
	.quad	3100737174621596459             ; 0x2b0808082b2b2b2b
	.quad	3100737247046535193             ; 0x2b08081908080819
	.quad	3100737247046539528             ; 0x2b08081908081908
	.quad	3100737247046539563             ; 0x2b0808190808192b
	.quad	3100737247047649288             ; 0x2b08081908190808
	.quad	3100737247331747848             ; 0x2b08081919080808
	.quad	3100737247332861977             ; 0x2b08081919190819
	.quad	3100737247332870937             ; 0x2b08081919192b19
	.quad	3100737324355946504             ; 0x2b08082b08080808
	.quad	3100737324358240264             ; 0x2b08082b082b0808
	.quad	3100737324943149064             ; 0x2b08082b2b080808
	.quad	3100737324943149099             ; 0x2b08082b2b08082b
	.quad	3100737324945442824             ; 0x2b08082b2b2b0808
	.quad	3100737324945451784             ; 0x2b08082b2b2b2b08
	.quad	3100755865729763353             ; 0x2b08190808080819
	.quad	3100755865729767688             ; 0x2b08190808081908
	.quad	3100755865730877448             ; 0x2b08190808190808
	.quad	3100755865730877483             ; 0x2b0819080819082b
	.quad	3100755865730881817             ; 0x2b08190808191919
	.quad	3100755866014976008             ; 0x2b08190819080808
	.quad	3100755866017269768             ; 0x2b081908192b0808
	.quad	3100755866316974873             ; 0x2b0819082b082b19
	.quad	3100755938744207368             ; 0x2b08191908080808
	.quad	3100755939029424392             ; 0x2b08191919081908
	.quad	3100755939333708057             ; 0x2b0819192b2b1919
	.quad	3100756016054741768             ; 0x2b08192b08192b08
	.quad	3100756016341134123             ; 0x2b08192b192b2b2b
	.quad	3100775656939063304             ; 0x2b082b0808080808
	.quad	3100775656939072264             ; 0x2b082b0808082b08
	.quad	3100775656941361433             ; 0x2b082b08082b1919
	.quad	3100775657225399083             ; 0x2b082b0819192b2b
	.quad	3100775657526265864             ; 0x2b082b082b080808
	.quad	3100775657526265899             ; 0x2b082b082b08082b
	.quad	3100775657528568584             ; 0x2b082b082b2b2b08
	.quad	3100775729953511723             ; 0x2b082b190808192b
	.quad	3100775807265212459             ; 0x2b082b2b082b082b
	.quad	3100775807850121224             ; 0x2b082b2b2b080808
	.quad	3100775807850130184             ; 0x2b082b2b2b082b08
	.quad	3100775807851239723             ; 0x2b082b2b2b19192b
	.quad	3100775807852423944             ; 0x2b082b2b2b2b2b08
	.quad	3105522248636172313             ; 0x2b19080808080819
	.quad	3105522248636176648             ; 0x2b19080808081908
	.quad	3105522248637286408             ; 0x2b19080808190808
	.quad	3105522248921384968             ; 0x2b19080819080808
	.quad	3105522248922503467             ; 0x2b1908081919192b
	.quad	3105522249223379208             ; 0x2b1908082b081908
	.quad	3105522321650616328             ; 0x2b19081908080808
	.quad	3105522321652910123             ; 0x2b190819082b082b
	.quad	3105522321938127112             ; 0x2b190819192b1908
	.quad	3105522399246358827             ; 0x2b19082b1919192b
	.quad	3105522399547239193             ; 0x2b19082b2b082b19
	.quad	3105540940333844488             ; 0x2b19190808080808
	.quad	3105540940333848857             ; 0x2b19190808081919
	.quad	3105540940619061512             ; 0x2b19190819081908
	.quad	3105540940620171272             ; 0x2b19190819190808
	.quad	3105540940620180232             ; 0x2b19190819192b08
	.quad	3105541013350591257             ; 0x2b191919082b2b19
	.quad	3105541013936605192             ; 0x2b1919192b190808
	.quad	3105541013936605227             ; 0x2b1919192b19082b
	.quad	3105541090942912537             ; 0x2b19192b19080819
	.quad	3105560731829471257             ; 0x2b192b0819190819
	.quad	3105560732132645163             ; 0x2b192b082b2b192b
	.quad	3105560804842810137             ; 0x2b192b1919082b19
	.quad	3105560881868118297             ; 0x2b192b2b08191919
	.quad	3105560882154506248             ; 0x2b192b2b192b0808
	.quad	3110588798216964104             ; 0x2b2b080808080808
	.quad	3110588798216964139             ; 0x2b2b08080808082b
	.quad	3110588798216973064             ; 0x2b2b080808082b08
	.quad	3110588798216973099             ; 0x2b2b080808082b2b
	.quad	3110588798219257864             ; 0x2b2b0808082b0808
	.quad	3110588798219266859             ; 0x2b2b0808082b2b2b
	.quad	3110588798806460424             ; 0x2b2b08082b2b0808
	.quad	3110588871517734937             ; 0x2b2b081919190819
	.quad	3110588871517743897             ; 0x2b2b081919192b19
	.quad	3110588871820908843             ; 0x2b2b08192b2b192b
	.quad	3110588948540819464             ; 0x2b2b082b08080808
	.quad	3110588948540819499             ; 0x2b2b082b0808082b
	.quad	3110588948540828424             ; 0x2b2b082b08082b08
	.quad	3110588948543122219             ; 0x2b2b082b082b2b2b
	.quad	3110588949128022024             ; 0x2b2b082b2b080808
	.quad	3110588949130315784             ; 0x2b2b082b2b2b0808
	.quad	3110607490199848968             ; 0x2b2b190819080808
	.quad	3110607490502957337             ; 0x2b2b19082b191919
	.quad	3110607640526002457             ; 0x2b2b192b192b1919
	.quad	3110607640826817288             ; 0x2b2b192b2b192b08
	.quad	3110627281123945259             ; 0x2b2b2b0808082b2b
	.quad	3110627281126230024             ; 0x2b2b2b08082b0808
	.quad	3110627281126230059             ; 0x2b2b2b08082b082b
	.quad	3110627281126238984             ; 0x2b2b2b08082b2b08
	.quad	3110627281713432584             ; 0x2b2b2b082b2b0808
	.quad	3110627281713441544             ; 0x2b2b2b082b2b2b08
	.quad	3110627354138384648             ; 0x2b2b2b1908081908
	.quad	3110627354725587208             ; 0x2b2b2b192b081908
	.quad	3110627354725587243             ; 0x2b2b2b192b08192b
	.quad	3110627431450094344             ; 0x2b2b2b2b082b2b08
	.quad	3110627431450094379             ; 0x2b2b2b2b082b2b2b
	.quad	3110627432036108313             ; 0x2b2b2b2b2b190819
	.quad	3110627432037296939             ; 0x2b2b2b2b2b2b2b2b
	.size	_ZL10iq2xs_grid, 4096

	.type	_ZL9iq2s_grid,@object           ; @_ZL9iq2s_grid
	.p2align	4, 0x0
_ZL9iq2s_grid:
	.quad	578721382704613384              ; 0x808080808080808
	.quad	578721382704613419              ; 0x80808080808082b
	;; [unrolled: 1-line block ×471, first 2 shown]
	.quad	1803700481349388313             ; 0x1908080808080819
	.quad	1803700481349392648             ; 0x1908080808081908
	;; [unrolled: 1-line block ×553, first 2 shown]
	.size	_ZL9iq2s_grid, 8192

	.type	_ZL11iq3xxs_grid,@object        ; @_ZL11iq3xxs_grid
	.p2align	4, 0x0
_ZL11iq3xxs_grid:
	.long	67372036                        ; 0x4040404
	.long	67372052                        ; 0x4040414
	;; [unrolled: 1-line block ×58, first 2 shown]
	.long	201589772                       ; 0xc04040c
	.long	201589788                       ; 0xc04041c
	;; [unrolled: 1-line block ×177, first 2 shown]
	.long	1040450588                      ; 0x3e04041c
	.long	1040450604                      ; 0x3e04042c
	;; [unrolled: 1-line block ×21, first 2 shown]
	.size	_ZL11iq3xxs_grid, 1024

	.type	_ZL13iq1s_grid_gpu,@object      ; @_ZL13iq1s_grid_gpu
	.p2align	4, 0x0
_ZL13iq1s_grid_gpu:
	.long	0                               ; 0x0
	.long	2                               ; 0x2
	.long	257                             ; 0x101
	.long	512                             ; 0x200
	.long	514                             ; 0x202
	.long	65537                           ; 0x10001
	.long	65793                           ; 0x10101
	.long	131072                          ; 0x20000
	.long	131074                          ; 0x20002
	;; [unrolled: 1-line block ×4, first 2 shown]
	.long	16777473                        ; 0x1000101
	.long	16842753                        ; 0x1010001
	;; [unrolled: 1-line block ×14, first 2 shown]
	.long	272                             ; 0x110
	.long	273                             ; 0x111
	.long	65553                           ; 0x10011
	.long	65808                           ; 0x10110
	;; [unrolled: 1-line block ×5, first 2 shown]
	.long	131345                          ; 0x20111
	.long	16777233                        ; 0x1000011
	.long	16777490                        ; 0x1000112
	;; [unrolled: 1-line block ×15, first 2 shown]
	.long	32                              ; 0x20
	.long	34                              ; 0x22
	.long	544                             ; 0x220
	.long	546                             ; 0x222
	.long	65825                           ; 0x10121
	.long	131104                          ; 0x20020
	.long	131106                          ; 0x20022
	;; [unrolled: 1-line block ×4, first 2 shown]
	.long	16777505                        ; 0x1000121
	.long	16842785                        ; 0x1010021
	;; [unrolled: 1-line block ×16, first 2 shown]
	.long	69633                           ; 0x11001
	.long	69888                           ; 0x11100
	;; [unrolled: 1-line block ×3, first 2 shown]
	.long	135425                          ; 0x21101
	.long	16781313                        ; 0x1001001
	.long	16781825                        ; 0x1001201
	.long	16847105                        ; 0x1011101
	.long	16847362                        ; 0x1011202
	.long	16912640                        ; 0x1021100
	.long	16912641                        ; 0x1021101
	.long	33624065                        ; 0x2011001
	.long	33624577                        ; 0x2011201
	.long	33689857                        ; 0x2021101
	.long	4113                            ; 0x1011
	.long	4368                            ; 0x1110
	;; [unrolled: 1-line block ×4, first 2 shown]
	.long	69905                           ; 0x11111
	.long	70160                           ; 0x11210
	;; [unrolled: 1-line block ×3, first 2 shown]
	.long	135697                          ; 0x21211
	.long	16781328                        ; 0x1001010
	.long	16781585                        ; 0x1001111
	;; [unrolled: 1-line block ×24, first 2 shown]
	.long	69920                           ; 0x11120
	.long	70177                           ; 0x11221
	.long	16781345                        ; 0x1001021
	.long	16781600                        ; 0x1001120
	;; [unrolled: 1-line block ×14, first 2 shown]
	.long	8192                            ; 0x2000
	.long	8194                            ; 0x2002
	.long	8704                            ; 0x2200
	.long	8706                            ; 0x2202
	.long	73985                           ; 0x12101
	.long	139264                          ; 0x22000
	.long	139266                          ; 0x22002
	;; [unrolled: 1-line block ×4, first 2 shown]
	.long	16785665                        ; 0x1002101
	.long	16850945                        ; 0x1012001
	;; [unrolled: 1-line block ×13, first 2 shown]
	.long	8465                            ; 0x2111
	.long	73745                           ; 0x12011
	.long	74000                           ; 0x12110
	;; [unrolled: 1-line block ×3, first 2 shown]
	.long	139536                          ; 0x22110
	.long	139537                          ; 0x22111
	.long	16785425                        ; 0x1002011
	.long	16850960                        ; 0x1012010
	;; [unrolled: 1-line block ×12, first 2 shown]
	.long	8224                            ; 0x2020
	.long	8226                            ; 0x2022
	;; [unrolled: 1-line block ×4, first 2 shown]
	.long	74017                           ; 0x12121
	.long	139296                          ; 0x22020
	.long	139298                          ; 0x22022
	.long	139808                          ; 0x22220
	.long	139810                          ; 0x22222
	.long	16785697                        ; 0x1002121
	.long	16850977                        ; 0x1012021
	.long	16851489                        ; 0x1012221
	.long	16916513                        ; 0x1022021
	.long	16916769                        ; 0x1022121
	.long	33562656                        ; 0x2002020
	.long	33562658                        ; 0x2002022
	.long	33562913                        ; 0x2002121
	.long	33563168                        ; 0x2002220
	.long	33563170                        ; 0x2002222
	.long	33628449                        ; 0x2012121
	.long	33693728                        ; 0x2022020
	.long	33693730                        ; 0x2022022
	.long	33694240                        ; 0x2022220
	.long	33694242                        ; 0x2022222
	.long	1114112                         ; 0x110000
	.long	1114113                         ; 0x110001
	;; [unrolled: 1-line block ×6, first 2 shown]
	.long	17825793                        ; 0x1100001
	.long	17826048                        ; 0x1100100
	;; [unrolled: 1-line block ×14, first 2 shown]
	.long	1048593                         ; 0x100011
	.long	1048848                         ; 0x100110
	.long	1048850                         ; 0x100112
	.long	1049105                         ; 0x100211
	.long	1114128                         ; 0x110010
	.long	1114130                         ; 0x110012
	.long	1114385                         ; 0x110111
	.long	1114640                         ; 0x110210
	.long	1179665                         ; 0x120011
	.long	1179920                         ; 0x120110
	.long	1180177                         ; 0x120211
	.long	17826065                        ; 0x1100111
	.long	17826322                        ; 0x1100212
	;; [unrolled: 1-line block ×16, first 2 shown]
	.long	1114145                         ; 0x110021
	.long	1114400                         ; 0x110120
	;; [unrolled: 1-line block ×4, first 2 shown]
	.long	17825824                        ; 0x1100020
	.long	17826082                        ; 0x1100122
	;; [unrolled: 1-line block ×14, first 2 shown]
	.long	1052673                         ; 0x101001
	.long	1052930                         ; 0x101102
	;; [unrolled: 1-line block ×9, first 2 shown]
	.long	17829889                        ; 0x1101001
	.long	17830145                        ; 0x1101101
	;; [unrolled: 1-line block ×25, first 2 shown]
	.long	1052690                         ; 0x101012
	.long	1052945                         ; 0x101111
	;; [unrolled: 1-line block ×13, first 2 shown]
	.long	17829905                        ; 0x1101011
	.long	17830160                        ; 0x1101110
	;; [unrolled: 1-line block ×32, first 2 shown]
	.long	1052705                         ; 0x101021
	.long	1052960                         ; 0x101120
	;; [unrolled: 1-line block ×10, first 2 shown]
	.long	17829920                        ; 0x1101020
	.long	17829922                        ; 0x1101022
	;; [unrolled: 1-line block ×23, first 2 shown]
	.long	1122305                         ; 0x112001
	.long	1122562                         ; 0x112102
	.long	1188097                         ; 0x122101
	.long	17833985                        ; 0x1102001
	.long	17834240                        ; 0x1102100
	;; [unrolled: 1-line block ×17, first 2 shown]
	.long	1122320                         ; 0x112010
	.long	1122322                         ; 0x112012
	;; [unrolled: 1-line block ×6, first 2 shown]
	.long	17834002                        ; 0x1102012
	.long	17834256                        ; 0x1102110
	;; [unrolled: 1-line block ×21, first 2 shown]
	.long	1057313                         ; 0x102221
	.long	1122594                         ; 0x112122
	;; [unrolled: 1-line block ×4, first 2 shown]
	.long	17834272                        ; 0x1102120
	.long	17834274                        ; 0x1102122
	;; [unrolled: 1-line block ×14, first 2 shown]
	.long	2097152                         ; 0x200000
	.long	2097154                         ; 0x200002
	;; [unrolled: 1-line block ×10, first 2 shown]
	.long	18874625                        ; 0x1200101
	.long	18939905                        ; 0x1210001
	;; [unrolled: 1-line block ×15, first 2 shown]
	.long	2097425                         ; 0x200111
	.long	2162705                         ; 0x210011
	;; [unrolled: 1-line block ×5, first 2 shown]
	.long	18874386                        ; 0x1200012
	.long	18874640                        ; 0x1200110
	;; [unrolled: 1-line block ×15, first 2 shown]
	.long	2097185                         ; 0x200021
	.long	2097696                         ; 0x200220
	;; [unrolled: 1-line block ×9, first 2 shown]
	.long	18874657                        ; 0x1200121
	.long	18939937                        ; 0x1210021
	;; [unrolled: 1-line block ×14, first 2 shown]
	.long	2101505                         ; 0x201101
	.long	2167040                         ; 0x211100
	;; [unrolled: 1-line block ×5, first 2 shown]
	.long	18878720                        ; 0x1201100
	.long	18878721                        ; 0x1201101
	;; [unrolled: 1-line block ×15, first 2 shown]
	.long	2101777                         ; 0x201211
	.long	2167057                         ; 0x211111
	;; [unrolled: 1-line block ×4, first 2 shown]
	.long	18878480                        ; 0x1201010
	.long	18878737                        ; 0x1201111
	;; [unrolled: 1-line block ×20, first 2 shown]
	.long	2101537                         ; 0x201121
	.long	2166816                         ; 0x211020
	;; [unrolled: 1-line block ×5, first 2 shown]
	.long	18878497                        ; 0x1201021
	.long	18879009                        ; 0x1201221
	;; [unrolled: 1-line block ×10, first 2 shown]
	.long	2105344                         ; 0x202000
	.long	2105346                         ; 0x202002
	;; [unrolled: 1-line block ×9, first 2 shown]
	.long	18882817                        ; 0x1202101
	.long	18948097                        ; 0x1212001
	;; [unrolled: 1-line block ×12, first 2 shown]
	.long	2105873                         ; 0x202211
	.long	2170897                         ; 0x212011
	;; [unrolled: 1-line block ×5, first 2 shown]
	.long	18882834                        ; 0x1202112
	.long	18883089                        ; 0x1202211
	;; [unrolled: 1-line block ×14, first 2 shown]
	.long	2105376                         ; 0x202020
	.long	2105378                         ; 0x202022
	;; [unrolled: 1-line block ×8, first 2 shown]
	.long	18882849                        ; 0x1202121
	.long	18948129                        ; 0x1212021
	;; [unrolled: 1-line block ×14, first 2 shown]
	.long	268435713                       ; 0x10000101
	.long	268500993                       ; 0x10010001
	;; [unrolled: 1-line block ×1419, first 2 shown]
	.size	_ZL13iq1s_grid_gpu, 8192

	.type	_ZL9iq3s_grid,@object           ; @_ZL9iq3s_grid
	.p2align	4, 0x0
_ZL9iq3s_grid:
	.long	16843009                        ; 0x1010101
	.long	16843011                        ; 0x1010103
	;; [unrolled: 1-line block ×281, first 2 shown]
	.long	117506309                       ; 0x7010105
	.long	117506819                       ; 0x7010303
	;; [unrolled: 1-line block ×231, first 2 shown]
	.size	_ZL9iq3s_grid, 2048

	.type	__hip_cuid_3d558095e13109b4,@object ; @__hip_cuid_3d558095e13109b4
	.section	.bss,"aw",@nobits
	.globl	__hip_cuid_3d558095e13109b4
__hip_cuid_3d558095e13109b4:
	.byte	0                               ; 0x0
	.size	__hip_cuid_3d558095e13109b4, 1

	.ident	"AMD clang version 22.0.0git (https://github.com/RadeonOpenCompute/llvm-project roc-7.2.4 26084 f58b06dce1f9c15707c5f808fd002e18c2accf7e)"
	.section	".note.GNU-stack","",@progbits
	.addrsig
	.addrsig_sym __hip_cuid_3d558095e13109b4
	.amdgpu_metadata
---
amdhsa.kernels:
  - .args:
      - .address_space:  global
        .offset:         0
        .size:           8
        .value_kind:     global_buffer
      - .address_space:  global
        .offset:         8
        .size:           8
        .value_kind:     global_buffer
      - .address_space:  global
        .offset:         16
        .size:           8
        .value_kind:     global_buffer
      - .address_space:  global
        .offset:         24
        .size:           8
        .value_kind:     global_buffer
      - .offset:         32
        .size:           4
        .value_kind:     by_value
      - .offset:         36
        .size:           12
        .value_kind:     by_value
      - .offset:         48
        .size:           4
        .value_kind:     by_value
      - .offset:         52
        .size:           4
        .value_kind:     by_value
      - .offset:         56
        .size:           4
        .value_kind:     by_value
      - .offset:         60
        .size:           4
        .value_kind:     by_value
      - .offset:         64
        .size:           4
        .value_kind:     by_value
      - .offset:         68
        .size:           4
        .value_kind:     by_value
      - .offset:         72
        .size:           4
        .value_kind:     by_value
      - .offset:         76
        .size:           4
        .value_kind:     by_value
      - .offset:         80
        .size:           4
        .value_kind:     by_value
    .group_segment_fixed_size: 0
    .kernarg_segment_align: 8
    .kernarg_segment_size: 84
    .language:       OpenCL C
    .language_version:
      - 2
      - 0
    .max_flat_workgroup_size: 512
    .name:           _ZL17mul_mat_vec_q_moeIL9ggml_type41ELi2EEvPKvS2_PKiPfj15HIP_vector_typeIjLj3EEjjjjjjjjj
    .private_segment_fixed_size: 0
    .sgpr_count:     32
    .sgpr_spill_count: 0
    .symbol:         _ZL17mul_mat_vec_q_moeIL9ggml_type41ELi2EEvPKvS2_PKiPfj15HIP_vector_typeIjLj3EEjjjjjjjjj.kd
    .uniform_work_group_size: 1
    .uses_dynamic_stack: false
    .vgpr_count:     37
    .vgpr_spill_count: 0
    .wavefront_size: 64
  - .args:
      - .address_space:  global
        .offset:         0
        .size:           8
        .value_kind:     global_buffer
      - .address_space:  global
        .offset:         8
        .size:           8
        .value_kind:     global_buffer
      - .address_space:  global
        .offset:         16
        .size:           8
        .value_kind:     global_buffer
      - .offset:         24
        .size:           32
        .value_kind:     by_value
      - .address_space:  global
        .offset:         56
        .size:           8
        .value_kind:     global_buffer
      - .offset:         64
        .size:           4
        .value_kind:     by_value
      - .offset:         68
        .size:           12
        .value_kind:     by_value
      - .offset:         80
        .size:           4
        .value_kind:     by_value
      - .offset:         84
        .size:           4
        .value_kind:     by_value
      - .offset:         88
        .size:           4
        .value_kind:     by_value
      - .offset:         92
        .size:           12
        .value_kind:     by_value
      - .offset:         104
        .size:           4
        .value_kind:     by_value
      - .offset:         108
        .size:           4
        .value_kind:     by_value
      - .offset:         112
        .size:           4
        .value_kind:     by_value
      - .offset:         116
        .size:           12
        .value_kind:     by_value
      - .offset:         128
        .size:           4
        .value_kind:     by_value
      - .offset:         132
        .size:           4
        .value_kind:     by_value
      - .offset:         136
        .size:           4
        .value_kind:     by_value
      - .offset:         140
        .size:           4
        .value_kind:     by_value
    .group_segment_fixed_size: 1024
    .kernarg_segment_align: 8
    .kernarg_segment_size: 144
    .language:       OpenCL C
    .language_version:
      - 2
      - 0
    .max_flat_workgroup_size: 128
    .name:           _ZL13mul_mat_vec_qIL9ggml_type41ELi1ELb1ELb1EEvPKvS2_PKi31ggml_cuda_mm_fusion_args_devicePfj15HIP_vector_typeIjLj3EEjjjS8_jjjS8_jjjj
    .private_segment_fixed_size: 0
    .sgpr_count:     100
    .sgpr_spill_count: 43
    .symbol:         _ZL13mul_mat_vec_qIL9ggml_type41ELi1ELb1ELb1EEvPKvS2_PKi31ggml_cuda_mm_fusion_args_devicePfj15HIP_vector_typeIjLj3EEjjjS8_jjjS8_jjjj.kd
    .uniform_work_group_size: 1
    .uses_dynamic_stack: false
    .vgpr_count:     46
    .vgpr_spill_count: 0
    .wavefront_size: 64
  - .args:
      - .address_space:  global
        .offset:         0
        .size:           8
        .value_kind:     global_buffer
      - .address_space:  global
        .offset:         8
        .size:           8
        .value_kind:     global_buffer
      - .address_space:  global
        .offset:         16
        .size:           8
        .value_kind:     global_buffer
      - .offset:         24
        .size:           32
        .value_kind:     by_value
      - .address_space:  global
        .offset:         56
        .size:           8
        .value_kind:     global_buffer
      - .offset:         64
        .size:           4
        .value_kind:     by_value
      - .offset:         68
        .size:           12
        .value_kind:     by_value
      - .offset:         80
        .size:           4
        .value_kind:     by_value
      - .offset:         84
        .size:           4
        .value_kind:     by_value
      - .offset:         88
        .size:           4
        .value_kind:     by_value
      - .offset:         92
        .size:           12
        .value_kind:     by_value
      - .offset:         104
        .size:           4
        .value_kind:     by_value
      - .offset:         108
        .size:           4
        .value_kind:     by_value
      - .offset:         112
        .size:           4
        .value_kind:     by_value
      - .offset:         116
        .size:           12
        .value_kind:     by_value
      - .offset:         128
        .size:           4
        .value_kind:     by_value
      - .offset:         132
        .size:           4
        .value_kind:     by_value
      - .offset:         136
        .size:           4
        .value_kind:     by_value
      - .offset:         140
        .size:           4
        .value_kind:     by_value
    .group_segment_fixed_size: 512
    .kernarg_segment_align: 8
    .kernarg_segment_size: 144
    .language:       OpenCL C
    .language_version:
      - 2
      - 0
    .max_flat_workgroup_size: 128
    .name:           _ZL13mul_mat_vec_qIL9ggml_type41ELi1ELb0ELb1EEvPKvS2_PKi31ggml_cuda_mm_fusion_args_devicePfj15HIP_vector_typeIjLj3EEjjjS8_jjjS8_jjjj
    .private_segment_fixed_size: 0
    .sgpr_count:     28
    .sgpr_spill_count: 0
    .symbol:         _ZL13mul_mat_vec_qIL9ggml_type41ELi1ELb0ELb1EEvPKvS2_PKi31ggml_cuda_mm_fusion_args_devicePfj15HIP_vector_typeIjLj3EEjjjS8_jjjS8_jjjj.kd
    .uniform_work_group_size: 1
    .uses_dynamic_stack: false
    .vgpr_count:     34
    .vgpr_spill_count: 0
    .wavefront_size: 64
  - .args:
      - .address_space:  global
        .offset:         0
        .size:           8
        .value_kind:     global_buffer
      - .address_space:  global
        .offset:         8
        .size:           8
        .value_kind:     global_buffer
      - .address_space:  global
        .offset:         16
        .size:           8
        .value_kind:     global_buffer
      - .offset:         24
        .size:           32
        .value_kind:     by_value
      - .address_space:  global
        .offset:         56
        .size:           8
        .value_kind:     global_buffer
      - .offset:         64
        .size:           4
        .value_kind:     by_value
      - .offset:         68
        .size:           12
        .value_kind:     by_value
      - .offset:         80
        .size:           4
        .value_kind:     by_value
      - .offset:         84
        .size:           4
        .value_kind:     by_value
      - .offset:         88
        .size:           4
        .value_kind:     by_value
      - .offset:         92
        .size:           12
        .value_kind:     by_value
      - .offset:         104
        .size:           4
        .value_kind:     by_value
      - .offset:         108
        .size:           4
        .value_kind:     by_value
      - .offset:         112
        .size:           4
        .value_kind:     by_value
      - .offset:         116
        .size:           12
        .value_kind:     by_value
      - .offset:         128
        .size:           4
        .value_kind:     by_value
      - .offset:         132
        .size:           4
        .value_kind:     by_value
      - .offset:         136
        .size:           4
        .value_kind:     by_value
      - .offset:         140
        .size:           4
        .value_kind:     by_value
    .group_segment_fixed_size: 512
    .kernarg_segment_align: 8
    .kernarg_segment_size: 144
    .language:       OpenCL C
    .language_version:
      - 2
      - 0
    .max_flat_workgroup_size: 128
    .name:           _ZL13mul_mat_vec_qIL9ggml_type41ELi1ELb1ELb0EEvPKvS2_PKi31ggml_cuda_mm_fusion_args_devicePfj15HIP_vector_typeIjLj3EEjjjS8_jjjS8_jjjj
    .private_segment_fixed_size: 0
    .sgpr_count:     48
    .sgpr_spill_count: 0
    .symbol:         _ZL13mul_mat_vec_qIL9ggml_type41ELi1ELb1ELb0EEvPKvS2_PKi31ggml_cuda_mm_fusion_args_devicePfj15HIP_vector_typeIjLj3EEjjjS8_jjjS8_jjjj.kd
    .uniform_work_group_size: 1
    .uses_dynamic_stack: false
    .vgpr_count:     39
    .vgpr_spill_count: 0
    .wavefront_size: 64
  - .args:
      - .address_space:  global
        .offset:         0
        .size:           8
        .value_kind:     global_buffer
      - .address_space:  global
        .offset:         8
        .size:           8
        .value_kind:     global_buffer
      - .address_space:  global
        .offset:         16
        .size:           8
        .value_kind:     global_buffer
      - .offset:         24
        .size:           32
        .value_kind:     by_value
      - .address_space:  global
        .offset:         56
        .size:           8
        .value_kind:     global_buffer
      - .offset:         64
        .size:           4
        .value_kind:     by_value
      - .offset:         68
        .size:           12
        .value_kind:     by_value
      - .offset:         80
        .size:           4
        .value_kind:     by_value
      - .offset:         84
        .size:           4
        .value_kind:     by_value
      - .offset:         88
        .size:           4
        .value_kind:     by_value
      - .offset:         92
        .size:           12
        .value_kind:     by_value
      - .offset:         104
        .size:           4
        .value_kind:     by_value
      - .offset:         108
        .size:           4
        .value_kind:     by_value
      - .offset:         112
        .size:           4
        .value_kind:     by_value
      - .offset:         116
        .size:           12
        .value_kind:     by_value
      - .offset:         128
        .size:           4
        .value_kind:     by_value
      - .offset:         132
        .size:           4
        .value_kind:     by_value
      - .offset:         136
        .size:           4
        .value_kind:     by_value
      - .offset:         140
        .size:           4
        .value_kind:     by_value
    .group_segment_fixed_size: 256
    .kernarg_segment_align: 8
    .kernarg_segment_size: 144
    .language:       OpenCL C
    .language_version:
      - 2
      - 0
    .max_flat_workgroup_size: 128
    .name:           _ZL13mul_mat_vec_qIL9ggml_type41ELi1ELb0ELb0EEvPKvS2_PKi31ggml_cuda_mm_fusion_args_devicePfj15HIP_vector_typeIjLj3EEjjjS8_jjjS8_jjjj
    .private_segment_fixed_size: 0
    .sgpr_count:     28
    .sgpr_spill_count: 0
    .symbol:         _ZL13mul_mat_vec_qIL9ggml_type41ELi1ELb0ELb0EEvPKvS2_PKi31ggml_cuda_mm_fusion_args_devicePfj15HIP_vector_typeIjLj3EEjjjS8_jjjS8_jjjj.kd
    .uniform_work_group_size: 1
    .uses_dynamic_stack: false
    .vgpr_count:     27
    .vgpr_spill_count: 0
    .wavefront_size: 64
  - .args:
      - .address_space:  global
        .offset:         0
        .size:           8
        .value_kind:     global_buffer
      - .address_space:  global
        .offset:         8
        .size:           8
        .value_kind:     global_buffer
      - .address_space:  global
        .offset:         16
        .size:           8
        .value_kind:     global_buffer
      - .offset:         24
        .size:           32
        .value_kind:     by_value
      - .address_space:  global
        .offset:         56
        .size:           8
        .value_kind:     global_buffer
      - .offset:         64
        .size:           4
        .value_kind:     by_value
      - .offset:         68
        .size:           12
        .value_kind:     by_value
      - .offset:         80
        .size:           4
        .value_kind:     by_value
      - .offset:         84
        .size:           4
        .value_kind:     by_value
      - .offset:         88
        .size:           4
        .value_kind:     by_value
      - .offset:         92
        .size:           12
        .value_kind:     by_value
      - .offset:         104
        .size:           4
        .value_kind:     by_value
      - .offset:         108
        .size:           4
        .value_kind:     by_value
      - .offset:         112
        .size:           4
        .value_kind:     by_value
      - .offset:         116
        .size:           12
        .value_kind:     by_value
      - .offset:         128
        .size:           4
        .value_kind:     by_value
      - .offset:         132
        .size:           4
        .value_kind:     by_value
      - .offset:         136
        .size:           4
        .value_kind:     by_value
      - .offset:         140
        .size:           4
        .value_kind:     by_value
    .group_segment_fixed_size: 1024
    .kernarg_segment_align: 8
    .kernarg_segment_size: 144
    .language:       OpenCL C
    .language_version:
      - 2
      - 0
    .max_flat_workgroup_size: 128
    .name:           _ZL13mul_mat_vec_qIL9ggml_type41ELi2ELb0ELb0EEvPKvS2_PKi31ggml_cuda_mm_fusion_args_devicePfj15HIP_vector_typeIjLj3EEjjjS8_jjjS8_jjjj
    .private_segment_fixed_size: 0
    .sgpr_count:     70
    .sgpr_spill_count: 0
    .symbol:         _ZL13mul_mat_vec_qIL9ggml_type41ELi2ELb0ELb0EEvPKvS2_PKi31ggml_cuda_mm_fusion_args_devicePfj15HIP_vector_typeIjLj3EEjjjS8_jjjS8_jjjj.kd
    .uniform_work_group_size: 1
    .uses_dynamic_stack: false
    .vgpr_count:     47
    .vgpr_spill_count: 0
    .wavefront_size: 64
  - .args:
      - .address_space:  global
        .offset:         0
        .size:           8
        .value_kind:     global_buffer
      - .address_space:  global
        .offset:         8
        .size:           8
        .value_kind:     global_buffer
      - .address_space:  global
        .offset:         16
        .size:           8
        .value_kind:     global_buffer
      - .offset:         24
        .size:           32
        .value_kind:     by_value
      - .address_space:  global
        .offset:         56
        .size:           8
        .value_kind:     global_buffer
      - .offset:         64
        .size:           4
        .value_kind:     by_value
      - .offset:         68
        .size:           12
        .value_kind:     by_value
      - .offset:         80
        .size:           4
        .value_kind:     by_value
      - .offset:         84
        .size:           4
        .value_kind:     by_value
      - .offset:         88
        .size:           4
        .value_kind:     by_value
      - .offset:         92
        .size:           12
        .value_kind:     by_value
      - .offset:         104
        .size:           4
        .value_kind:     by_value
      - .offset:         108
        .size:           4
        .value_kind:     by_value
      - .offset:         112
        .size:           4
        .value_kind:     by_value
      - .offset:         116
        .size:           12
        .value_kind:     by_value
      - .offset:         128
        .size:           4
        .value_kind:     by_value
      - .offset:         132
        .size:           4
        .value_kind:     by_value
      - .offset:         136
        .size:           4
        .value_kind:     by_value
      - .offset:         140
        .size:           4
        .value_kind:     by_value
    .group_segment_fixed_size: 1536
    .kernarg_segment_align: 8
    .kernarg_segment_size: 144
    .language:       OpenCL C
    .language_version:
      - 2
      - 0
    .max_flat_workgroup_size: 128
    .name:           _ZL13mul_mat_vec_qIL9ggml_type41ELi3ELb0ELb0EEvPKvS2_PKi31ggml_cuda_mm_fusion_args_devicePfj15HIP_vector_typeIjLj3EEjjjS8_jjjS8_jjjj
    .private_segment_fixed_size: 0
    .sgpr_count:     30
    .sgpr_spill_count: 0
    .symbol:         _ZL13mul_mat_vec_qIL9ggml_type41ELi3ELb0ELb0EEvPKvS2_PKi31ggml_cuda_mm_fusion_args_devicePfj15HIP_vector_typeIjLj3EEjjjS8_jjjS8_jjjj.kd
    .uniform_work_group_size: 1
    .uses_dynamic_stack: false
    .vgpr_count:     64
    .vgpr_spill_count: 0
    .wavefront_size: 64
  - .args:
      - .address_space:  global
        .offset:         0
        .size:           8
        .value_kind:     global_buffer
      - .address_space:  global
        .offset:         8
        .size:           8
        .value_kind:     global_buffer
      - .address_space:  global
        .offset:         16
        .size:           8
        .value_kind:     global_buffer
      - .offset:         24
        .size:           32
        .value_kind:     by_value
      - .address_space:  global
        .offset:         56
        .size:           8
        .value_kind:     global_buffer
      - .offset:         64
        .size:           4
        .value_kind:     by_value
      - .offset:         68
        .size:           12
        .value_kind:     by_value
      - .offset:         80
        .size:           4
        .value_kind:     by_value
      - .offset:         84
        .size:           4
        .value_kind:     by_value
      - .offset:         88
        .size:           4
        .value_kind:     by_value
      - .offset:         92
        .size:           12
        .value_kind:     by_value
      - .offset:         104
        .size:           4
        .value_kind:     by_value
      - .offset:         108
        .size:           4
        .value_kind:     by_value
      - .offset:         112
        .size:           4
        .value_kind:     by_value
      - .offset:         116
        .size:           12
        .value_kind:     by_value
      - .offset:         128
        .size:           4
        .value_kind:     by_value
      - .offset:         132
        .size:           4
        .value_kind:     by_value
      - .offset:         136
        .size:           4
        .value_kind:     by_value
      - .offset:         140
        .size:           4
        .value_kind:     by_value
    .group_segment_fixed_size: 2048
    .kernarg_segment_align: 8
    .kernarg_segment_size: 144
    .language:       OpenCL C
    .language_version:
      - 2
      - 0
    .max_flat_workgroup_size: 128
    .name:           _ZL13mul_mat_vec_qIL9ggml_type41ELi4ELb0ELb0EEvPKvS2_PKi31ggml_cuda_mm_fusion_args_devicePfj15HIP_vector_typeIjLj3EEjjjS8_jjjS8_jjjj
    .private_segment_fixed_size: 0
    .sgpr_count:     70
    .sgpr_spill_count: 0
    .symbol:         _ZL13mul_mat_vec_qIL9ggml_type41ELi4ELb0ELb0EEvPKvS2_PKi31ggml_cuda_mm_fusion_args_devicePfj15HIP_vector_typeIjLj3EEjjjS8_jjjS8_jjjj.kd
    .uniform_work_group_size: 1
    .uses_dynamic_stack: false
    .vgpr_count:     63
    .vgpr_spill_count: 0
    .wavefront_size: 64
  - .args:
      - .address_space:  global
        .offset:         0
        .size:           8
        .value_kind:     global_buffer
      - .address_space:  global
        .offset:         8
        .size:           8
        .value_kind:     global_buffer
      - .address_space:  global
        .offset:         16
        .size:           8
        .value_kind:     global_buffer
      - .offset:         24
        .size:           32
        .value_kind:     by_value
      - .address_space:  global
        .offset:         56
        .size:           8
        .value_kind:     global_buffer
      - .offset:         64
        .size:           4
        .value_kind:     by_value
      - .offset:         68
        .size:           12
        .value_kind:     by_value
      - .offset:         80
        .size:           4
        .value_kind:     by_value
      - .offset:         84
        .size:           4
        .value_kind:     by_value
      - .offset:         88
        .size:           4
        .value_kind:     by_value
      - .offset:         92
        .size:           12
        .value_kind:     by_value
      - .offset:         104
        .size:           4
        .value_kind:     by_value
      - .offset:         108
        .size:           4
        .value_kind:     by_value
      - .offset:         112
        .size:           4
        .value_kind:     by_value
      - .offset:         116
        .size:           12
        .value_kind:     by_value
      - .offset:         128
        .size:           4
        .value_kind:     by_value
      - .offset:         132
        .size:           4
        .value_kind:     by_value
      - .offset:         136
        .size:           4
        .value_kind:     by_value
      - .offset:         140
        .size:           4
        .value_kind:     by_value
    .group_segment_fixed_size: 0
    .kernarg_segment_align: 8
    .kernarg_segment_size: 144
    .language:       OpenCL C
    .language_version:
      - 2
      - 0
    .max_flat_workgroup_size: 64
    .name:           _ZL13mul_mat_vec_qIL9ggml_type41ELi5ELb0ELb0EEvPKvS2_PKi31ggml_cuda_mm_fusion_args_devicePfj15HIP_vector_typeIjLj3EEjjjS8_jjjS8_jjjj
    .private_segment_fixed_size: 0
    .sgpr_count:     30
    .sgpr_spill_count: 0
    .symbol:         _ZL13mul_mat_vec_qIL9ggml_type41ELi5ELb0ELb0EEvPKvS2_PKi31ggml_cuda_mm_fusion_args_devicePfj15HIP_vector_typeIjLj3EEjjjS8_jjjS8_jjjj.kd
    .uniform_work_group_size: 1
    .uses_dynamic_stack: false
    .vgpr_count:     56
    .vgpr_spill_count: 0
    .wavefront_size: 64
  - .args:
      - .address_space:  global
        .offset:         0
        .size:           8
        .value_kind:     global_buffer
      - .address_space:  global
        .offset:         8
        .size:           8
        .value_kind:     global_buffer
      - .address_space:  global
        .offset:         16
        .size:           8
        .value_kind:     global_buffer
      - .offset:         24
        .size:           32
        .value_kind:     by_value
      - .address_space:  global
        .offset:         56
        .size:           8
        .value_kind:     global_buffer
      - .offset:         64
        .size:           4
        .value_kind:     by_value
      - .offset:         68
        .size:           12
        .value_kind:     by_value
      - .offset:         80
        .size:           4
        .value_kind:     by_value
      - .offset:         84
        .size:           4
        .value_kind:     by_value
      - .offset:         88
        .size:           4
        .value_kind:     by_value
      - .offset:         92
        .size:           12
        .value_kind:     by_value
      - .offset:         104
        .size:           4
        .value_kind:     by_value
      - .offset:         108
        .size:           4
        .value_kind:     by_value
      - .offset:         112
        .size:           4
        .value_kind:     by_value
      - .offset:         116
        .size:           12
        .value_kind:     by_value
      - .offset:         128
        .size:           4
        .value_kind:     by_value
      - .offset:         132
        .size:           4
        .value_kind:     by_value
      - .offset:         136
        .size:           4
        .value_kind:     by_value
      - .offset:         140
        .size:           4
        .value_kind:     by_value
    .group_segment_fixed_size: 0
    .kernarg_segment_align: 8
    .kernarg_segment_size: 144
    .language:       OpenCL C
    .language_version:
      - 2
      - 0
    .max_flat_workgroup_size: 64
    .name:           _ZL13mul_mat_vec_qIL9ggml_type41ELi6ELb0ELb0EEvPKvS2_PKi31ggml_cuda_mm_fusion_args_devicePfj15HIP_vector_typeIjLj3EEjjjS8_jjjS8_jjjj
    .private_segment_fixed_size: 0
    .sgpr_count:     30
    .sgpr_spill_count: 0
    .symbol:         _ZL13mul_mat_vec_qIL9ggml_type41ELi6ELb0ELb0EEvPKvS2_PKi31ggml_cuda_mm_fusion_args_devicePfj15HIP_vector_typeIjLj3EEjjjS8_jjjS8_jjjj.kd
    .uniform_work_group_size: 1
    .uses_dynamic_stack: false
    .vgpr_count:     58
    .vgpr_spill_count: 0
    .wavefront_size: 64
  - .args:
      - .address_space:  global
        .offset:         0
        .size:           8
        .value_kind:     global_buffer
      - .address_space:  global
        .offset:         8
        .size:           8
        .value_kind:     global_buffer
      - .address_space:  global
        .offset:         16
        .size:           8
        .value_kind:     global_buffer
      - .offset:         24
        .size:           32
        .value_kind:     by_value
      - .address_space:  global
        .offset:         56
        .size:           8
        .value_kind:     global_buffer
      - .offset:         64
        .size:           4
        .value_kind:     by_value
      - .offset:         68
        .size:           12
        .value_kind:     by_value
      - .offset:         80
        .size:           4
        .value_kind:     by_value
      - .offset:         84
        .size:           4
        .value_kind:     by_value
      - .offset:         88
        .size:           4
        .value_kind:     by_value
      - .offset:         92
        .size:           12
        .value_kind:     by_value
      - .offset:         104
        .size:           4
        .value_kind:     by_value
      - .offset:         108
        .size:           4
        .value_kind:     by_value
      - .offset:         112
        .size:           4
        .value_kind:     by_value
      - .offset:         116
        .size:           12
        .value_kind:     by_value
      - .offset:         128
        .size:           4
        .value_kind:     by_value
      - .offset:         132
        .size:           4
        .value_kind:     by_value
      - .offset:         136
        .size:           4
        .value_kind:     by_value
      - .offset:         140
        .size:           4
        .value_kind:     by_value
    .group_segment_fixed_size: 0
    .kernarg_segment_align: 8
    .kernarg_segment_size: 144
    .language:       OpenCL C
    .language_version:
      - 2
      - 0
    .max_flat_workgroup_size: 64
    .name:           _ZL13mul_mat_vec_qIL9ggml_type41ELi7ELb0ELb0EEvPKvS2_PKi31ggml_cuda_mm_fusion_args_devicePfj15HIP_vector_typeIjLj3EEjjjS8_jjjS8_jjjj
    .private_segment_fixed_size: 0
    .sgpr_count:     32
    .sgpr_spill_count: 0
    .symbol:         _ZL13mul_mat_vec_qIL9ggml_type41ELi7ELb0ELb0EEvPKvS2_PKi31ggml_cuda_mm_fusion_args_devicePfj15HIP_vector_typeIjLj3EEjjjS8_jjjS8_jjjj.kd
    .uniform_work_group_size: 1
    .uses_dynamic_stack: false
    .vgpr_count:     60
    .vgpr_spill_count: 0
    .wavefront_size: 64
  - .args:
      - .address_space:  global
        .offset:         0
        .size:           8
        .value_kind:     global_buffer
      - .address_space:  global
        .offset:         8
        .size:           8
        .value_kind:     global_buffer
      - .address_space:  global
        .offset:         16
        .size:           8
        .value_kind:     global_buffer
      - .offset:         24
        .size:           32
        .value_kind:     by_value
      - .address_space:  global
        .offset:         56
        .size:           8
        .value_kind:     global_buffer
      - .offset:         64
        .size:           4
        .value_kind:     by_value
      - .offset:         68
        .size:           12
        .value_kind:     by_value
      - .offset:         80
        .size:           4
        .value_kind:     by_value
      - .offset:         84
        .size:           4
        .value_kind:     by_value
      - .offset:         88
        .size:           4
        .value_kind:     by_value
      - .offset:         92
        .size:           12
        .value_kind:     by_value
      - .offset:         104
        .size:           4
        .value_kind:     by_value
      - .offset:         108
        .size:           4
        .value_kind:     by_value
      - .offset:         112
        .size:           4
        .value_kind:     by_value
      - .offset:         116
        .size:           12
        .value_kind:     by_value
      - .offset:         128
        .size:           4
        .value_kind:     by_value
      - .offset:         132
        .size:           4
        .value_kind:     by_value
      - .offset:         136
        .size:           4
        .value_kind:     by_value
      - .offset:         140
        .size:           4
        .value_kind:     by_value
    .group_segment_fixed_size: 0
    .kernarg_segment_align: 8
    .kernarg_segment_size: 144
    .language:       OpenCL C
    .language_version:
      - 2
      - 0
    .max_flat_workgroup_size: 64
    .name:           _ZL13mul_mat_vec_qIL9ggml_type41ELi8ELb0ELb0EEvPKvS2_PKi31ggml_cuda_mm_fusion_args_devicePfj15HIP_vector_typeIjLj3EEjjjS8_jjjS8_jjjj
    .private_segment_fixed_size: 0
    .sgpr_count:     32
    .sgpr_spill_count: 0
    .symbol:         _ZL13mul_mat_vec_qIL9ggml_type41ELi8ELb0ELb0EEvPKvS2_PKi31ggml_cuda_mm_fusion_args_devicePfj15HIP_vector_typeIjLj3EEjjjS8_jjjS8_jjjj.kd
    .uniform_work_group_size: 1
    .uses_dynamic_stack: false
    .vgpr_count:     62
    .vgpr_spill_count: 0
    .wavefront_size: 64
  - .args:
      - .address_space:  global
        .offset:         0
        .size:           8
        .value_kind:     global_buffer
      - .address_space:  global
        .offset:         8
        .size:           8
        .value_kind:     global_buffer
      - .address_space:  global
        .offset:         16
        .size:           8
        .value_kind:     global_buffer
      - .address_space:  global
        .offset:         24
        .size:           8
        .value_kind:     global_buffer
      - .offset:         32
        .size:           4
        .value_kind:     by_value
      - .offset:         36
        .size:           12
        .value_kind:     by_value
      - .offset:         48
        .size:           4
        .value_kind:     by_value
      - .offset:         52
        .size:           4
        .value_kind:     by_value
      - .offset:         56
        .size:           4
        .value_kind:     by_value
      - .offset:         60
        .size:           4
        .value_kind:     by_value
      - .offset:         64
        .size:           4
        .value_kind:     by_value
      - .offset:         68
        .size:           4
        .value_kind:     by_value
      - .offset:         72
        .size:           4
        .value_kind:     by_value
      - .offset:         76
        .size:           4
        .value_kind:     by_value
      - .offset:         80
        .size:           4
        .value_kind:     by_value
    .group_segment_fixed_size: 0
    .kernarg_segment_align: 8
    .kernarg_segment_size: 84
    .language:       OpenCL C
    .language_version:
      - 2
      - 0
    .max_flat_workgroup_size: 320
    .name:           _ZL17mul_mat_vec_q_moeIL9ggml_type2ELi2EEvPKvS2_PKiPfj15HIP_vector_typeIjLj3EEjjjjjjjjj
    .private_segment_fixed_size: 0
    .sgpr_count:     32
    .sgpr_spill_count: 0
    .symbol:         _ZL17mul_mat_vec_q_moeIL9ggml_type2ELi2EEvPKvS2_PKiPfj15HIP_vector_typeIjLj3EEjjjjjjjjj.kd
    .uniform_work_group_size: 1
    .uses_dynamic_stack: false
    .vgpr_count:     29
    .vgpr_spill_count: 0
    .wavefront_size: 64
  - .args:
      - .address_space:  global
        .offset:         0
        .size:           8
        .value_kind:     global_buffer
      - .address_space:  global
        .offset:         8
        .size:           8
        .value_kind:     global_buffer
      - .address_space:  global
        .offset:         16
        .size:           8
        .value_kind:     global_buffer
      - .offset:         24
        .size:           32
        .value_kind:     by_value
      - .address_space:  global
        .offset:         56
        .size:           8
        .value_kind:     global_buffer
      - .offset:         64
        .size:           4
        .value_kind:     by_value
      - .offset:         68
        .size:           12
        .value_kind:     by_value
      - .offset:         80
        .size:           4
        .value_kind:     by_value
      - .offset:         84
        .size:           4
        .value_kind:     by_value
      - .offset:         88
        .size:           4
        .value_kind:     by_value
      - .offset:         92
        .size:           12
        .value_kind:     by_value
      - .offset:         104
        .size:           4
        .value_kind:     by_value
      - .offset:         108
        .size:           4
        .value_kind:     by_value
      - .offset:         112
        .size:           4
        .value_kind:     by_value
      - .offset:         116
        .size:           12
        .value_kind:     by_value
      - .offset:         128
        .size:           4
        .value_kind:     by_value
      - .offset:         132
        .size:           4
        .value_kind:     by_value
      - .offset:         136
        .size:           4
        .value_kind:     by_value
      - .offset:         140
        .size:           4
        .value_kind:     by_value
    .group_segment_fixed_size: 1024
    .kernarg_segment_align: 8
    .kernarg_segment_size: 144
    .language:       OpenCL C
    .language_version:
      - 2
      - 0
    .max_flat_workgroup_size: 128
    .name:           _ZL13mul_mat_vec_qIL9ggml_type2ELi1ELb1ELb1EEvPKvS2_PKi31ggml_cuda_mm_fusion_args_devicePfj15HIP_vector_typeIjLj3EEjjjS8_jjjS8_jjjj
    .private_segment_fixed_size: 0
    .sgpr_count:     48
    .sgpr_spill_count: 0
    .symbol:         _ZL13mul_mat_vec_qIL9ggml_type2ELi1ELb1ELb1EEvPKvS2_PKi31ggml_cuda_mm_fusion_args_devicePfj15HIP_vector_typeIjLj3EEjjjS8_jjjS8_jjjj.kd
    .uniform_work_group_size: 1
    .uses_dynamic_stack: false
    .vgpr_count:     34
    .vgpr_spill_count: 0
    .wavefront_size: 64
  - .args:
      - .address_space:  global
        .offset:         0
        .size:           8
        .value_kind:     global_buffer
      - .address_space:  global
        .offset:         8
        .size:           8
        .value_kind:     global_buffer
      - .address_space:  global
        .offset:         16
        .size:           8
        .value_kind:     global_buffer
      - .offset:         24
        .size:           32
        .value_kind:     by_value
      - .address_space:  global
        .offset:         56
        .size:           8
        .value_kind:     global_buffer
      - .offset:         64
        .size:           4
        .value_kind:     by_value
      - .offset:         68
        .size:           12
        .value_kind:     by_value
      - .offset:         80
        .size:           4
        .value_kind:     by_value
      - .offset:         84
        .size:           4
        .value_kind:     by_value
      - .offset:         88
        .size:           4
        .value_kind:     by_value
      - .offset:         92
        .size:           12
        .value_kind:     by_value
      - .offset:         104
        .size:           4
        .value_kind:     by_value
      - .offset:         108
        .size:           4
        .value_kind:     by_value
      - .offset:         112
        .size:           4
        .value_kind:     by_value
      - .offset:         116
        .size:           12
        .value_kind:     by_value
      - .offset:         128
        .size:           4
        .value_kind:     by_value
      - .offset:         132
        .size:           4
        .value_kind:     by_value
      - .offset:         136
        .size:           4
        .value_kind:     by_value
      - .offset:         140
        .size:           4
        .value_kind:     by_value
    .group_segment_fixed_size: 512
    .kernarg_segment_align: 8
    .kernarg_segment_size: 144
    .language:       OpenCL C
    .language_version:
      - 2
      - 0
    .max_flat_workgroup_size: 128
    .name:           _ZL13mul_mat_vec_qIL9ggml_type2ELi1ELb0ELb1EEvPKvS2_PKi31ggml_cuda_mm_fusion_args_devicePfj15HIP_vector_typeIjLj3EEjjjS8_jjjS8_jjjj
    .private_segment_fixed_size: 0
    .sgpr_count:     28
    .sgpr_spill_count: 0
    .symbol:         _ZL13mul_mat_vec_qIL9ggml_type2ELi1ELb0ELb1EEvPKvS2_PKi31ggml_cuda_mm_fusion_args_devicePfj15HIP_vector_typeIjLj3EEjjjS8_jjjS8_jjjj.kd
    .uniform_work_group_size: 1
    .uses_dynamic_stack: false
    .vgpr_count:     23
    .vgpr_spill_count: 0
    .wavefront_size: 64
  - .args:
      - .address_space:  global
        .offset:         0
        .size:           8
        .value_kind:     global_buffer
      - .address_space:  global
        .offset:         8
        .size:           8
        .value_kind:     global_buffer
      - .address_space:  global
        .offset:         16
        .size:           8
        .value_kind:     global_buffer
      - .offset:         24
        .size:           32
        .value_kind:     by_value
      - .address_space:  global
        .offset:         56
        .size:           8
        .value_kind:     global_buffer
      - .offset:         64
        .size:           4
        .value_kind:     by_value
      - .offset:         68
        .size:           12
        .value_kind:     by_value
      - .offset:         80
        .size:           4
        .value_kind:     by_value
      - .offset:         84
        .size:           4
        .value_kind:     by_value
      - .offset:         88
        .size:           4
        .value_kind:     by_value
      - .offset:         92
        .size:           12
        .value_kind:     by_value
      - .offset:         104
        .size:           4
        .value_kind:     by_value
      - .offset:         108
        .size:           4
        .value_kind:     by_value
      - .offset:         112
        .size:           4
        .value_kind:     by_value
      - .offset:         116
        .size:           12
        .value_kind:     by_value
      - .offset:         128
        .size:           4
        .value_kind:     by_value
      - .offset:         132
        .size:           4
        .value_kind:     by_value
      - .offset:         136
        .size:           4
        .value_kind:     by_value
      - .offset:         140
        .size:           4
        .value_kind:     by_value
    .group_segment_fixed_size: 512
    .kernarg_segment_align: 8
    .kernarg_segment_size: 144
    .language:       OpenCL C
    .language_version:
      - 2
      - 0
    .max_flat_workgroup_size: 128
    .name:           _ZL13mul_mat_vec_qIL9ggml_type2ELi1ELb1ELb0EEvPKvS2_PKi31ggml_cuda_mm_fusion_args_devicePfj15HIP_vector_typeIjLj3EEjjjS8_jjjS8_jjjj
    .private_segment_fixed_size: 0
    .sgpr_count:     48
    .sgpr_spill_count: 0
    .symbol:         _ZL13mul_mat_vec_qIL9ggml_type2ELi1ELb1ELb0EEvPKvS2_PKi31ggml_cuda_mm_fusion_args_devicePfj15HIP_vector_typeIjLj3EEjjjS8_jjjS8_jjjj.kd
    .uniform_work_group_size: 1
    .uses_dynamic_stack: false
    .vgpr_count:     28
    .vgpr_spill_count: 0
    .wavefront_size: 64
  - .args:
      - .address_space:  global
        .offset:         0
        .size:           8
        .value_kind:     global_buffer
      - .address_space:  global
        .offset:         8
        .size:           8
        .value_kind:     global_buffer
      - .address_space:  global
        .offset:         16
        .size:           8
        .value_kind:     global_buffer
      - .offset:         24
        .size:           32
        .value_kind:     by_value
      - .address_space:  global
        .offset:         56
        .size:           8
        .value_kind:     global_buffer
      - .offset:         64
        .size:           4
        .value_kind:     by_value
      - .offset:         68
        .size:           12
        .value_kind:     by_value
      - .offset:         80
        .size:           4
        .value_kind:     by_value
      - .offset:         84
        .size:           4
        .value_kind:     by_value
      - .offset:         88
        .size:           4
        .value_kind:     by_value
      - .offset:         92
        .size:           12
        .value_kind:     by_value
      - .offset:         104
        .size:           4
        .value_kind:     by_value
      - .offset:         108
        .size:           4
        .value_kind:     by_value
      - .offset:         112
        .size:           4
        .value_kind:     by_value
      - .offset:         116
        .size:           12
        .value_kind:     by_value
      - .offset:         128
        .size:           4
        .value_kind:     by_value
      - .offset:         132
        .size:           4
        .value_kind:     by_value
      - .offset:         136
        .size:           4
        .value_kind:     by_value
      - .offset:         140
        .size:           4
        .value_kind:     by_value
    .group_segment_fixed_size: 256
    .kernarg_segment_align: 8
    .kernarg_segment_size: 144
    .language:       OpenCL C
    .language_version:
      - 2
      - 0
    .max_flat_workgroup_size: 128
    .name:           _ZL13mul_mat_vec_qIL9ggml_type2ELi1ELb0ELb0EEvPKvS2_PKi31ggml_cuda_mm_fusion_args_devicePfj15HIP_vector_typeIjLj3EEjjjS8_jjjS8_jjjj
    .private_segment_fixed_size: 0
    .sgpr_count:     28
    .sgpr_spill_count: 0
    .symbol:         _ZL13mul_mat_vec_qIL9ggml_type2ELi1ELb0ELb0EEvPKvS2_PKi31ggml_cuda_mm_fusion_args_devicePfj15HIP_vector_typeIjLj3EEjjjS8_jjjS8_jjjj.kd
    .uniform_work_group_size: 1
    .uses_dynamic_stack: false
    .vgpr_count:     21
    .vgpr_spill_count: 0
    .wavefront_size: 64
  - .args:
      - .address_space:  global
        .offset:         0
        .size:           8
        .value_kind:     global_buffer
      - .address_space:  global
        .offset:         8
        .size:           8
        .value_kind:     global_buffer
      - .address_space:  global
        .offset:         16
        .size:           8
        .value_kind:     global_buffer
      - .offset:         24
        .size:           32
        .value_kind:     by_value
      - .address_space:  global
        .offset:         56
        .size:           8
        .value_kind:     global_buffer
      - .offset:         64
        .size:           4
        .value_kind:     by_value
      - .offset:         68
        .size:           12
        .value_kind:     by_value
      - .offset:         80
        .size:           4
        .value_kind:     by_value
      - .offset:         84
        .size:           4
        .value_kind:     by_value
      - .offset:         88
        .size:           4
        .value_kind:     by_value
      - .offset:         92
        .size:           12
        .value_kind:     by_value
      - .offset:         104
        .size:           4
        .value_kind:     by_value
      - .offset:         108
        .size:           4
        .value_kind:     by_value
      - .offset:         112
        .size:           4
        .value_kind:     by_value
      - .offset:         116
        .size:           12
        .value_kind:     by_value
      - .offset:         128
        .size:           4
        .value_kind:     by_value
      - .offset:         132
        .size:           4
        .value_kind:     by_value
      - .offset:         136
        .size:           4
        .value_kind:     by_value
      - .offset:         140
        .size:           4
        .value_kind:     by_value
    .group_segment_fixed_size: 1024
    .kernarg_segment_align: 8
    .kernarg_segment_size: 144
    .language:       OpenCL C
    .language_version:
      - 2
      - 0
    .max_flat_workgroup_size: 128
    .name:           _ZL13mul_mat_vec_qIL9ggml_type2ELi2ELb0ELb0EEvPKvS2_PKi31ggml_cuda_mm_fusion_args_devicePfj15HIP_vector_typeIjLj3EEjjjS8_jjjS8_jjjj
    .private_segment_fixed_size: 0
    .sgpr_count:     30
    .sgpr_spill_count: 0
    .symbol:         _ZL13mul_mat_vec_qIL9ggml_type2ELi2ELb0ELb0EEvPKvS2_PKi31ggml_cuda_mm_fusion_args_devicePfj15HIP_vector_typeIjLj3EEjjjS8_jjjS8_jjjj.kd
    .uniform_work_group_size: 1
    .uses_dynamic_stack: false
    .vgpr_count:     32
    .vgpr_spill_count: 0
    .wavefront_size: 64
  - .args:
      - .address_space:  global
        .offset:         0
        .size:           8
        .value_kind:     global_buffer
      - .address_space:  global
        .offset:         8
        .size:           8
        .value_kind:     global_buffer
      - .address_space:  global
        .offset:         16
        .size:           8
        .value_kind:     global_buffer
      - .offset:         24
        .size:           32
        .value_kind:     by_value
      - .address_space:  global
        .offset:         56
        .size:           8
        .value_kind:     global_buffer
      - .offset:         64
        .size:           4
        .value_kind:     by_value
      - .offset:         68
        .size:           12
        .value_kind:     by_value
      - .offset:         80
        .size:           4
        .value_kind:     by_value
      - .offset:         84
        .size:           4
        .value_kind:     by_value
      - .offset:         88
        .size:           4
        .value_kind:     by_value
      - .offset:         92
        .size:           12
        .value_kind:     by_value
      - .offset:         104
        .size:           4
        .value_kind:     by_value
      - .offset:         108
        .size:           4
        .value_kind:     by_value
      - .offset:         112
        .size:           4
        .value_kind:     by_value
      - .offset:         116
        .size:           12
        .value_kind:     by_value
      - .offset:         128
        .size:           4
        .value_kind:     by_value
      - .offset:         132
        .size:           4
        .value_kind:     by_value
      - .offset:         136
        .size:           4
        .value_kind:     by_value
      - .offset:         140
        .size:           4
        .value_kind:     by_value
    .group_segment_fixed_size: 1536
    .kernarg_segment_align: 8
    .kernarg_segment_size: 144
    .language:       OpenCL C
    .language_version:
      - 2
      - 0
    .max_flat_workgroup_size: 128
    .name:           _ZL13mul_mat_vec_qIL9ggml_type2ELi3ELb0ELb0EEvPKvS2_PKi31ggml_cuda_mm_fusion_args_devicePfj15HIP_vector_typeIjLj3EEjjjS8_jjjS8_jjjj
    .private_segment_fixed_size: 0
    .sgpr_count:     30
    .sgpr_spill_count: 0
    .symbol:         _ZL13mul_mat_vec_qIL9ggml_type2ELi3ELb0ELb0EEvPKvS2_PKi31ggml_cuda_mm_fusion_args_devicePfj15HIP_vector_typeIjLj3EEjjjS8_jjjS8_jjjj.kd
    .uniform_work_group_size: 1
    .uses_dynamic_stack: false
    .vgpr_count:     34
    .vgpr_spill_count: 0
    .wavefront_size: 64
  - .args:
      - .address_space:  global
        .offset:         0
        .size:           8
        .value_kind:     global_buffer
      - .address_space:  global
        .offset:         8
        .size:           8
        .value_kind:     global_buffer
      - .address_space:  global
        .offset:         16
        .size:           8
        .value_kind:     global_buffer
      - .offset:         24
        .size:           32
        .value_kind:     by_value
      - .address_space:  global
        .offset:         56
        .size:           8
        .value_kind:     global_buffer
      - .offset:         64
        .size:           4
        .value_kind:     by_value
      - .offset:         68
        .size:           12
        .value_kind:     by_value
      - .offset:         80
        .size:           4
        .value_kind:     by_value
      - .offset:         84
        .size:           4
        .value_kind:     by_value
      - .offset:         88
        .size:           4
        .value_kind:     by_value
      - .offset:         92
        .size:           12
        .value_kind:     by_value
      - .offset:         104
        .size:           4
        .value_kind:     by_value
      - .offset:         108
        .size:           4
        .value_kind:     by_value
      - .offset:         112
        .size:           4
        .value_kind:     by_value
      - .offset:         116
        .size:           12
        .value_kind:     by_value
      - .offset:         128
        .size:           4
        .value_kind:     by_value
      - .offset:         132
        .size:           4
        .value_kind:     by_value
      - .offset:         136
        .size:           4
        .value_kind:     by_value
      - .offset:         140
        .size:           4
        .value_kind:     by_value
    .group_segment_fixed_size: 2048
    .kernarg_segment_align: 8
    .kernarg_segment_size: 144
    .language:       OpenCL C
    .language_version:
      - 2
      - 0
    .max_flat_workgroup_size: 128
    .name:           _ZL13mul_mat_vec_qIL9ggml_type2ELi4ELb0ELb0EEvPKvS2_PKi31ggml_cuda_mm_fusion_args_devicePfj15HIP_vector_typeIjLj3EEjjjS8_jjjS8_jjjj
    .private_segment_fixed_size: 0
    .sgpr_count:     30
    .sgpr_spill_count: 0
    .symbol:         _ZL13mul_mat_vec_qIL9ggml_type2ELi4ELb0ELb0EEvPKvS2_PKi31ggml_cuda_mm_fusion_args_devicePfj15HIP_vector_typeIjLj3EEjjjS8_jjjS8_jjjj.kd
    .uniform_work_group_size: 1
    .uses_dynamic_stack: false
    .vgpr_count:     36
    .vgpr_spill_count: 0
    .wavefront_size: 64
  - .args:
      - .address_space:  global
        .offset:         0
        .size:           8
        .value_kind:     global_buffer
      - .address_space:  global
        .offset:         8
        .size:           8
        .value_kind:     global_buffer
      - .address_space:  global
        .offset:         16
        .size:           8
        .value_kind:     global_buffer
      - .offset:         24
        .size:           32
        .value_kind:     by_value
      - .address_space:  global
        .offset:         56
        .size:           8
        .value_kind:     global_buffer
      - .offset:         64
        .size:           4
        .value_kind:     by_value
      - .offset:         68
        .size:           12
        .value_kind:     by_value
      - .offset:         80
        .size:           4
        .value_kind:     by_value
      - .offset:         84
        .size:           4
        .value_kind:     by_value
      - .offset:         88
        .size:           4
        .value_kind:     by_value
      - .offset:         92
        .size:           12
        .value_kind:     by_value
      - .offset:         104
        .size:           4
        .value_kind:     by_value
      - .offset:         108
        .size:           4
        .value_kind:     by_value
      - .offset:         112
        .size:           4
        .value_kind:     by_value
      - .offset:         116
        .size:           12
        .value_kind:     by_value
      - .offset:         128
        .size:           4
        .value_kind:     by_value
      - .offset:         132
        .size:           4
        .value_kind:     by_value
      - .offset:         136
        .size:           4
        .value_kind:     by_value
      - .offset:         140
        .size:           4
        .value_kind:     by_value
    .group_segment_fixed_size: 0
    .kernarg_segment_align: 8
    .kernarg_segment_size: 144
    .language:       OpenCL C
    .language_version:
      - 2
      - 0
    .max_flat_workgroup_size: 64
    .name:           _ZL13mul_mat_vec_qIL9ggml_type2ELi5ELb0ELb0EEvPKvS2_PKi31ggml_cuda_mm_fusion_args_devicePfj15HIP_vector_typeIjLj3EEjjjS8_jjjS8_jjjj
    .private_segment_fixed_size: 0
    .sgpr_count:     30
    .sgpr_spill_count: 0
    .symbol:         _ZL13mul_mat_vec_qIL9ggml_type2ELi5ELb0ELb0EEvPKvS2_PKi31ggml_cuda_mm_fusion_args_devicePfj15HIP_vector_typeIjLj3EEjjjS8_jjjS8_jjjj.kd
    .uniform_work_group_size: 1
    .uses_dynamic_stack: false
    .vgpr_count:     38
    .vgpr_spill_count: 0
    .wavefront_size: 64
  - .args:
      - .address_space:  global
        .offset:         0
        .size:           8
        .value_kind:     global_buffer
      - .address_space:  global
        .offset:         8
        .size:           8
        .value_kind:     global_buffer
      - .address_space:  global
        .offset:         16
        .size:           8
        .value_kind:     global_buffer
      - .offset:         24
        .size:           32
        .value_kind:     by_value
      - .address_space:  global
        .offset:         56
        .size:           8
        .value_kind:     global_buffer
      - .offset:         64
        .size:           4
        .value_kind:     by_value
      - .offset:         68
        .size:           12
        .value_kind:     by_value
      - .offset:         80
        .size:           4
        .value_kind:     by_value
      - .offset:         84
        .size:           4
        .value_kind:     by_value
      - .offset:         88
        .size:           4
        .value_kind:     by_value
      - .offset:         92
        .size:           12
        .value_kind:     by_value
      - .offset:         104
        .size:           4
        .value_kind:     by_value
      - .offset:         108
        .size:           4
        .value_kind:     by_value
      - .offset:         112
        .size:           4
        .value_kind:     by_value
      - .offset:         116
        .size:           12
        .value_kind:     by_value
      - .offset:         128
        .size:           4
        .value_kind:     by_value
      - .offset:         132
        .size:           4
        .value_kind:     by_value
      - .offset:         136
        .size:           4
        .value_kind:     by_value
      - .offset:         140
        .size:           4
        .value_kind:     by_value
    .group_segment_fixed_size: 0
    .kernarg_segment_align: 8
    .kernarg_segment_size: 144
    .language:       OpenCL C
    .language_version:
      - 2
      - 0
    .max_flat_workgroup_size: 64
    .name:           _ZL13mul_mat_vec_qIL9ggml_type2ELi6ELb0ELb0EEvPKvS2_PKi31ggml_cuda_mm_fusion_args_devicePfj15HIP_vector_typeIjLj3EEjjjS8_jjjS8_jjjj
    .private_segment_fixed_size: 0
    .sgpr_count:     30
    .sgpr_spill_count: 0
    .symbol:         _ZL13mul_mat_vec_qIL9ggml_type2ELi6ELb0ELb0EEvPKvS2_PKi31ggml_cuda_mm_fusion_args_devicePfj15HIP_vector_typeIjLj3EEjjjS8_jjjS8_jjjj.kd
    .uniform_work_group_size: 1
    .uses_dynamic_stack: false
    .vgpr_count:     40
    .vgpr_spill_count: 0
    .wavefront_size: 64
  - .args:
      - .address_space:  global
        .offset:         0
        .size:           8
        .value_kind:     global_buffer
      - .address_space:  global
        .offset:         8
        .size:           8
        .value_kind:     global_buffer
      - .address_space:  global
        .offset:         16
        .size:           8
        .value_kind:     global_buffer
      - .offset:         24
        .size:           32
        .value_kind:     by_value
      - .address_space:  global
        .offset:         56
        .size:           8
        .value_kind:     global_buffer
      - .offset:         64
        .size:           4
        .value_kind:     by_value
      - .offset:         68
        .size:           12
        .value_kind:     by_value
      - .offset:         80
        .size:           4
        .value_kind:     by_value
      - .offset:         84
        .size:           4
        .value_kind:     by_value
      - .offset:         88
        .size:           4
        .value_kind:     by_value
      - .offset:         92
        .size:           12
        .value_kind:     by_value
      - .offset:         104
        .size:           4
        .value_kind:     by_value
      - .offset:         108
        .size:           4
        .value_kind:     by_value
      - .offset:         112
        .size:           4
        .value_kind:     by_value
      - .offset:         116
        .size:           12
        .value_kind:     by_value
      - .offset:         128
        .size:           4
        .value_kind:     by_value
      - .offset:         132
        .size:           4
        .value_kind:     by_value
      - .offset:         136
        .size:           4
        .value_kind:     by_value
      - .offset:         140
        .size:           4
        .value_kind:     by_value
    .group_segment_fixed_size: 0
    .kernarg_segment_align: 8
    .kernarg_segment_size: 144
    .language:       OpenCL C
    .language_version:
      - 2
      - 0
    .max_flat_workgroup_size: 64
    .name:           _ZL13mul_mat_vec_qIL9ggml_type2ELi7ELb0ELb0EEvPKvS2_PKi31ggml_cuda_mm_fusion_args_devicePfj15HIP_vector_typeIjLj3EEjjjS8_jjjS8_jjjj
    .private_segment_fixed_size: 0
    .sgpr_count:     32
    .sgpr_spill_count: 0
    .symbol:         _ZL13mul_mat_vec_qIL9ggml_type2ELi7ELb0ELb0EEvPKvS2_PKi31ggml_cuda_mm_fusion_args_devicePfj15HIP_vector_typeIjLj3EEjjjS8_jjjS8_jjjj.kd
    .uniform_work_group_size: 1
    .uses_dynamic_stack: false
    .vgpr_count:     41
    .vgpr_spill_count: 0
    .wavefront_size: 64
  - .args:
      - .address_space:  global
        .offset:         0
        .size:           8
        .value_kind:     global_buffer
      - .address_space:  global
        .offset:         8
        .size:           8
        .value_kind:     global_buffer
      - .address_space:  global
        .offset:         16
        .size:           8
        .value_kind:     global_buffer
      - .offset:         24
        .size:           32
        .value_kind:     by_value
      - .address_space:  global
        .offset:         56
        .size:           8
        .value_kind:     global_buffer
      - .offset:         64
        .size:           4
        .value_kind:     by_value
      - .offset:         68
        .size:           12
        .value_kind:     by_value
      - .offset:         80
        .size:           4
        .value_kind:     by_value
      - .offset:         84
        .size:           4
        .value_kind:     by_value
      - .offset:         88
        .size:           4
        .value_kind:     by_value
      - .offset:         92
        .size:           12
        .value_kind:     by_value
      - .offset:         104
        .size:           4
        .value_kind:     by_value
      - .offset:         108
        .size:           4
        .value_kind:     by_value
      - .offset:         112
        .size:           4
        .value_kind:     by_value
      - .offset:         116
        .size:           12
        .value_kind:     by_value
      - .offset:         128
        .size:           4
        .value_kind:     by_value
      - .offset:         132
        .size:           4
        .value_kind:     by_value
      - .offset:         136
        .size:           4
        .value_kind:     by_value
      - .offset:         140
        .size:           4
        .value_kind:     by_value
    .group_segment_fixed_size: 0
    .kernarg_segment_align: 8
    .kernarg_segment_size: 144
    .language:       OpenCL C
    .language_version:
      - 2
      - 0
    .max_flat_workgroup_size: 64
    .name:           _ZL13mul_mat_vec_qIL9ggml_type2ELi8ELb0ELb0EEvPKvS2_PKi31ggml_cuda_mm_fusion_args_devicePfj15HIP_vector_typeIjLj3EEjjjS8_jjjS8_jjjj
    .private_segment_fixed_size: 0
    .sgpr_count:     32
    .sgpr_spill_count: 0
    .symbol:         _ZL13mul_mat_vec_qIL9ggml_type2ELi8ELb0ELb0EEvPKvS2_PKi31ggml_cuda_mm_fusion_args_devicePfj15HIP_vector_typeIjLj3EEjjjS8_jjjS8_jjjj.kd
    .uniform_work_group_size: 1
    .uses_dynamic_stack: false
    .vgpr_count:     43
    .vgpr_spill_count: 0
    .wavefront_size: 64
  - .args:
      - .address_space:  global
        .offset:         0
        .size:           8
        .value_kind:     global_buffer
      - .address_space:  global
        .offset:         8
        .size:           8
        .value_kind:     global_buffer
      - .address_space:  global
        .offset:         16
        .size:           8
        .value_kind:     global_buffer
      - .address_space:  global
        .offset:         24
        .size:           8
        .value_kind:     global_buffer
      - .offset:         32
        .size:           4
        .value_kind:     by_value
      - .offset:         36
        .size:           12
        .value_kind:     by_value
      - .offset:         48
        .size:           4
        .value_kind:     by_value
      - .offset:         52
        .size:           4
        .value_kind:     by_value
      - .offset:         56
        .size:           4
        .value_kind:     by_value
      - .offset:         60
        .size:           4
        .value_kind:     by_value
      - .offset:         64
        .size:           4
        .value_kind:     by_value
      - .offset:         68
        .size:           4
        .value_kind:     by_value
      - .offset:         72
        .size:           4
        .value_kind:     by_value
      - .offset:         76
        .size:           4
        .value_kind:     by_value
      - .offset:         80
        .size:           4
        .value_kind:     by_value
    .group_segment_fixed_size: 0
    .kernarg_segment_align: 8
    .kernarg_segment_size: 84
    .language:       OpenCL C
    .language_version:
      - 2
      - 0
    .max_flat_workgroup_size: 320
    .name:           _ZL17mul_mat_vec_q_moeIL9ggml_type3ELi2EEvPKvS2_PKiPfj15HIP_vector_typeIjLj3EEjjjjjjjjj
    .private_segment_fixed_size: 0
    .sgpr_count:     32
    .sgpr_spill_count: 0
    .symbol:         _ZL17mul_mat_vec_q_moeIL9ggml_type3ELi2EEvPKvS2_PKiPfj15HIP_vector_typeIjLj3EEjjjjjjjjj.kd
    .uniform_work_group_size: 1
    .uses_dynamic_stack: false
    .vgpr_count:     29
    .vgpr_spill_count: 0
    .wavefront_size: 64
  - .args:
      - .address_space:  global
        .offset:         0
        .size:           8
        .value_kind:     global_buffer
      - .address_space:  global
        .offset:         8
        .size:           8
        .value_kind:     global_buffer
      - .address_space:  global
        .offset:         16
        .size:           8
        .value_kind:     global_buffer
      - .offset:         24
        .size:           32
        .value_kind:     by_value
      - .address_space:  global
        .offset:         56
        .size:           8
        .value_kind:     global_buffer
      - .offset:         64
        .size:           4
        .value_kind:     by_value
      - .offset:         68
        .size:           12
        .value_kind:     by_value
      - .offset:         80
        .size:           4
        .value_kind:     by_value
      - .offset:         84
        .size:           4
        .value_kind:     by_value
      - .offset:         88
        .size:           4
        .value_kind:     by_value
      - .offset:         92
        .size:           12
        .value_kind:     by_value
      - .offset:         104
        .size:           4
        .value_kind:     by_value
      - .offset:         108
        .size:           4
        .value_kind:     by_value
      - .offset:         112
        .size:           4
        .value_kind:     by_value
      - .offset:         116
        .size:           12
        .value_kind:     by_value
      - .offset:         128
        .size:           4
        .value_kind:     by_value
      - .offset:         132
        .size:           4
        .value_kind:     by_value
      - .offset:         136
        .size:           4
        .value_kind:     by_value
      - .offset:         140
        .size:           4
        .value_kind:     by_value
    .group_segment_fixed_size: 1024
    .kernarg_segment_align: 8
    .kernarg_segment_size: 144
    .language:       OpenCL C
    .language_version:
      - 2
      - 0
    .max_flat_workgroup_size: 128
    .name:           _ZL13mul_mat_vec_qIL9ggml_type3ELi1ELb1ELb1EEvPKvS2_PKi31ggml_cuda_mm_fusion_args_devicePfj15HIP_vector_typeIjLj3EEjjjS8_jjjS8_jjjj
    .private_segment_fixed_size: 0
    .sgpr_count:     48
    .sgpr_spill_count: 0
    .symbol:         _ZL13mul_mat_vec_qIL9ggml_type3ELi1ELb1ELb1EEvPKvS2_PKi31ggml_cuda_mm_fusion_args_devicePfj15HIP_vector_typeIjLj3EEjjjS8_jjjS8_jjjj.kd
    .uniform_work_group_size: 1
    .uses_dynamic_stack: false
    .vgpr_count:     32
    .vgpr_spill_count: 0
    .wavefront_size: 64
  - .args:
      - .address_space:  global
        .offset:         0
        .size:           8
        .value_kind:     global_buffer
      - .address_space:  global
        .offset:         8
        .size:           8
        .value_kind:     global_buffer
      - .address_space:  global
        .offset:         16
        .size:           8
        .value_kind:     global_buffer
      - .offset:         24
        .size:           32
        .value_kind:     by_value
      - .address_space:  global
        .offset:         56
        .size:           8
        .value_kind:     global_buffer
      - .offset:         64
        .size:           4
        .value_kind:     by_value
      - .offset:         68
        .size:           12
        .value_kind:     by_value
      - .offset:         80
        .size:           4
        .value_kind:     by_value
      - .offset:         84
        .size:           4
        .value_kind:     by_value
      - .offset:         88
        .size:           4
        .value_kind:     by_value
      - .offset:         92
        .size:           12
        .value_kind:     by_value
      - .offset:         104
        .size:           4
        .value_kind:     by_value
      - .offset:         108
        .size:           4
        .value_kind:     by_value
      - .offset:         112
        .size:           4
        .value_kind:     by_value
      - .offset:         116
        .size:           12
        .value_kind:     by_value
      - .offset:         128
        .size:           4
        .value_kind:     by_value
      - .offset:         132
        .size:           4
        .value_kind:     by_value
      - .offset:         136
        .size:           4
        .value_kind:     by_value
      - .offset:         140
        .size:           4
        .value_kind:     by_value
    .group_segment_fixed_size: 512
    .kernarg_segment_align: 8
    .kernarg_segment_size: 144
    .language:       OpenCL C
    .language_version:
      - 2
      - 0
    .max_flat_workgroup_size: 128
    .name:           _ZL13mul_mat_vec_qIL9ggml_type3ELi1ELb0ELb1EEvPKvS2_PKi31ggml_cuda_mm_fusion_args_devicePfj15HIP_vector_typeIjLj3EEjjjS8_jjjS8_jjjj
    .private_segment_fixed_size: 0
    .sgpr_count:     28
    .sgpr_spill_count: 0
    .symbol:         _ZL13mul_mat_vec_qIL9ggml_type3ELi1ELb0ELb1EEvPKvS2_PKi31ggml_cuda_mm_fusion_args_devicePfj15HIP_vector_typeIjLj3EEjjjS8_jjjS8_jjjj.kd
    .uniform_work_group_size: 1
    .uses_dynamic_stack: false
    .vgpr_count:     21
    .vgpr_spill_count: 0
    .wavefront_size: 64
  - .args:
      - .address_space:  global
        .offset:         0
        .size:           8
        .value_kind:     global_buffer
      - .address_space:  global
        .offset:         8
        .size:           8
        .value_kind:     global_buffer
      - .address_space:  global
        .offset:         16
        .size:           8
        .value_kind:     global_buffer
      - .offset:         24
        .size:           32
        .value_kind:     by_value
      - .address_space:  global
        .offset:         56
        .size:           8
        .value_kind:     global_buffer
      - .offset:         64
        .size:           4
        .value_kind:     by_value
      - .offset:         68
        .size:           12
        .value_kind:     by_value
      - .offset:         80
        .size:           4
        .value_kind:     by_value
      - .offset:         84
        .size:           4
        .value_kind:     by_value
      - .offset:         88
        .size:           4
        .value_kind:     by_value
      - .offset:         92
        .size:           12
        .value_kind:     by_value
      - .offset:         104
        .size:           4
        .value_kind:     by_value
      - .offset:         108
        .size:           4
        .value_kind:     by_value
      - .offset:         112
        .size:           4
        .value_kind:     by_value
      - .offset:         116
        .size:           12
        .value_kind:     by_value
      - .offset:         128
        .size:           4
        .value_kind:     by_value
      - .offset:         132
        .size:           4
        .value_kind:     by_value
      - .offset:         136
        .size:           4
        .value_kind:     by_value
      - .offset:         140
        .size:           4
        .value_kind:     by_value
    .group_segment_fixed_size: 512
    .kernarg_segment_align: 8
    .kernarg_segment_size: 144
    .language:       OpenCL C
    .language_version:
      - 2
      - 0
    .max_flat_workgroup_size: 128
    .name:           _ZL13mul_mat_vec_qIL9ggml_type3ELi1ELb1ELb0EEvPKvS2_PKi31ggml_cuda_mm_fusion_args_devicePfj15HIP_vector_typeIjLj3EEjjjS8_jjjS8_jjjj
    .private_segment_fixed_size: 0
    .sgpr_count:     48
    .sgpr_spill_count: 0
    .symbol:         _ZL13mul_mat_vec_qIL9ggml_type3ELi1ELb1ELb0EEvPKvS2_PKi31ggml_cuda_mm_fusion_args_devicePfj15HIP_vector_typeIjLj3EEjjjS8_jjjS8_jjjj.kd
    .uniform_work_group_size: 1
    .uses_dynamic_stack: false
    .vgpr_count:     27
    .vgpr_spill_count: 0
    .wavefront_size: 64
  - .args:
      - .address_space:  global
        .offset:         0
        .size:           8
        .value_kind:     global_buffer
      - .address_space:  global
        .offset:         8
        .size:           8
        .value_kind:     global_buffer
      - .address_space:  global
        .offset:         16
        .size:           8
        .value_kind:     global_buffer
      - .offset:         24
        .size:           32
        .value_kind:     by_value
      - .address_space:  global
        .offset:         56
        .size:           8
        .value_kind:     global_buffer
      - .offset:         64
        .size:           4
        .value_kind:     by_value
      - .offset:         68
        .size:           12
        .value_kind:     by_value
      - .offset:         80
        .size:           4
        .value_kind:     by_value
      - .offset:         84
        .size:           4
        .value_kind:     by_value
      - .offset:         88
        .size:           4
        .value_kind:     by_value
      - .offset:         92
        .size:           12
        .value_kind:     by_value
      - .offset:         104
        .size:           4
        .value_kind:     by_value
      - .offset:         108
        .size:           4
        .value_kind:     by_value
      - .offset:         112
        .size:           4
        .value_kind:     by_value
      - .offset:         116
        .size:           12
        .value_kind:     by_value
      - .offset:         128
        .size:           4
        .value_kind:     by_value
      - .offset:         132
        .size:           4
        .value_kind:     by_value
      - .offset:         136
        .size:           4
        .value_kind:     by_value
      - .offset:         140
        .size:           4
        .value_kind:     by_value
    .group_segment_fixed_size: 256
    .kernarg_segment_align: 8
    .kernarg_segment_size: 144
    .language:       OpenCL C
    .language_version:
      - 2
      - 0
    .max_flat_workgroup_size: 128
    .name:           _ZL13mul_mat_vec_qIL9ggml_type3ELi1ELb0ELb0EEvPKvS2_PKi31ggml_cuda_mm_fusion_args_devicePfj15HIP_vector_typeIjLj3EEjjjS8_jjjS8_jjjj
    .private_segment_fixed_size: 0
    .sgpr_count:     28
    .sgpr_spill_count: 0
    .symbol:         _ZL13mul_mat_vec_qIL9ggml_type3ELi1ELb0ELb0EEvPKvS2_PKi31ggml_cuda_mm_fusion_args_devicePfj15HIP_vector_typeIjLj3EEjjjS8_jjjS8_jjjj.kd
    .uniform_work_group_size: 1
    .uses_dynamic_stack: false
    .vgpr_count:     20
    .vgpr_spill_count: 0
    .wavefront_size: 64
  - .args:
      - .address_space:  global
        .offset:         0
        .size:           8
        .value_kind:     global_buffer
      - .address_space:  global
        .offset:         8
        .size:           8
        .value_kind:     global_buffer
      - .address_space:  global
        .offset:         16
        .size:           8
        .value_kind:     global_buffer
      - .offset:         24
        .size:           32
        .value_kind:     by_value
      - .address_space:  global
        .offset:         56
        .size:           8
        .value_kind:     global_buffer
      - .offset:         64
        .size:           4
        .value_kind:     by_value
      - .offset:         68
        .size:           12
        .value_kind:     by_value
      - .offset:         80
        .size:           4
        .value_kind:     by_value
      - .offset:         84
        .size:           4
        .value_kind:     by_value
      - .offset:         88
        .size:           4
        .value_kind:     by_value
      - .offset:         92
        .size:           12
        .value_kind:     by_value
      - .offset:         104
        .size:           4
        .value_kind:     by_value
      - .offset:         108
        .size:           4
        .value_kind:     by_value
      - .offset:         112
        .size:           4
        .value_kind:     by_value
      - .offset:         116
        .size:           12
        .value_kind:     by_value
      - .offset:         128
        .size:           4
        .value_kind:     by_value
      - .offset:         132
        .size:           4
        .value_kind:     by_value
      - .offset:         136
        .size:           4
        .value_kind:     by_value
      - .offset:         140
        .size:           4
        .value_kind:     by_value
    .group_segment_fixed_size: 1024
    .kernarg_segment_align: 8
    .kernarg_segment_size: 144
    .language:       OpenCL C
    .language_version:
      - 2
      - 0
    .max_flat_workgroup_size: 128
    .name:           _ZL13mul_mat_vec_qIL9ggml_type3ELi2ELb0ELb0EEvPKvS2_PKi31ggml_cuda_mm_fusion_args_devicePfj15HIP_vector_typeIjLj3EEjjjS8_jjjS8_jjjj
    .private_segment_fixed_size: 0
    .sgpr_count:     30
    .sgpr_spill_count: 0
    .symbol:         _ZL13mul_mat_vec_qIL9ggml_type3ELi2ELb0ELb0EEvPKvS2_PKi31ggml_cuda_mm_fusion_args_devicePfj15HIP_vector_typeIjLj3EEjjjS8_jjjS8_jjjj.kd
    .uniform_work_group_size: 1
    .uses_dynamic_stack: false
    .vgpr_count:     31
    .vgpr_spill_count: 0
    .wavefront_size: 64
  - .args:
      - .address_space:  global
        .offset:         0
        .size:           8
        .value_kind:     global_buffer
      - .address_space:  global
        .offset:         8
        .size:           8
        .value_kind:     global_buffer
      - .address_space:  global
        .offset:         16
        .size:           8
        .value_kind:     global_buffer
      - .offset:         24
        .size:           32
        .value_kind:     by_value
      - .address_space:  global
        .offset:         56
        .size:           8
        .value_kind:     global_buffer
      - .offset:         64
        .size:           4
        .value_kind:     by_value
      - .offset:         68
        .size:           12
        .value_kind:     by_value
      - .offset:         80
        .size:           4
        .value_kind:     by_value
      - .offset:         84
        .size:           4
        .value_kind:     by_value
      - .offset:         88
        .size:           4
        .value_kind:     by_value
      - .offset:         92
        .size:           12
        .value_kind:     by_value
      - .offset:         104
        .size:           4
        .value_kind:     by_value
      - .offset:         108
        .size:           4
        .value_kind:     by_value
      - .offset:         112
        .size:           4
        .value_kind:     by_value
      - .offset:         116
        .size:           12
        .value_kind:     by_value
      - .offset:         128
        .size:           4
        .value_kind:     by_value
      - .offset:         132
        .size:           4
        .value_kind:     by_value
      - .offset:         136
        .size:           4
        .value_kind:     by_value
      - .offset:         140
        .size:           4
        .value_kind:     by_value
    .group_segment_fixed_size: 1536
    .kernarg_segment_align: 8
    .kernarg_segment_size: 144
    .language:       OpenCL C
    .language_version:
      - 2
      - 0
    .max_flat_workgroup_size: 128
    .name:           _ZL13mul_mat_vec_qIL9ggml_type3ELi3ELb0ELb0EEvPKvS2_PKi31ggml_cuda_mm_fusion_args_devicePfj15HIP_vector_typeIjLj3EEjjjS8_jjjS8_jjjj
    .private_segment_fixed_size: 0
    .sgpr_count:     30
    .sgpr_spill_count: 0
    .symbol:         _ZL13mul_mat_vec_qIL9ggml_type3ELi3ELb0ELb0EEvPKvS2_PKi31ggml_cuda_mm_fusion_args_devicePfj15HIP_vector_typeIjLj3EEjjjS8_jjjS8_jjjj.kd
    .uniform_work_group_size: 1
    .uses_dynamic_stack: false
    .vgpr_count:     32
    .vgpr_spill_count: 0
    .wavefront_size: 64
  - .args:
      - .address_space:  global
        .offset:         0
        .size:           8
        .value_kind:     global_buffer
      - .address_space:  global
        .offset:         8
        .size:           8
        .value_kind:     global_buffer
      - .address_space:  global
        .offset:         16
        .size:           8
        .value_kind:     global_buffer
      - .offset:         24
        .size:           32
        .value_kind:     by_value
      - .address_space:  global
        .offset:         56
        .size:           8
        .value_kind:     global_buffer
      - .offset:         64
        .size:           4
        .value_kind:     by_value
      - .offset:         68
        .size:           12
        .value_kind:     by_value
      - .offset:         80
        .size:           4
        .value_kind:     by_value
      - .offset:         84
        .size:           4
        .value_kind:     by_value
      - .offset:         88
        .size:           4
        .value_kind:     by_value
      - .offset:         92
        .size:           12
        .value_kind:     by_value
      - .offset:         104
        .size:           4
        .value_kind:     by_value
      - .offset:         108
        .size:           4
        .value_kind:     by_value
      - .offset:         112
        .size:           4
        .value_kind:     by_value
      - .offset:         116
        .size:           12
        .value_kind:     by_value
      - .offset:         128
        .size:           4
        .value_kind:     by_value
      - .offset:         132
        .size:           4
        .value_kind:     by_value
      - .offset:         136
        .size:           4
        .value_kind:     by_value
      - .offset:         140
        .size:           4
        .value_kind:     by_value
    .group_segment_fixed_size: 2048
    .kernarg_segment_align: 8
    .kernarg_segment_size: 144
    .language:       OpenCL C
    .language_version:
      - 2
      - 0
    .max_flat_workgroup_size: 128
    .name:           _ZL13mul_mat_vec_qIL9ggml_type3ELi4ELb0ELb0EEvPKvS2_PKi31ggml_cuda_mm_fusion_args_devicePfj15HIP_vector_typeIjLj3EEjjjS8_jjjS8_jjjj
    .private_segment_fixed_size: 0
    .sgpr_count:     30
    .sgpr_spill_count: 0
    .symbol:         _ZL13mul_mat_vec_qIL9ggml_type3ELi4ELb0ELb0EEvPKvS2_PKi31ggml_cuda_mm_fusion_args_devicePfj15HIP_vector_typeIjLj3EEjjjS8_jjjS8_jjjj.kd
    .uniform_work_group_size: 1
    .uses_dynamic_stack: false
    .vgpr_count:     34
    .vgpr_spill_count: 0
    .wavefront_size: 64
  - .args:
      - .address_space:  global
        .offset:         0
        .size:           8
        .value_kind:     global_buffer
      - .address_space:  global
        .offset:         8
        .size:           8
        .value_kind:     global_buffer
      - .address_space:  global
        .offset:         16
        .size:           8
        .value_kind:     global_buffer
      - .offset:         24
        .size:           32
        .value_kind:     by_value
      - .address_space:  global
        .offset:         56
        .size:           8
        .value_kind:     global_buffer
      - .offset:         64
        .size:           4
        .value_kind:     by_value
      - .offset:         68
        .size:           12
        .value_kind:     by_value
      - .offset:         80
        .size:           4
        .value_kind:     by_value
      - .offset:         84
        .size:           4
        .value_kind:     by_value
      - .offset:         88
        .size:           4
        .value_kind:     by_value
      - .offset:         92
        .size:           12
        .value_kind:     by_value
      - .offset:         104
        .size:           4
        .value_kind:     by_value
      - .offset:         108
        .size:           4
        .value_kind:     by_value
      - .offset:         112
        .size:           4
        .value_kind:     by_value
      - .offset:         116
        .size:           12
        .value_kind:     by_value
      - .offset:         128
        .size:           4
        .value_kind:     by_value
      - .offset:         132
        .size:           4
        .value_kind:     by_value
      - .offset:         136
        .size:           4
        .value_kind:     by_value
      - .offset:         140
        .size:           4
        .value_kind:     by_value
    .group_segment_fixed_size: 0
    .kernarg_segment_align: 8
    .kernarg_segment_size: 144
    .language:       OpenCL C
    .language_version:
      - 2
      - 0
    .max_flat_workgroup_size: 64
    .name:           _ZL13mul_mat_vec_qIL9ggml_type3ELi5ELb0ELb0EEvPKvS2_PKi31ggml_cuda_mm_fusion_args_devicePfj15HIP_vector_typeIjLj3EEjjjS8_jjjS8_jjjj
    .private_segment_fixed_size: 0
    .sgpr_count:     30
    .sgpr_spill_count: 0
    .symbol:         _ZL13mul_mat_vec_qIL9ggml_type3ELi5ELb0ELb0EEvPKvS2_PKi31ggml_cuda_mm_fusion_args_devicePfj15HIP_vector_typeIjLj3EEjjjS8_jjjS8_jjjj.kd
    .uniform_work_group_size: 1
    .uses_dynamic_stack: false
    .vgpr_count:     36
    .vgpr_spill_count: 0
    .wavefront_size: 64
  - .args:
      - .address_space:  global
        .offset:         0
        .size:           8
        .value_kind:     global_buffer
      - .address_space:  global
        .offset:         8
        .size:           8
        .value_kind:     global_buffer
      - .address_space:  global
        .offset:         16
        .size:           8
        .value_kind:     global_buffer
      - .offset:         24
        .size:           32
        .value_kind:     by_value
      - .address_space:  global
        .offset:         56
        .size:           8
        .value_kind:     global_buffer
      - .offset:         64
        .size:           4
        .value_kind:     by_value
      - .offset:         68
        .size:           12
        .value_kind:     by_value
      - .offset:         80
        .size:           4
        .value_kind:     by_value
      - .offset:         84
        .size:           4
        .value_kind:     by_value
      - .offset:         88
        .size:           4
        .value_kind:     by_value
      - .offset:         92
        .size:           12
        .value_kind:     by_value
      - .offset:         104
        .size:           4
        .value_kind:     by_value
      - .offset:         108
        .size:           4
        .value_kind:     by_value
      - .offset:         112
        .size:           4
        .value_kind:     by_value
      - .offset:         116
        .size:           12
        .value_kind:     by_value
      - .offset:         128
        .size:           4
        .value_kind:     by_value
      - .offset:         132
        .size:           4
        .value_kind:     by_value
      - .offset:         136
        .size:           4
        .value_kind:     by_value
      - .offset:         140
        .size:           4
        .value_kind:     by_value
    .group_segment_fixed_size: 0
    .kernarg_segment_align: 8
    .kernarg_segment_size: 144
    .language:       OpenCL C
    .language_version:
      - 2
      - 0
    .max_flat_workgroup_size: 64
    .name:           _ZL13mul_mat_vec_qIL9ggml_type3ELi6ELb0ELb0EEvPKvS2_PKi31ggml_cuda_mm_fusion_args_devicePfj15HIP_vector_typeIjLj3EEjjjS8_jjjS8_jjjj
    .private_segment_fixed_size: 0
    .sgpr_count:     30
    .sgpr_spill_count: 0
    .symbol:         _ZL13mul_mat_vec_qIL9ggml_type3ELi6ELb0ELb0EEvPKvS2_PKi31ggml_cuda_mm_fusion_args_devicePfj15HIP_vector_typeIjLj3EEjjjS8_jjjS8_jjjj.kd
    .uniform_work_group_size: 1
    .uses_dynamic_stack: false
    .vgpr_count:     38
    .vgpr_spill_count: 0
    .wavefront_size: 64
  - .args:
      - .address_space:  global
        .offset:         0
        .size:           8
        .value_kind:     global_buffer
      - .address_space:  global
        .offset:         8
        .size:           8
        .value_kind:     global_buffer
      - .address_space:  global
        .offset:         16
        .size:           8
        .value_kind:     global_buffer
      - .offset:         24
        .size:           32
        .value_kind:     by_value
      - .address_space:  global
        .offset:         56
        .size:           8
        .value_kind:     global_buffer
      - .offset:         64
        .size:           4
        .value_kind:     by_value
      - .offset:         68
        .size:           12
        .value_kind:     by_value
      - .offset:         80
        .size:           4
        .value_kind:     by_value
      - .offset:         84
        .size:           4
        .value_kind:     by_value
      - .offset:         88
        .size:           4
        .value_kind:     by_value
      - .offset:         92
        .size:           12
        .value_kind:     by_value
      - .offset:         104
        .size:           4
        .value_kind:     by_value
      - .offset:         108
        .size:           4
        .value_kind:     by_value
      - .offset:         112
        .size:           4
        .value_kind:     by_value
      - .offset:         116
        .size:           12
        .value_kind:     by_value
      - .offset:         128
        .size:           4
        .value_kind:     by_value
      - .offset:         132
        .size:           4
        .value_kind:     by_value
      - .offset:         136
        .size:           4
        .value_kind:     by_value
      - .offset:         140
        .size:           4
        .value_kind:     by_value
    .group_segment_fixed_size: 0
    .kernarg_segment_align: 8
    .kernarg_segment_size: 144
    .language:       OpenCL C
    .language_version:
      - 2
      - 0
    .max_flat_workgroup_size: 64
    .name:           _ZL13mul_mat_vec_qIL9ggml_type3ELi7ELb0ELb0EEvPKvS2_PKi31ggml_cuda_mm_fusion_args_devicePfj15HIP_vector_typeIjLj3EEjjjS8_jjjS8_jjjj
    .private_segment_fixed_size: 0
    .sgpr_count:     32
    .sgpr_spill_count: 0
    .symbol:         _ZL13mul_mat_vec_qIL9ggml_type3ELi7ELb0ELb0EEvPKvS2_PKi31ggml_cuda_mm_fusion_args_devicePfj15HIP_vector_typeIjLj3EEjjjS8_jjjS8_jjjj.kd
    .uniform_work_group_size: 1
    .uses_dynamic_stack: false
    .vgpr_count:     40
    .vgpr_spill_count: 0
    .wavefront_size: 64
  - .args:
      - .address_space:  global
        .offset:         0
        .size:           8
        .value_kind:     global_buffer
      - .address_space:  global
        .offset:         8
        .size:           8
        .value_kind:     global_buffer
      - .address_space:  global
        .offset:         16
        .size:           8
        .value_kind:     global_buffer
      - .offset:         24
        .size:           32
        .value_kind:     by_value
      - .address_space:  global
        .offset:         56
        .size:           8
        .value_kind:     global_buffer
      - .offset:         64
        .size:           4
        .value_kind:     by_value
      - .offset:         68
        .size:           12
        .value_kind:     by_value
      - .offset:         80
        .size:           4
        .value_kind:     by_value
      - .offset:         84
        .size:           4
        .value_kind:     by_value
      - .offset:         88
        .size:           4
        .value_kind:     by_value
      - .offset:         92
        .size:           12
        .value_kind:     by_value
      - .offset:         104
        .size:           4
        .value_kind:     by_value
      - .offset:         108
        .size:           4
        .value_kind:     by_value
      - .offset:         112
        .size:           4
        .value_kind:     by_value
      - .offset:         116
        .size:           12
        .value_kind:     by_value
      - .offset:         128
        .size:           4
        .value_kind:     by_value
      - .offset:         132
        .size:           4
        .value_kind:     by_value
      - .offset:         136
        .size:           4
        .value_kind:     by_value
      - .offset:         140
        .size:           4
        .value_kind:     by_value
    .group_segment_fixed_size: 0
    .kernarg_segment_align: 8
    .kernarg_segment_size: 144
    .language:       OpenCL C
    .language_version:
      - 2
      - 0
    .max_flat_workgroup_size: 64
    .name:           _ZL13mul_mat_vec_qIL9ggml_type3ELi8ELb0ELb0EEvPKvS2_PKi31ggml_cuda_mm_fusion_args_devicePfj15HIP_vector_typeIjLj3EEjjjS8_jjjS8_jjjj
    .private_segment_fixed_size: 0
    .sgpr_count:     32
    .sgpr_spill_count: 0
    .symbol:         _ZL13mul_mat_vec_qIL9ggml_type3ELi8ELb0ELb0EEvPKvS2_PKi31ggml_cuda_mm_fusion_args_devicePfj15HIP_vector_typeIjLj3EEjjjS8_jjjS8_jjjj.kd
    .uniform_work_group_size: 1
    .uses_dynamic_stack: false
    .vgpr_count:     42
    .vgpr_spill_count: 0
    .wavefront_size: 64
  - .args:
      - .address_space:  global
        .offset:         0
        .size:           8
        .value_kind:     global_buffer
      - .address_space:  global
        .offset:         8
        .size:           8
        .value_kind:     global_buffer
      - .address_space:  global
        .offset:         16
        .size:           8
        .value_kind:     global_buffer
      - .address_space:  global
        .offset:         24
        .size:           8
        .value_kind:     global_buffer
      - .offset:         32
        .size:           4
        .value_kind:     by_value
      - .offset:         36
        .size:           12
        .value_kind:     by_value
      - .offset:         48
        .size:           4
        .value_kind:     by_value
      - .offset:         52
        .size:           4
        .value_kind:     by_value
      - .offset:         56
        .size:           4
        .value_kind:     by_value
      - .offset:         60
        .size:           4
        .value_kind:     by_value
      - .offset:         64
        .size:           4
        .value_kind:     by_value
      - .offset:         68
        .size:           4
        .value_kind:     by_value
      - .offset:         72
        .size:           4
        .value_kind:     by_value
      - .offset:         76
        .size:           4
        .value_kind:     by_value
      - .offset:         80
        .size:           4
        .value_kind:     by_value
    .group_segment_fixed_size: 0
    .kernarg_segment_align: 8
    .kernarg_segment_size: 84
    .language:       OpenCL C
    .language_version:
      - 2
      - 0
    .max_flat_workgroup_size: 512
    .name:           _ZL17mul_mat_vec_q_moeIL9ggml_type6ELi2EEvPKvS2_PKiPfj15HIP_vector_typeIjLj3EEjjjjjjjjj
    .private_segment_fixed_size: 0
    .sgpr_count:     30
    .sgpr_spill_count: 0
    .symbol:         _ZL17mul_mat_vec_q_moeIL9ggml_type6ELi2EEvPKvS2_PKiPfj15HIP_vector_typeIjLj3EEjjjjjjjjj.kd
    .uniform_work_group_size: 1
    .uses_dynamic_stack: false
    .vgpr_count:     35
    .vgpr_spill_count: 0
    .wavefront_size: 64
  - .args:
      - .address_space:  global
        .offset:         0
        .size:           8
        .value_kind:     global_buffer
      - .address_space:  global
        .offset:         8
        .size:           8
        .value_kind:     global_buffer
      - .address_space:  global
        .offset:         16
        .size:           8
        .value_kind:     global_buffer
      - .offset:         24
        .size:           32
        .value_kind:     by_value
      - .address_space:  global
        .offset:         56
        .size:           8
        .value_kind:     global_buffer
      - .offset:         64
        .size:           4
        .value_kind:     by_value
      - .offset:         68
        .size:           12
        .value_kind:     by_value
      - .offset:         80
        .size:           4
        .value_kind:     by_value
      - .offset:         84
        .size:           4
        .value_kind:     by_value
      - .offset:         88
        .size:           4
        .value_kind:     by_value
      - .offset:         92
        .size:           12
        .value_kind:     by_value
      - .offset:         104
        .size:           4
        .value_kind:     by_value
      - .offset:         108
        .size:           4
        .value_kind:     by_value
      - .offset:         112
        .size:           4
        .value_kind:     by_value
      - .offset:         116
        .size:           12
        .value_kind:     by_value
      - .offset:         128
        .size:           4
        .value_kind:     by_value
      - .offset:         132
        .size:           4
        .value_kind:     by_value
      - .offset:         136
        .size:           4
        .value_kind:     by_value
      - .offset:         140
        .size:           4
        .value_kind:     by_value
    .group_segment_fixed_size: 1024
    .kernarg_segment_align: 8
    .kernarg_segment_size: 144
    .language:       OpenCL C
    .language_version:
      - 2
      - 0
    .max_flat_workgroup_size: 128
    .name:           _ZL13mul_mat_vec_qIL9ggml_type6ELi1ELb1ELb1EEvPKvS2_PKi31ggml_cuda_mm_fusion_args_devicePfj15HIP_vector_typeIjLj3EEjjjS8_jjjS8_jjjj
    .private_segment_fixed_size: 0
    .sgpr_count:     48
    .sgpr_spill_count: 0
    .symbol:         _ZL13mul_mat_vec_qIL9ggml_type6ELi1ELb1ELb1EEvPKvS2_PKi31ggml_cuda_mm_fusion_args_devicePfj15HIP_vector_typeIjLj3EEjjjS8_jjjS8_jjjj.kd
    .uniform_work_group_size: 1
    .uses_dynamic_stack: false
    .vgpr_count:     40
    .vgpr_spill_count: 0
    .wavefront_size: 64
  - .args:
      - .address_space:  global
        .offset:         0
        .size:           8
        .value_kind:     global_buffer
      - .address_space:  global
        .offset:         8
        .size:           8
        .value_kind:     global_buffer
      - .address_space:  global
        .offset:         16
        .size:           8
        .value_kind:     global_buffer
      - .offset:         24
        .size:           32
        .value_kind:     by_value
      - .address_space:  global
        .offset:         56
        .size:           8
        .value_kind:     global_buffer
      - .offset:         64
        .size:           4
        .value_kind:     by_value
      - .offset:         68
        .size:           12
        .value_kind:     by_value
      - .offset:         80
        .size:           4
        .value_kind:     by_value
      - .offset:         84
        .size:           4
        .value_kind:     by_value
      - .offset:         88
        .size:           4
        .value_kind:     by_value
      - .offset:         92
        .size:           12
        .value_kind:     by_value
      - .offset:         104
        .size:           4
        .value_kind:     by_value
      - .offset:         108
        .size:           4
        .value_kind:     by_value
      - .offset:         112
        .size:           4
        .value_kind:     by_value
      - .offset:         116
        .size:           12
        .value_kind:     by_value
      - .offset:         128
        .size:           4
        .value_kind:     by_value
      - .offset:         132
        .size:           4
        .value_kind:     by_value
      - .offset:         136
        .size:           4
        .value_kind:     by_value
      - .offset:         140
        .size:           4
        .value_kind:     by_value
    .group_segment_fixed_size: 512
    .kernarg_segment_align: 8
    .kernarg_segment_size: 144
    .language:       OpenCL C
    .language_version:
      - 2
      - 0
    .max_flat_workgroup_size: 128
    .name:           _ZL13mul_mat_vec_qIL9ggml_type6ELi1ELb0ELb1EEvPKvS2_PKi31ggml_cuda_mm_fusion_args_devicePfj15HIP_vector_typeIjLj3EEjjjS8_jjjS8_jjjj
    .private_segment_fixed_size: 0
    .sgpr_count:     28
    .sgpr_spill_count: 0
    .symbol:         _ZL13mul_mat_vec_qIL9ggml_type6ELi1ELb0ELb1EEvPKvS2_PKi31ggml_cuda_mm_fusion_args_devicePfj15HIP_vector_typeIjLj3EEjjjS8_jjjS8_jjjj.kd
    .uniform_work_group_size: 1
    .uses_dynamic_stack: false
    .vgpr_count:     26
    .vgpr_spill_count: 0
    .wavefront_size: 64
  - .args:
      - .address_space:  global
        .offset:         0
        .size:           8
        .value_kind:     global_buffer
      - .address_space:  global
        .offset:         8
        .size:           8
        .value_kind:     global_buffer
      - .address_space:  global
        .offset:         16
        .size:           8
        .value_kind:     global_buffer
      - .offset:         24
        .size:           32
        .value_kind:     by_value
      - .address_space:  global
        .offset:         56
        .size:           8
        .value_kind:     global_buffer
      - .offset:         64
        .size:           4
        .value_kind:     by_value
      - .offset:         68
        .size:           12
        .value_kind:     by_value
      - .offset:         80
        .size:           4
        .value_kind:     by_value
      - .offset:         84
        .size:           4
        .value_kind:     by_value
      - .offset:         88
        .size:           4
        .value_kind:     by_value
      - .offset:         92
        .size:           12
        .value_kind:     by_value
      - .offset:         104
        .size:           4
        .value_kind:     by_value
      - .offset:         108
        .size:           4
        .value_kind:     by_value
      - .offset:         112
        .size:           4
        .value_kind:     by_value
      - .offset:         116
        .size:           12
        .value_kind:     by_value
      - .offset:         128
        .size:           4
        .value_kind:     by_value
      - .offset:         132
        .size:           4
        .value_kind:     by_value
      - .offset:         136
        .size:           4
        .value_kind:     by_value
      - .offset:         140
        .size:           4
        .value_kind:     by_value
    .group_segment_fixed_size: 512
    .kernarg_segment_align: 8
    .kernarg_segment_size: 144
    .language:       OpenCL C
    .language_version:
      - 2
      - 0
    .max_flat_workgroup_size: 128
    .name:           _ZL13mul_mat_vec_qIL9ggml_type6ELi1ELb1ELb0EEvPKvS2_PKi31ggml_cuda_mm_fusion_args_devicePfj15HIP_vector_typeIjLj3EEjjjS8_jjjS8_jjjj
    .private_segment_fixed_size: 0
    .sgpr_count:     48
    .sgpr_spill_count: 0
    .symbol:         _ZL13mul_mat_vec_qIL9ggml_type6ELi1ELb1ELb0EEvPKvS2_PKi31ggml_cuda_mm_fusion_args_devicePfj15HIP_vector_typeIjLj3EEjjjS8_jjjS8_jjjj.kd
    .uniform_work_group_size: 1
    .uses_dynamic_stack: false
    .vgpr_count:     35
    .vgpr_spill_count: 0
    .wavefront_size: 64
  - .args:
      - .address_space:  global
        .offset:         0
        .size:           8
        .value_kind:     global_buffer
      - .address_space:  global
        .offset:         8
        .size:           8
        .value_kind:     global_buffer
      - .address_space:  global
        .offset:         16
        .size:           8
        .value_kind:     global_buffer
      - .offset:         24
        .size:           32
        .value_kind:     by_value
      - .address_space:  global
        .offset:         56
        .size:           8
        .value_kind:     global_buffer
      - .offset:         64
        .size:           4
        .value_kind:     by_value
      - .offset:         68
        .size:           12
        .value_kind:     by_value
      - .offset:         80
        .size:           4
        .value_kind:     by_value
      - .offset:         84
        .size:           4
        .value_kind:     by_value
      - .offset:         88
        .size:           4
        .value_kind:     by_value
      - .offset:         92
        .size:           12
        .value_kind:     by_value
      - .offset:         104
        .size:           4
        .value_kind:     by_value
      - .offset:         108
        .size:           4
        .value_kind:     by_value
      - .offset:         112
        .size:           4
        .value_kind:     by_value
      - .offset:         116
        .size:           12
        .value_kind:     by_value
      - .offset:         128
        .size:           4
        .value_kind:     by_value
      - .offset:         132
        .size:           4
        .value_kind:     by_value
      - .offset:         136
        .size:           4
        .value_kind:     by_value
      - .offset:         140
        .size:           4
        .value_kind:     by_value
    .group_segment_fixed_size: 256
    .kernarg_segment_align: 8
    .kernarg_segment_size: 144
    .language:       OpenCL C
    .language_version:
      - 2
      - 0
    .max_flat_workgroup_size: 128
    .name:           _ZL13mul_mat_vec_qIL9ggml_type6ELi1ELb0ELb0EEvPKvS2_PKi31ggml_cuda_mm_fusion_args_devicePfj15HIP_vector_typeIjLj3EEjjjS8_jjjS8_jjjj
    .private_segment_fixed_size: 0
    .sgpr_count:     28
    .sgpr_spill_count: 0
    .symbol:         _ZL13mul_mat_vec_qIL9ggml_type6ELi1ELb0ELb0EEvPKvS2_PKi31ggml_cuda_mm_fusion_args_devicePfj15HIP_vector_typeIjLj3EEjjjS8_jjjS8_jjjj.kd
    .uniform_work_group_size: 1
    .uses_dynamic_stack: false
    .vgpr_count:     23
    .vgpr_spill_count: 0
    .wavefront_size: 64
  - .args:
      - .address_space:  global
        .offset:         0
        .size:           8
        .value_kind:     global_buffer
      - .address_space:  global
        .offset:         8
        .size:           8
        .value_kind:     global_buffer
      - .address_space:  global
        .offset:         16
        .size:           8
        .value_kind:     global_buffer
      - .offset:         24
        .size:           32
        .value_kind:     by_value
      - .address_space:  global
        .offset:         56
        .size:           8
        .value_kind:     global_buffer
      - .offset:         64
        .size:           4
        .value_kind:     by_value
      - .offset:         68
        .size:           12
        .value_kind:     by_value
      - .offset:         80
        .size:           4
        .value_kind:     by_value
      - .offset:         84
        .size:           4
        .value_kind:     by_value
      - .offset:         88
        .size:           4
        .value_kind:     by_value
      - .offset:         92
        .size:           12
        .value_kind:     by_value
      - .offset:         104
        .size:           4
        .value_kind:     by_value
      - .offset:         108
        .size:           4
        .value_kind:     by_value
      - .offset:         112
        .size:           4
        .value_kind:     by_value
      - .offset:         116
        .size:           12
        .value_kind:     by_value
      - .offset:         128
        .size:           4
        .value_kind:     by_value
      - .offset:         132
        .size:           4
        .value_kind:     by_value
      - .offset:         136
        .size:           4
        .value_kind:     by_value
      - .offset:         140
        .size:           4
        .value_kind:     by_value
    .group_segment_fixed_size: 1024
    .kernarg_segment_align: 8
    .kernarg_segment_size: 144
    .language:       OpenCL C
    .language_version:
      - 2
      - 0
    .max_flat_workgroup_size: 128
    .name:           _ZL13mul_mat_vec_qIL9ggml_type6ELi2ELb0ELb0EEvPKvS2_PKi31ggml_cuda_mm_fusion_args_devicePfj15HIP_vector_typeIjLj3EEjjjS8_jjjS8_jjjj
    .private_segment_fixed_size: 0
    .sgpr_count:     30
    .sgpr_spill_count: 0
    .symbol:         _ZL13mul_mat_vec_qIL9ggml_type6ELi2ELb0ELb0EEvPKvS2_PKi31ggml_cuda_mm_fusion_args_devicePfj15HIP_vector_typeIjLj3EEjjjS8_jjjS8_jjjj.kd
    .uniform_work_group_size: 1
    .uses_dynamic_stack: false
    .vgpr_count:     36
    .vgpr_spill_count: 0
    .wavefront_size: 64
  - .args:
      - .address_space:  global
        .offset:         0
        .size:           8
        .value_kind:     global_buffer
      - .address_space:  global
        .offset:         8
        .size:           8
        .value_kind:     global_buffer
      - .address_space:  global
        .offset:         16
        .size:           8
        .value_kind:     global_buffer
      - .offset:         24
        .size:           32
        .value_kind:     by_value
      - .address_space:  global
        .offset:         56
        .size:           8
        .value_kind:     global_buffer
      - .offset:         64
        .size:           4
        .value_kind:     by_value
      - .offset:         68
        .size:           12
        .value_kind:     by_value
      - .offset:         80
        .size:           4
        .value_kind:     by_value
      - .offset:         84
        .size:           4
        .value_kind:     by_value
      - .offset:         88
        .size:           4
        .value_kind:     by_value
      - .offset:         92
        .size:           12
        .value_kind:     by_value
      - .offset:         104
        .size:           4
        .value_kind:     by_value
      - .offset:         108
        .size:           4
        .value_kind:     by_value
      - .offset:         112
        .size:           4
        .value_kind:     by_value
      - .offset:         116
        .size:           12
        .value_kind:     by_value
      - .offset:         128
        .size:           4
        .value_kind:     by_value
      - .offset:         132
        .size:           4
        .value_kind:     by_value
      - .offset:         136
        .size:           4
        .value_kind:     by_value
      - .offset:         140
        .size:           4
        .value_kind:     by_value
    .group_segment_fixed_size: 1536
    .kernarg_segment_align: 8
    .kernarg_segment_size: 144
    .language:       OpenCL C
    .language_version:
      - 2
      - 0
    .max_flat_workgroup_size: 128
    .name:           _ZL13mul_mat_vec_qIL9ggml_type6ELi3ELb0ELb0EEvPKvS2_PKi31ggml_cuda_mm_fusion_args_devicePfj15HIP_vector_typeIjLj3EEjjjS8_jjjS8_jjjj
    .private_segment_fixed_size: 0
    .sgpr_count:     30
    .sgpr_spill_count: 0
    .symbol:         _ZL13mul_mat_vec_qIL9ggml_type6ELi3ELb0ELb0EEvPKvS2_PKi31ggml_cuda_mm_fusion_args_devicePfj15HIP_vector_typeIjLj3EEjjjS8_jjjS8_jjjj.kd
    .uniform_work_group_size: 1
    .uses_dynamic_stack: false
    .vgpr_count:     36
    .vgpr_spill_count: 0
    .wavefront_size: 64
  - .args:
      - .address_space:  global
        .offset:         0
        .size:           8
        .value_kind:     global_buffer
      - .address_space:  global
        .offset:         8
        .size:           8
        .value_kind:     global_buffer
      - .address_space:  global
        .offset:         16
        .size:           8
        .value_kind:     global_buffer
      - .offset:         24
        .size:           32
        .value_kind:     by_value
      - .address_space:  global
        .offset:         56
        .size:           8
        .value_kind:     global_buffer
      - .offset:         64
        .size:           4
        .value_kind:     by_value
      - .offset:         68
        .size:           12
        .value_kind:     by_value
      - .offset:         80
        .size:           4
        .value_kind:     by_value
      - .offset:         84
        .size:           4
        .value_kind:     by_value
      - .offset:         88
        .size:           4
        .value_kind:     by_value
      - .offset:         92
        .size:           12
        .value_kind:     by_value
      - .offset:         104
        .size:           4
        .value_kind:     by_value
      - .offset:         108
        .size:           4
        .value_kind:     by_value
      - .offset:         112
        .size:           4
        .value_kind:     by_value
      - .offset:         116
        .size:           12
        .value_kind:     by_value
      - .offset:         128
        .size:           4
        .value_kind:     by_value
      - .offset:         132
        .size:           4
        .value_kind:     by_value
      - .offset:         136
        .size:           4
        .value_kind:     by_value
      - .offset:         140
        .size:           4
        .value_kind:     by_value
    .group_segment_fixed_size: 2048
    .kernarg_segment_align: 8
    .kernarg_segment_size: 144
    .language:       OpenCL C
    .language_version:
      - 2
      - 0
    .max_flat_workgroup_size: 128
    .name:           _ZL13mul_mat_vec_qIL9ggml_type6ELi4ELb0ELb0EEvPKvS2_PKi31ggml_cuda_mm_fusion_args_devicePfj15HIP_vector_typeIjLj3EEjjjS8_jjjS8_jjjj
    .private_segment_fixed_size: 0
    .sgpr_count:     30
    .sgpr_spill_count: 0
    .symbol:         _ZL13mul_mat_vec_qIL9ggml_type6ELi4ELb0ELb0EEvPKvS2_PKi31ggml_cuda_mm_fusion_args_devicePfj15HIP_vector_typeIjLj3EEjjjS8_jjjS8_jjjj.kd
    .uniform_work_group_size: 1
    .uses_dynamic_stack: false
    .vgpr_count:     38
    .vgpr_spill_count: 0
    .wavefront_size: 64
  - .args:
      - .address_space:  global
        .offset:         0
        .size:           8
        .value_kind:     global_buffer
      - .address_space:  global
        .offset:         8
        .size:           8
        .value_kind:     global_buffer
      - .address_space:  global
        .offset:         16
        .size:           8
        .value_kind:     global_buffer
      - .offset:         24
        .size:           32
        .value_kind:     by_value
      - .address_space:  global
        .offset:         56
        .size:           8
        .value_kind:     global_buffer
      - .offset:         64
        .size:           4
        .value_kind:     by_value
      - .offset:         68
        .size:           12
        .value_kind:     by_value
      - .offset:         80
        .size:           4
        .value_kind:     by_value
      - .offset:         84
        .size:           4
        .value_kind:     by_value
      - .offset:         88
        .size:           4
        .value_kind:     by_value
      - .offset:         92
        .size:           12
        .value_kind:     by_value
      - .offset:         104
        .size:           4
        .value_kind:     by_value
      - .offset:         108
        .size:           4
        .value_kind:     by_value
      - .offset:         112
        .size:           4
        .value_kind:     by_value
      - .offset:         116
        .size:           12
        .value_kind:     by_value
      - .offset:         128
        .size:           4
        .value_kind:     by_value
      - .offset:         132
        .size:           4
        .value_kind:     by_value
      - .offset:         136
        .size:           4
        .value_kind:     by_value
      - .offset:         140
        .size:           4
        .value_kind:     by_value
    .group_segment_fixed_size: 0
    .kernarg_segment_align: 8
    .kernarg_segment_size: 144
    .language:       OpenCL C
    .language_version:
      - 2
      - 0
    .max_flat_workgroup_size: 64
    .name:           _ZL13mul_mat_vec_qIL9ggml_type6ELi5ELb0ELb0EEvPKvS2_PKi31ggml_cuda_mm_fusion_args_devicePfj15HIP_vector_typeIjLj3EEjjjS8_jjjS8_jjjj
    .private_segment_fixed_size: 0
    .sgpr_count:     30
    .sgpr_spill_count: 0
    .symbol:         _ZL13mul_mat_vec_qIL9ggml_type6ELi5ELb0ELb0EEvPKvS2_PKi31ggml_cuda_mm_fusion_args_devicePfj15HIP_vector_typeIjLj3EEjjjS8_jjjS8_jjjj.kd
    .uniform_work_group_size: 1
    .uses_dynamic_stack: false
    .vgpr_count:     40
    .vgpr_spill_count: 0
    .wavefront_size: 64
  - .args:
      - .address_space:  global
        .offset:         0
        .size:           8
        .value_kind:     global_buffer
      - .address_space:  global
        .offset:         8
        .size:           8
        .value_kind:     global_buffer
      - .address_space:  global
        .offset:         16
        .size:           8
        .value_kind:     global_buffer
      - .offset:         24
        .size:           32
        .value_kind:     by_value
      - .address_space:  global
        .offset:         56
        .size:           8
        .value_kind:     global_buffer
      - .offset:         64
        .size:           4
        .value_kind:     by_value
      - .offset:         68
        .size:           12
        .value_kind:     by_value
      - .offset:         80
        .size:           4
        .value_kind:     by_value
      - .offset:         84
        .size:           4
        .value_kind:     by_value
      - .offset:         88
        .size:           4
        .value_kind:     by_value
      - .offset:         92
        .size:           12
        .value_kind:     by_value
      - .offset:         104
        .size:           4
        .value_kind:     by_value
      - .offset:         108
        .size:           4
        .value_kind:     by_value
      - .offset:         112
        .size:           4
        .value_kind:     by_value
      - .offset:         116
        .size:           12
        .value_kind:     by_value
      - .offset:         128
        .size:           4
        .value_kind:     by_value
      - .offset:         132
        .size:           4
        .value_kind:     by_value
      - .offset:         136
        .size:           4
        .value_kind:     by_value
      - .offset:         140
        .size:           4
        .value_kind:     by_value
    .group_segment_fixed_size: 0
    .kernarg_segment_align: 8
    .kernarg_segment_size: 144
    .language:       OpenCL C
    .language_version:
      - 2
      - 0
    .max_flat_workgroup_size: 64
    .name:           _ZL13mul_mat_vec_qIL9ggml_type6ELi6ELb0ELb0EEvPKvS2_PKi31ggml_cuda_mm_fusion_args_devicePfj15HIP_vector_typeIjLj3EEjjjS8_jjjS8_jjjj
    .private_segment_fixed_size: 0
    .sgpr_count:     30
    .sgpr_spill_count: 0
    .symbol:         _ZL13mul_mat_vec_qIL9ggml_type6ELi6ELb0ELb0EEvPKvS2_PKi31ggml_cuda_mm_fusion_args_devicePfj15HIP_vector_typeIjLj3EEjjjS8_jjjS8_jjjj.kd
    .uniform_work_group_size: 1
    .uses_dynamic_stack: false
    .vgpr_count:     42
    .vgpr_spill_count: 0
    .wavefront_size: 64
  - .args:
      - .address_space:  global
        .offset:         0
        .size:           8
        .value_kind:     global_buffer
      - .address_space:  global
        .offset:         8
        .size:           8
        .value_kind:     global_buffer
      - .address_space:  global
        .offset:         16
        .size:           8
        .value_kind:     global_buffer
      - .offset:         24
        .size:           32
        .value_kind:     by_value
      - .address_space:  global
        .offset:         56
        .size:           8
        .value_kind:     global_buffer
      - .offset:         64
        .size:           4
        .value_kind:     by_value
      - .offset:         68
        .size:           12
        .value_kind:     by_value
      - .offset:         80
        .size:           4
        .value_kind:     by_value
      - .offset:         84
        .size:           4
        .value_kind:     by_value
      - .offset:         88
        .size:           4
        .value_kind:     by_value
      - .offset:         92
        .size:           12
        .value_kind:     by_value
      - .offset:         104
        .size:           4
        .value_kind:     by_value
      - .offset:         108
        .size:           4
        .value_kind:     by_value
      - .offset:         112
        .size:           4
        .value_kind:     by_value
      - .offset:         116
        .size:           12
        .value_kind:     by_value
      - .offset:         128
        .size:           4
        .value_kind:     by_value
      - .offset:         132
        .size:           4
        .value_kind:     by_value
      - .offset:         136
        .size:           4
        .value_kind:     by_value
      - .offset:         140
        .size:           4
        .value_kind:     by_value
    .group_segment_fixed_size: 0
    .kernarg_segment_align: 8
    .kernarg_segment_size: 144
    .language:       OpenCL C
    .language_version:
      - 2
      - 0
    .max_flat_workgroup_size: 64
    .name:           _ZL13mul_mat_vec_qIL9ggml_type6ELi7ELb0ELb0EEvPKvS2_PKi31ggml_cuda_mm_fusion_args_devicePfj15HIP_vector_typeIjLj3EEjjjS8_jjjS8_jjjj
    .private_segment_fixed_size: 0
    .sgpr_count:     32
    .sgpr_spill_count: 0
    .symbol:         _ZL13mul_mat_vec_qIL9ggml_type6ELi7ELb0ELb0EEvPKvS2_PKi31ggml_cuda_mm_fusion_args_devicePfj15HIP_vector_typeIjLj3EEjjjS8_jjjS8_jjjj.kd
    .uniform_work_group_size: 1
    .uses_dynamic_stack: false
    .vgpr_count:     44
    .vgpr_spill_count: 0
    .wavefront_size: 64
  - .args:
      - .address_space:  global
        .offset:         0
        .size:           8
        .value_kind:     global_buffer
      - .address_space:  global
        .offset:         8
        .size:           8
        .value_kind:     global_buffer
      - .address_space:  global
        .offset:         16
        .size:           8
        .value_kind:     global_buffer
      - .offset:         24
        .size:           32
        .value_kind:     by_value
      - .address_space:  global
        .offset:         56
        .size:           8
        .value_kind:     global_buffer
      - .offset:         64
        .size:           4
        .value_kind:     by_value
      - .offset:         68
        .size:           12
        .value_kind:     by_value
      - .offset:         80
        .size:           4
        .value_kind:     by_value
      - .offset:         84
        .size:           4
        .value_kind:     by_value
      - .offset:         88
        .size:           4
        .value_kind:     by_value
      - .offset:         92
        .size:           12
        .value_kind:     by_value
      - .offset:         104
        .size:           4
        .value_kind:     by_value
      - .offset:         108
        .size:           4
        .value_kind:     by_value
      - .offset:         112
        .size:           4
        .value_kind:     by_value
      - .offset:         116
        .size:           12
        .value_kind:     by_value
      - .offset:         128
        .size:           4
        .value_kind:     by_value
      - .offset:         132
        .size:           4
        .value_kind:     by_value
      - .offset:         136
        .size:           4
        .value_kind:     by_value
      - .offset:         140
        .size:           4
        .value_kind:     by_value
    .group_segment_fixed_size: 0
    .kernarg_segment_align: 8
    .kernarg_segment_size: 144
    .language:       OpenCL C
    .language_version:
      - 2
      - 0
    .max_flat_workgroup_size: 64
    .name:           _ZL13mul_mat_vec_qIL9ggml_type6ELi8ELb0ELb0EEvPKvS2_PKi31ggml_cuda_mm_fusion_args_devicePfj15HIP_vector_typeIjLj3EEjjjS8_jjjS8_jjjj
    .private_segment_fixed_size: 0
    .sgpr_count:     32
    .sgpr_spill_count: 0
    .symbol:         _ZL13mul_mat_vec_qIL9ggml_type6ELi8ELb0ELb0EEvPKvS2_PKi31ggml_cuda_mm_fusion_args_devicePfj15HIP_vector_typeIjLj3EEjjjS8_jjjS8_jjjj.kd
    .uniform_work_group_size: 1
    .uses_dynamic_stack: false
    .vgpr_count:     46
    .vgpr_spill_count: 0
    .wavefront_size: 64
  - .args:
      - .address_space:  global
        .offset:         0
        .size:           8
        .value_kind:     global_buffer
      - .address_space:  global
        .offset:         8
        .size:           8
        .value_kind:     global_buffer
      - .address_space:  global
        .offset:         16
        .size:           8
        .value_kind:     global_buffer
      - .address_space:  global
        .offset:         24
        .size:           8
        .value_kind:     global_buffer
      - .offset:         32
        .size:           4
        .value_kind:     by_value
      - .offset:         36
        .size:           12
        .value_kind:     by_value
      - .offset:         48
        .size:           4
        .value_kind:     by_value
      - .offset:         52
        .size:           4
        .value_kind:     by_value
      - .offset:         56
        .size:           4
        .value_kind:     by_value
      - .offset:         60
        .size:           4
        .value_kind:     by_value
      - .offset:         64
        .size:           4
        .value_kind:     by_value
      - .offset:         68
        .size:           4
        .value_kind:     by_value
      - .offset:         72
        .size:           4
        .value_kind:     by_value
      - .offset:         76
        .size:           4
        .value_kind:     by_value
      - .offset:         80
        .size:           4
        .value_kind:     by_value
    .group_segment_fixed_size: 0
    .kernarg_segment_align: 8
    .kernarg_segment_size: 84
    .language:       OpenCL C
    .language_version:
      - 2
      - 0
    .max_flat_workgroup_size: 512
    .name:           _ZL17mul_mat_vec_q_moeIL9ggml_type7ELi2EEvPKvS2_PKiPfj15HIP_vector_typeIjLj3EEjjjjjjjjj
    .private_segment_fixed_size: 0
    .sgpr_count:     30
    .sgpr_spill_count: 0
    .symbol:         _ZL17mul_mat_vec_q_moeIL9ggml_type7ELi2EEvPKvS2_PKiPfj15HIP_vector_typeIjLj3EEjjjjjjjjj.kd
    .uniform_work_group_size: 1
    .uses_dynamic_stack: false
    .vgpr_count:     33
    .vgpr_spill_count: 0
    .wavefront_size: 64
  - .args:
      - .address_space:  global
        .offset:         0
        .size:           8
        .value_kind:     global_buffer
      - .address_space:  global
        .offset:         8
        .size:           8
        .value_kind:     global_buffer
      - .address_space:  global
        .offset:         16
        .size:           8
        .value_kind:     global_buffer
      - .offset:         24
        .size:           32
        .value_kind:     by_value
      - .address_space:  global
        .offset:         56
        .size:           8
        .value_kind:     global_buffer
      - .offset:         64
        .size:           4
        .value_kind:     by_value
      - .offset:         68
        .size:           12
        .value_kind:     by_value
      - .offset:         80
        .size:           4
        .value_kind:     by_value
      - .offset:         84
        .size:           4
        .value_kind:     by_value
      - .offset:         88
        .size:           4
        .value_kind:     by_value
      - .offset:         92
        .size:           12
        .value_kind:     by_value
      - .offset:         104
        .size:           4
        .value_kind:     by_value
      - .offset:         108
        .size:           4
        .value_kind:     by_value
      - .offset:         112
        .size:           4
        .value_kind:     by_value
      - .offset:         116
        .size:           12
        .value_kind:     by_value
      - .offset:         128
        .size:           4
        .value_kind:     by_value
      - .offset:         132
        .size:           4
        .value_kind:     by_value
      - .offset:         136
        .size:           4
        .value_kind:     by_value
      - .offset:         140
        .size:           4
        .value_kind:     by_value
    .group_segment_fixed_size: 1024
    .kernarg_segment_align: 8
    .kernarg_segment_size: 144
    .language:       OpenCL C
    .language_version:
      - 2
      - 0
    .max_flat_workgroup_size: 128
    .name:           _ZL13mul_mat_vec_qIL9ggml_type7ELi1ELb1ELb1EEvPKvS2_PKi31ggml_cuda_mm_fusion_args_devicePfj15HIP_vector_typeIjLj3EEjjjS8_jjjS8_jjjj
    .private_segment_fixed_size: 0
    .sgpr_count:     48
    .sgpr_spill_count: 0
    .symbol:         _ZL13mul_mat_vec_qIL9ggml_type7ELi1ELb1ELb1EEvPKvS2_PKi31ggml_cuda_mm_fusion_args_devicePfj15HIP_vector_typeIjLj3EEjjjS8_jjjS8_jjjj.kd
    .uniform_work_group_size: 1
    .uses_dynamic_stack: false
    .vgpr_count:     39
    .vgpr_spill_count: 0
    .wavefront_size: 64
  - .args:
      - .address_space:  global
        .offset:         0
        .size:           8
        .value_kind:     global_buffer
      - .address_space:  global
        .offset:         8
        .size:           8
        .value_kind:     global_buffer
      - .address_space:  global
        .offset:         16
        .size:           8
        .value_kind:     global_buffer
      - .offset:         24
        .size:           32
        .value_kind:     by_value
      - .address_space:  global
        .offset:         56
        .size:           8
        .value_kind:     global_buffer
      - .offset:         64
        .size:           4
        .value_kind:     by_value
      - .offset:         68
        .size:           12
        .value_kind:     by_value
      - .offset:         80
        .size:           4
        .value_kind:     by_value
      - .offset:         84
        .size:           4
        .value_kind:     by_value
      - .offset:         88
        .size:           4
        .value_kind:     by_value
      - .offset:         92
        .size:           12
        .value_kind:     by_value
      - .offset:         104
        .size:           4
        .value_kind:     by_value
      - .offset:         108
        .size:           4
        .value_kind:     by_value
      - .offset:         112
        .size:           4
        .value_kind:     by_value
      - .offset:         116
        .size:           12
        .value_kind:     by_value
      - .offset:         128
        .size:           4
        .value_kind:     by_value
      - .offset:         132
        .size:           4
        .value_kind:     by_value
      - .offset:         136
        .size:           4
        .value_kind:     by_value
      - .offset:         140
        .size:           4
        .value_kind:     by_value
    .group_segment_fixed_size: 512
    .kernarg_segment_align: 8
    .kernarg_segment_size: 144
    .language:       OpenCL C
    .language_version:
      - 2
      - 0
    .max_flat_workgroup_size: 128
    .name:           _ZL13mul_mat_vec_qIL9ggml_type7ELi1ELb0ELb1EEvPKvS2_PKi31ggml_cuda_mm_fusion_args_devicePfj15HIP_vector_typeIjLj3EEjjjS8_jjjS8_jjjj
    .private_segment_fixed_size: 0
    .sgpr_count:     28
    .sgpr_spill_count: 0
    .symbol:         _ZL13mul_mat_vec_qIL9ggml_type7ELi1ELb0ELb1EEvPKvS2_PKi31ggml_cuda_mm_fusion_args_devicePfj15HIP_vector_typeIjLj3EEjjjS8_jjjS8_jjjj.kd
    .uniform_work_group_size: 1
    .uses_dynamic_stack: false
    .vgpr_count:     27
    .vgpr_spill_count: 0
    .wavefront_size: 64
  - .args:
      - .address_space:  global
        .offset:         0
        .size:           8
        .value_kind:     global_buffer
      - .address_space:  global
        .offset:         8
        .size:           8
        .value_kind:     global_buffer
      - .address_space:  global
        .offset:         16
        .size:           8
        .value_kind:     global_buffer
      - .offset:         24
        .size:           32
        .value_kind:     by_value
      - .address_space:  global
        .offset:         56
        .size:           8
        .value_kind:     global_buffer
      - .offset:         64
        .size:           4
        .value_kind:     by_value
      - .offset:         68
        .size:           12
        .value_kind:     by_value
      - .offset:         80
        .size:           4
        .value_kind:     by_value
      - .offset:         84
        .size:           4
        .value_kind:     by_value
      - .offset:         88
        .size:           4
        .value_kind:     by_value
      - .offset:         92
        .size:           12
        .value_kind:     by_value
      - .offset:         104
        .size:           4
        .value_kind:     by_value
      - .offset:         108
        .size:           4
        .value_kind:     by_value
      - .offset:         112
        .size:           4
        .value_kind:     by_value
      - .offset:         116
        .size:           12
        .value_kind:     by_value
      - .offset:         128
        .size:           4
        .value_kind:     by_value
      - .offset:         132
        .size:           4
        .value_kind:     by_value
      - .offset:         136
        .size:           4
        .value_kind:     by_value
      - .offset:         140
        .size:           4
        .value_kind:     by_value
    .group_segment_fixed_size: 512
    .kernarg_segment_align: 8
    .kernarg_segment_size: 144
    .language:       OpenCL C
    .language_version:
      - 2
      - 0
    .max_flat_workgroup_size: 128
    .name:           _ZL13mul_mat_vec_qIL9ggml_type7ELi1ELb1ELb0EEvPKvS2_PKi31ggml_cuda_mm_fusion_args_devicePfj15HIP_vector_typeIjLj3EEjjjS8_jjjS8_jjjj
    .private_segment_fixed_size: 0
    .sgpr_count:     48
    .sgpr_spill_count: 0
    .symbol:         _ZL13mul_mat_vec_qIL9ggml_type7ELi1ELb1ELb0EEvPKvS2_PKi31ggml_cuda_mm_fusion_args_devicePfj15HIP_vector_typeIjLj3EEjjjS8_jjjS8_jjjj.kd
    .uniform_work_group_size: 1
    .uses_dynamic_stack: false
    .vgpr_count:     35
    .vgpr_spill_count: 0
    .wavefront_size: 64
  - .args:
      - .address_space:  global
        .offset:         0
        .size:           8
        .value_kind:     global_buffer
      - .address_space:  global
        .offset:         8
        .size:           8
        .value_kind:     global_buffer
      - .address_space:  global
        .offset:         16
        .size:           8
        .value_kind:     global_buffer
      - .offset:         24
        .size:           32
        .value_kind:     by_value
      - .address_space:  global
        .offset:         56
        .size:           8
        .value_kind:     global_buffer
      - .offset:         64
        .size:           4
        .value_kind:     by_value
      - .offset:         68
        .size:           12
        .value_kind:     by_value
      - .offset:         80
        .size:           4
        .value_kind:     by_value
      - .offset:         84
        .size:           4
        .value_kind:     by_value
      - .offset:         88
        .size:           4
        .value_kind:     by_value
      - .offset:         92
        .size:           12
        .value_kind:     by_value
      - .offset:         104
        .size:           4
        .value_kind:     by_value
      - .offset:         108
        .size:           4
        .value_kind:     by_value
      - .offset:         112
        .size:           4
        .value_kind:     by_value
      - .offset:         116
        .size:           12
        .value_kind:     by_value
      - .offset:         128
        .size:           4
        .value_kind:     by_value
      - .offset:         132
        .size:           4
        .value_kind:     by_value
      - .offset:         136
        .size:           4
        .value_kind:     by_value
      - .offset:         140
        .size:           4
        .value_kind:     by_value
    .group_segment_fixed_size: 256
    .kernarg_segment_align: 8
    .kernarg_segment_size: 144
    .language:       OpenCL C
    .language_version:
      - 2
      - 0
    .max_flat_workgroup_size: 128
    .name:           _ZL13mul_mat_vec_qIL9ggml_type7ELi1ELb0ELb0EEvPKvS2_PKi31ggml_cuda_mm_fusion_args_devicePfj15HIP_vector_typeIjLj3EEjjjS8_jjjS8_jjjj
    .private_segment_fixed_size: 0
    .sgpr_count:     28
    .sgpr_spill_count: 0
    .symbol:         _ZL13mul_mat_vec_qIL9ggml_type7ELi1ELb0ELb0EEvPKvS2_PKi31ggml_cuda_mm_fusion_args_devicePfj15HIP_vector_typeIjLj3EEjjjS8_jjjS8_jjjj.kd
    .uniform_work_group_size: 1
    .uses_dynamic_stack: false
    .vgpr_count:     23
    .vgpr_spill_count: 0
    .wavefront_size: 64
  - .args:
      - .address_space:  global
        .offset:         0
        .size:           8
        .value_kind:     global_buffer
      - .address_space:  global
        .offset:         8
        .size:           8
        .value_kind:     global_buffer
      - .address_space:  global
        .offset:         16
        .size:           8
        .value_kind:     global_buffer
      - .offset:         24
        .size:           32
        .value_kind:     by_value
      - .address_space:  global
        .offset:         56
        .size:           8
        .value_kind:     global_buffer
      - .offset:         64
        .size:           4
        .value_kind:     by_value
      - .offset:         68
        .size:           12
        .value_kind:     by_value
      - .offset:         80
        .size:           4
        .value_kind:     by_value
      - .offset:         84
        .size:           4
        .value_kind:     by_value
      - .offset:         88
        .size:           4
        .value_kind:     by_value
      - .offset:         92
        .size:           12
        .value_kind:     by_value
      - .offset:         104
        .size:           4
        .value_kind:     by_value
      - .offset:         108
        .size:           4
        .value_kind:     by_value
      - .offset:         112
        .size:           4
        .value_kind:     by_value
      - .offset:         116
        .size:           12
        .value_kind:     by_value
      - .offset:         128
        .size:           4
        .value_kind:     by_value
      - .offset:         132
        .size:           4
        .value_kind:     by_value
      - .offset:         136
        .size:           4
        .value_kind:     by_value
      - .offset:         140
        .size:           4
        .value_kind:     by_value
    .group_segment_fixed_size: 1024
    .kernarg_segment_align: 8
    .kernarg_segment_size: 144
    .language:       OpenCL C
    .language_version:
      - 2
      - 0
    .max_flat_workgroup_size: 128
    .name:           _ZL13mul_mat_vec_qIL9ggml_type7ELi2ELb0ELb0EEvPKvS2_PKi31ggml_cuda_mm_fusion_args_devicePfj15HIP_vector_typeIjLj3EEjjjS8_jjjS8_jjjj
    .private_segment_fixed_size: 0
    .sgpr_count:     30
    .sgpr_spill_count: 0
    .symbol:         _ZL13mul_mat_vec_qIL9ggml_type7ELi2ELb0ELb0EEvPKvS2_PKi31ggml_cuda_mm_fusion_args_devicePfj15HIP_vector_typeIjLj3EEjjjS8_jjjS8_jjjj.kd
    .uniform_work_group_size: 1
    .uses_dynamic_stack: false
    .vgpr_count:     36
    .vgpr_spill_count: 0
    .wavefront_size: 64
  - .args:
      - .address_space:  global
        .offset:         0
        .size:           8
        .value_kind:     global_buffer
      - .address_space:  global
        .offset:         8
        .size:           8
        .value_kind:     global_buffer
      - .address_space:  global
        .offset:         16
        .size:           8
        .value_kind:     global_buffer
      - .offset:         24
        .size:           32
        .value_kind:     by_value
      - .address_space:  global
        .offset:         56
        .size:           8
        .value_kind:     global_buffer
      - .offset:         64
        .size:           4
        .value_kind:     by_value
      - .offset:         68
        .size:           12
        .value_kind:     by_value
      - .offset:         80
        .size:           4
        .value_kind:     by_value
      - .offset:         84
        .size:           4
        .value_kind:     by_value
      - .offset:         88
        .size:           4
        .value_kind:     by_value
      - .offset:         92
        .size:           12
        .value_kind:     by_value
      - .offset:         104
        .size:           4
        .value_kind:     by_value
      - .offset:         108
        .size:           4
        .value_kind:     by_value
      - .offset:         112
        .size:           4
        .value_kind:     by_value
      - .offset:         116
        .size:           12
        .value_kind:     by_value
      - .offset:         128
        .size:           4
        .value_kind:     by_value
      - .offset:         132
        .size:           4
        .value_kind:     by_value
      - .offset:         136
        .size:           4
        .value_kind:     by_value
      - .offset:         140
        .size:           4
        .value_kind:     by_value
    .group_segment_fixed_size: 1536
    .kernarg_segment_align: 8
    .kernarg_segment_size: 144
    .language:       OpenCL C
    .language_version:
      - 2
      - 0
    .max_flat_workgroup_size: 128
    .name:           _ZL13mul_mat_vec_qIL9ggml_type7ELi3ELb0ELb0EEvPKvS2_PKi31ggml_cuda_mm_fusion_args_devicePfj15HIP_vector_typeIjLj3EEjjjS8_jjjS8_jjjj
    .private_segment_fixed_size: 0
    .sgpr_count:     30
    .sgpr_spill_count: 0
    .symbol:         _ZL13mul_mat_vec_qIL9ggml_type7ELi3ELb0ELb0EEvPKvS2_PKi31ggml_cuda_mm_fusion_args_devicePfj15HIP_vector_typeIjLj3EEjjjS8_jjjS8_jjjj.kd
    .uniform_work_group_size: 1
    .uses_dynamic_stack: false
    .vgpr_count:     34
    .vgpr_spill_count: 0
    .wavefront_size: 64
  - .args:
      - .address_space:  global
        .offset:         0
        .size:           8
        .value_kind:     global_buffer
      - .address_space:  global
        .offset:         8
        .size:           8
        .value_kind:     global_buffer
      - .address_space:  global
        .offset:         16
        .size:           8
        .value_kind:     global_buffer
      - .offset:         24
        .size:           32
        .value_kind:     by_value
      - .address_space:  global
        .offset:         56
        .size:           8
        .value_kind:     global_buffer
      - .offset:         64
        .size:           4
        .value_kind:     by_value
      - .offset:         68
        .size:           12
        .value_kind:     by_value
      - .offset:         80
        .size:           4
        .value_kind:     by_value
      - .offset:         84
        .size:           4
        .value_kind:     by_value
      - .offset:         88
        .size:           4
        .value_kind:     by_value
      - .offset:         92
        .size:           12
        .value_kind:     by_value
      - .offset:         104
        .size:           4
        .value_kind:     by_value
      - .offset:         108
        .size:           4
        .value_kind:     by_value
      - .offset:         112
        .size:           4
        .value_kind:     by_value
      - .offset:         116
        .size:           12
        .value_kind:     by_value
      - .offset:         128
        .size:           4
        .value_kind:     by_value
      - .offset:         132
        .size:           4
        .value_kind:     by_value
      - .offset:         136
        .size:           4
        .value_kind:     by_value
      - .offset:         140
        .size:           4
        .value_kind:     by_value
    .group_segment_fixed_size: 2048
    .kernarg_segment_align: 8
    .kernarg_segment_size: 144
    .language:       OpenCL C
    .language_version:
      - 2
      - 0
    .max_flat_workgroup_size: 128
    .name:           _ZL13mul_mat_vec_qIL9ggml_type7ELi4ELb0ELb0EEvPKvS2_PKi31ggml_cuda_mm_fusion_args_devicePfj15HIP_vector_typeIjLj3EEjjjS8_jjjS8_jjjj
    .private_segment_fixed_size: 0
    .sgpr_count:     30
    .sgpr_spill_count: 0
    .symbol:         _ZL13mul_mat_vec_qIL9ggml_type7ELi4ELb0ELb0EEvPKvS2_PKi31ggml_cuda_mm_fusion_args_devicePfj15HIP_vector_typeIjLj3EEjjjS8_jjjS8_jjjj.kd
    .uniform_work_group_size: 1
    .uses_dynamic_stack: false
    .vgpr_count:     36
    .vgpr_spill_count: 0
    .wavefront_size: 64
  - .args:
      - .address_space:  global
        .offset:         0
        .size:           8
        .value_kind:     global_buffer
      - .address_space:  global
        .offset:         8
        .size:           8
        .value_kind:     global_buffer
      - .address_space:  global
        .offset:         16
        .size:           8
        .value_kind:     global_buffer
      - .offset:         24
        .size:           32
        .value_kind:     by_value
      - .address_space:  global
        .offset:         56
        .size:           8
        .value_kind:     global_buffer
      - .offset:         64
        .size:           4
        .value_kind:     by_value
      - .offset:         68
        .size:           12
        .value_kind:     by_value
      - .offset:         80
        .size:           4
        .value_kind:     by_value
      - .offset:         84
        .size:           4
        .value_kind:     by_value
      - .offset:         88
        .size:           4
        .value_kind:     by_value
      - .offset:         92
        .size:           12
        .value_kind:     by_value
      - .offset:         104
        .size:           4
        .value_kind:     by_value
      - .offset:         108
        .size:           4
        .value_kind:     by_value
      - .offset:         112
        .size:           4
        .value_kind:     by_value
      - .offset:         116
        .size:           12
        .value_kind:     by_value
      - .offset:         128
        .size:           4
        .value_kind:     by_value
      - .offset:         132
        .size:           4
        .value_kind:     by_value
      - .offset:         136
        .size:           4
        .value_kind:     by_value
      - .offset:         140
        .size:           4
        .value_kind:     by_value
    .group_segment_fixed_size: 0
    .kernarg_segment_align: 8
    .kernarg_segment_size: 144
    .language:       OpenCL C
    .language_version:
      - 2
      - 0
    .max_flat_workgroup_size: 64
    .name:           _ZL13mul_mat_vec_qIL9ggml_type7ELi5ELb0ELb0EEvPKvS2_PKi31ggml_cuda_mm_fusion_args_devicePfj15HIP_vector_typeIjLj3EEjjjS8_jjjS8_jjjj
    .private_segment_fixed_size: 0
    .sgpr_count:     30
    .sgpr_spill_count: 0
    .symbol:         _ZL13mul_mat_vec_qIL9ggml_type7ELi5ELb0ELb0EEvPKvS2_PKi31ggml_cuda_mm_fusion_args_devicePfj15HIP_vector_typeIjLj3EEjjjS8_jjjS8_jjjj.kd
    .uniform_work_group_size: 1
    .uses_dynamic_stack: false
    .vgpr_count:     39
    .vgpr_spill_count: 0
    .wavefront_size: 64
  - .args:
      - .address_space:  global
        .offset:         0
        .size:           8
        .value_kind:     global_buffer
      - .address_space:  global
        .offset:         8
        .size:           8
        .value_kind:     global_buffer
      - .address_space:  global
        .offset:         16
        .size:           8
        .value_kind:     global_buffer
      - .offset:         24
        .size:           32
        .value_kind:     by_value
      - .address_space:  global
        .offset:         56
        .size:           8
        .value_kind:     global_buffer
      - .offset:         64
        .size:           4
        .value_kind:     by_value
      - .offset:         68
        .size:           12
        .value_kind:     by_value
      - .offset:         80
        .size:           4
        .value_kind:     by_value
      - .offset:         84
        .size:           4
        .value_kind:     by_value
      - .offset:         88
        .size:           4
        .value_kind:     by_value
      - .offset:         92
        .size:           12
        .value_kind:     by_value
      - .offset:         104
        .size:           4
        .value_kind:     by_value
      - .offset:         108
        .size:           4
        .value_kind:     by_value
      - .offset:         112
        .size:           4
        .value_kind:     by_value
      - .offset:         116
        .size:           12
        .value_kind:     by_value
      - .offset:         128
        .size:           4
        .value_kind:     by_value
      - .offset:         132
        .size:           4
        .value_kind:     by_value
      - .offset:         136
        .size:           4
        .value_kind:     by_value
      - .offset:         140
        .size:           4
        .value_kind:     by_value
    .group_segment_fixed_size: 0
    .kernarg_segment_align: 8
    .kernarg_segment_size: 144
    .language:       OpenCL C
    .language_version:
      - 2
      - 0
    .max_flat_workgroup_size: 64
    .name:           _ZL13mul_mat_vec_qIL9ggml_type7ELi6ELb0ELb0EEvPKvS2_PKi31ggml_cuda_mm_fusion_args_devicePfj15HIP_vector_typeIjLj3EEjjjS8_jjjS8_jjjj
    .private_segment_fixed_size: 0
    .sgpr_count:     30
    .sgpr_spill_count: 0
    .symbol:         _ZL13mul_mat_vec_qIL9ggml_type7ELi6ELb0ELb0EEvPKvS2_PKi31ggml_cuda_mm_fusion_args_devicePfj15HIP_vector_typeIjLj3EEjjjS8_jjjS8_jjjj.kd
    .uniform_work_group_size: 1
    .uses_dynamic_stack: false
    .vgpr_count:     40
    .vgpr_spill_count: 0
    .wavefront_size: 64
  - .args:
      - .address_space:  global
        .offset:         0
        .size:           8
        .value_kind:     global_buffer
      - .address_space:  global
        .offset:         8
        .size:           8
        .value_kind:     global_buffer
      - .address_space:  global
        .offset:         16
        .size:           8
        .value_kind:     global_buffer
      - .offset:         24
        .size:           32
        .value_kind:     by_value
      - .address_space:  global
        .offset:         56
        .size:           8
        .value_kind:     global_buffer
      - .offset:         64
        .size:           4
        .value_kind:     by_value
      - .offset:         68
        .size:           12
        .value_kind:     by_value
      - .offset:         80
        .size:           4
        .value_kind:     by_value
      - .offset:         84
        .size:           4
        .value_kind:     by_value
      - .offset:         88
        .size:           4
        .value_kind:     by_value
      - .offset:         92
        .size:           12
        .value_kind:     by_value
      - .offset:         104
        .size:           4
        .value_kind:     by_value
      - .offset:         108
        .size:           4
        .value_kind:     by_value
      - .offset:         112
        .size:           4
        .value_kind:     by_value
      - .offset:         116
        .size:           12
        .value_kind:     by_value
      - .offset:         128
        .size:           4
        .value_kind:     by_value
      - .offset:         132
        .size:           4
        .value_kind:     by_value
      - .offset:         136
        .size:           4
        .value_kind:     by_value
      - .offset:         140
        .size:           4
        .value_kind:     by_value
    .group_segment_fixed_size: 0
    .kernarg_segment_align: 8
    .kernarg_segment_size: 144
    .language:       OpenCL C
    .language_version:
      - 2
      - 0
    .max_flat_workgroup_size: 64
    .name:           _ZL13mul_mat_vec_qIL9ggml_type7ELi7ELb0ELb0EEvPKvS2_PKi31ggml_cuda_mm_fusion_args_devicePfj15HIP_vector_typeIjLj3EEjjjS8_jjjS8_jjjj
    .private_segment_fixed_size: 0
    .sgpr_count:     32
    .sgpr_spill_count: 0
    .symbol:         _ZL13mul_mat_vec_qIL9ggml_type7ELi7ELb0ELb0EEvPKvS2_PKi31ggml_cuda_mm_fusion_args_devicePfj15HIP_vector_typeIjLj3EEjjjS8_jjjS8_jjjj.kd
    .uniform_work_group_size: 1
    .uses_dynamic_stack: false
    .vgpr_count:     42
    .vgpr_spill_count: 0
    .wavefront_size: 64
  - .args:
      - .address_space:  global
        .offset:         0
        .size:           8
        .value_kind:     global_buffer
      - .address_space:  global
        .offset:         8
        .size:           8
        .value_kind:     global_buffer
      - .address_space:  global
        .offset:         16
        .size:           8
        .value_kind:     global_buffer
      - .offset:         24
        .size:           32
        .value_kind:     by_value
      - .address_space:  global
        .offset:         56
        .size:           8
        .value_kind:     global_buffer
      - .offset:         64
        .size:           4
        .value_kind:     by_value
      - .offset:         68
        .size:           12
        .value_kind:     by_value
      - .offset:         80
        .size:           4
        .value_kind:     by_value
      - .offset:         84
        .size:           4
        .value_kind:     by_value
      - .offset:         88
        .size:           4
        .value_kind:     by_value
      - .offset:         92
        .size:           12
        .value_kind:     by_value
      - .offset:         104
        .size:           4
        .value_kind:     by_value
      - .offset:         108
        .size:           4
        .value_kind:     by_value
      - .offset:         112
        .size:           4
        .value_kind:     by_value
      - .offset:         116
        .size:           12
        .value_kind:     by_value
      - .offset:         128
        .size:           4
        .value_kind:     by_value
      - .offset:         132
        .size:           4
        .value_kind:     by_value
      - .offset:         136
        .size:           4
        .value_kind:     by_value
      - .offset:         140
        .size:           4
        .value_kind:     by_value
    .group_segment_fixed_size: 0
    .kernarg_segment_align: 8
    .kernarg_segment_size: 144
    .language:       OpenCL C
    .language_version:
      - 2
      - 0
    .max_flat_workgroup_size: 64
    .name:           _ZL13mul_mat_vec_qIL9ggml_type7ELi8ELb0ELb0EEvPKvS2_PKi31ggml_cuda_mm_fusion_args_devicePfj15HIP_vector_typeIjLj3EEjjjS8_jjjS8_jjjj
    .private_segment_fixed_size: 0
    .sgpr_count:     32
    .sgpr_spill_count: 0
    .symbol:         _ZL13mul_mat_vec_qIL9ggml_type7ELi8ELb0ELb0EEvPKvS2_PKi31ggml_cuda_mm_fusion_args_devicePfj15HIP_vector_typeIjLj3EEjjjS8_jjjS8_jjjj.kd
    .uniform_work_group_size: 1
    .uses_dynamic_stack: false
    .vgpr_count:     45
    .vgpr_spill_count: 0
    .wavefront_size: 64
  - .args:
      - .address_space:  global
        .offset:         0
        .size:           8
        .value_kind:     global_buffer
      - .address_space:  global
        .offset:         8
        .size:           8
        .value_kind:     global_buffer
      - .address_space:  global
        .offset:         16
        .size:           8
        .value_kind:     global_buffer
      - .address_space:  global
        .offset:         24
        .size:           8
        .value_kind:     global_buffer
      - .offset:         32
        .size:           4
        .value_kind:     by_value
      - .offset:         36
        .size:           12
        .value_kind:     by_value
      - .offset:         48
        .size:           4
        .value_kind:     by_value
      - .offset:         52
        .size:           4
        .value_kind:     by_value
      - .offset:         56
        .size:           4
        .value_kind:     by_value
      - .offset:         60
        .size:           4
        .value_kind:     by_value
      - .offset:         64
        .size:           4
        .value_kind:     by_value
      - .offset:         68
        .size:           4
        .value_kind:     by_value
      - .offset:         72
        .size:           4
        .value_kind:     by_value
      - .offset:         76
        .size:           4
        .value_kind:     by_value
      - .offset:         80
        .size:           4
        .value_kind:     by_value
    .group_segment_fixed_size: 0
    .kernarg_segment_align: 8
    .kernarg_segment_size: 84
    .language:       OpenCL C
    .language_version:
      - 2
      - 0
    .max_flat_workgroup_size: 256
    .name:           _ZL17mul_mat_vec_q_moeIL9ggml_type8ELi2EEvPKvS2_PKiPfj15HIP_vector_typeIjLj3EEjjjjjjjjj
    .private_segment_fixed_size: 0
    .sgpr_count:     32
    .sgpr_spill_count: 0
    .symbol:         _ZL17mul_mat_vec_q_moeIL9ggml_type8ELi2EEvPKvS2_PKiPfj15HIP_vector_typeIjLj3EEjjjjjjjjj.kd
    .uniform_work_group_size: 1
    .uses_dynamic_stack: false
    .vgpr_count:     26
    .vgpr_spill_count: 0
    .wavefront_size: 64
  - .args:
      - .address_space:  global
        .offset:         0
        .size:           8
        .value_kind:     global_buffer
      - .address_space:  global
        .offset:         8
        .size:           8
        .value_kind:     global_buffer
      - .address_space:  global
        .offset:         16
        .size:           8
        .value_kind:     global_buffer
      - .offset:         24
        .size:           32
        .value_kind:     by_value
      - .address_space:  global
        .offset:         56
        .size:           8
        .value_kind:     global_buffer
      - .offset:         64
        .size:           4
        .value_kind:     by_value
      - .offset:         68
        .size:           12
        .value_kind:     by_value
      - .offset:         80
        .size:           4
        .value_kind:     by_value
      - .offset:         84
        .size:           4
        .value_kind:     by_value
      - .offset:         88
        .size:           4
        .value_kind:     by_value
      - .offset:         92
        .size:           12
        .value_kind:     by_value
      - .offset:         104
        .size:           4
        .value_kind:     by_value
      - .offset:         108
        .size:           4
        .value_kind:     by_value
      - .offset:         112
        .size:           4
        .value_kind:     by_value
      - .offset:         116
        .size:           12
        .value_kind:     by_value
      - .offset:         128
        .size:           4
        .value_kind:     by_value
      - .offset:         132
        .size:           4
        .value_kind:     by_value
      - .offset:         136
        .size:           4
        .value_kind:     by_value
      - .offset:         140
        .size:           4
        .value_kind:     by_value
    .group_segment_fixed_size: 1024
    .kernarg_segment_align: 8
    .kernarg_segment_size: 144
    .language:       OpenCL C
    .language_version:
      - 2
      - 0
    .max_flat_workgroup_size: 128
    .name:           _ZL13mul_mat_vec_qIL9ggml_type8ELi1ELb1ELb1EEvPKvS2_PKi31ggml_cuda_mm_fusion_args_devicePfj15HIP_vector_typeIjLj3EEjjjS8_jjjS8_jjjj
    .private_segment_fixed_size: 0
    .sgpr_count:     48
    .sgpr_spill_count: 0
    .symbol:         _ZL13mul_mat_vec_qIL9ggml_type8ELi1ELb1ELb1EEvPKvS2_PKi31ggml_cuda_mm_fusion_args_devicePfj15HIP_vector_typeIjLj3EEjjjS8_jjjS8_jjjj.kd
    .uniform_work_group_size: 1
    .uses_dynamic_stack: false
    .vgpr_count:     31
    .vgpr_spill_count: 0
    .wavefront_size: 64
  - .args:
      - .address_space:  global
        .offset:         0
        .size:           8
        .value_kind:     global_buffer
      - .address_space:  global
        .offset:         8
        .size:           8
        .value_kind:     global_buffer
      - .address_space:  global
        .offset:         16
        .size:           8
        .value_kind:     global_buffer
      - .offset:         24
        .size:           32
        .value_kind:     by_value
      - .address_space:  global
        .offset:         56
        .size:           8
        .value_kind:     global_buffer
      - .offset:         64
        .size:           4
        .value_kind:     by_value
      - .offset:         68
        .size:           12
        .value_kind:     by_value
      - .offset:         80
        .size:           4
        .value_kind:     by_value
      - .offset:         84
        .size:           4
        .value_kind:     by_value
      - .offset:         88
        .size:           4
        .value_kind:     by_value
      - .offset:         92
        .size:           12
        .value_kind:     by_value
      - .offset:         104
        .size:           4
        .value_kind:     by_value
      - .offset:         108
        .size:           4
        .value_kind:     by_value
      - .offset:         112
        .size:           4
        .value_kind:     by_value
      - .offset:         116
        .size:           12
        .value_kind:     by_value
      - .offset:         128
        .size:           4
        .value_kind:     by_value
      - .offset:         132
        .size:           4
        .value_kind:     by_value
      - .offset:         136
        .size:           4
        .value_kind:     by_value
      - .offset:         140
        .size:           4
        .value_kind:     by_value
    .group_segment_fixed_size: 512
    .kernarg_segment_align: 8
    .kernarg_segment_size: 144
    .language:       OpenCL C
    .language_version:
      - 2
      - 0
    .max_flat_workgroup_size: 128
    .name:           _ZL13mul_mat_vec_qIL9ggml_type8ELi1ELb0ELb1EEvPKvS2_PKi31ggml_cuda_mm_fusion_args_devicePfj15HIP_vector_typeIjLj3EEjjjS8_jjjS8_jjjj
    .private_segment_fixed_size: 0
    .sgpr_count:     28
    .sgpr_spill_count: 0
    .symbol:         _ZL13mul_mat_vec_qIL9ggml_type8ELi1ELb0ELb1EEvPKvS2_PKi31ggml_cuda_mm_fusion_args_devicePfj15HIP_vector_typeIjLj3EEjjjS8_jjjS8_jjjj.kd
    .uniform_work_group_size: 1
    .uses_dynamic_stack: false
    .vgpr_count:     24
    .vgpr_spill_count: 0
    .wavefront_size: 64
  - .args:
      - .address_space:  global
        .offset:         0
        .size:           8
        .value_kind:     global_buffer
      - .address_space:  global
        .offset:         8
        .size:           8
        .value_kind:     global_buffer
      - .address_space:  global
        .offset:         16
        .size:           8
        .value_kind:     global_buffer
      - .offset:         24
        .size:           32
        .value_kind:     by_value
      - .address_space:  global
        .offset:         56
        .size:           8
        .value_kind:     global_buffer
      - .offset:         64
        .size:           4
        .value_kind:     by_value
      - .offset:         68
        .size:           12
        .value_kind:     by_value
      - .offset:         80
        .size:           4
        .value_kind:     by_value
      - .offset:         84
        .size:           4
        .value_kind:     by_value
      - .offset:         88
        .size:           4
        .value_kind:     by_value
      - .offset:         92
        .size:           12
        .value_kind:     by_value
      - .offset:         104
        .size:           4
        .value_kind:     by_value
      - .offset:         108
        .size:           4
        .value_kind:     by_value
      - .offset:         112
        .size:           4
        .value_kind:     by_value
      - .offset:         116
        .size:           12
        .value_kind:     by_value
      - .offset:         128
        .size:           4
        .value_kind:     by_value
      - .offset:         132
        .size:           4
        .value_kind:     by_value
      - .offset:         136
        .size:           4
        .value_kind:     by_value
      - .offset:         140
        .size:           4
        .value_kind:     by_value
    .group_segment_fixed_size: 512
    .kernarg_segment_align: 8
    .kernarg_segment_size: 144
    .language:       OpenCL C
    .language_version:
      - 2
      - 0
    .max_flat_workgroup_size: 128
    .name:           _ZL13mul_mat_vec_qIL9ggml_type8ELi1ELb1ELb0EEvPKvS2_PKi31ggml_cuda_mm_fusion_args_devicePfj15HIP_vector_typeIjLj3EEjjjS8_jjjS8_jjjj
    .private_segment_fixed_size: 0
    .sgpr_count:     48
    .sgpr_spill_count: 0
    .symbol:         _ZL13mul_mat_vec_qIL9ggml_type8ELi1ELb1ELb0EEvPKvS2_PKi31ggml_cuda_mm_fusion_args_devicePfj15HIP_vector_typeIjLj3EEjjjS8_jjjS8_jjjj.kd
    .uniform_work_group_size: 1
    .uses_dynamic_stack: false
    .vgpr_count:     23
    .vgpr_spill_count: 0
    .wavefront_size: 64
  - .args:
      - .address_space:  global
        .offset:         0
        .size:           8
        .value_kind:     global_buffer
      - .address_space:  global
        .offset:         8
        .size:           8
        .value_kind:     global_buffer
      - .address_space:  global
        .offset:         16
        .size:           8
        .value_kind:     global_buffer
      - .offset:         24
        .size:           32
        .value_kind:     by_value
      - .address_space:  global
        .offset:         56
        .size:           8
        .value_kind:     global_buffer
      - .offset:         64
        .size:           4
        .value_kind:     by_value
      - .offset:         68
        .size:           12
        .value_kind:     by_value
      - .offset:         80
        .size:           4
        .value_kind:     by_value
      - .offset:         84
        .size:           4
        .value_kind:     by_value
      - .offset:         88
        .size:           4
        .value_kind:     by_value
      - .offset:         92
        .size:           12
        .value_kind:     by_value
      - .offset:         104
        .size:           4
        .value_kind:     by_value
      - .offset:         108
        .size:           4
        .value_kind:     by_value
      - .offset:         112
        .size:           4
        .value_kind:     by_value
      - .offset:         116
        .size:           12
        .value_kind:     by_value
      - .offset:         128
        .size:           4
        .value_kind:     by_value
      - .offset:         132
        .size:           4
        .value_kind:     by_value
      - .offset:         136
        .size:           4
        .value_kind:     by_value
      - .offset:         140
        .size:           4
        .value_kind:     by_value
    .group_segment_fixed_size: 256
    .kernarg_segment_align: 8
    .kernarg_segment_size: 144
    .language:       OpenCL C
    .language_version:
      - 2
      - 0
    .max_flat_workgroup_size: 128
    .name:           _ZL13mul_mat_vec_qIL9ggml_type8ELi1ELb0ELb0EEvPKvS2_PKi31ggml_cuda_mm_fusion_args_devicePfj15HIP_vector_typeIjLj3EEjjjS8_jjjS8_jjjj
    .private_segment_fixed_size: 0
    .sgpr_count:     28
    .sgpr_spill_count: 0
    .symbol:         _ZL13mul_mat_vec_qIL9ggml_type8ELi1ELb0ELb0EEvPKvS2_PKi31ggml_cuda_mm_fusion_args_devicePfj15HIP_vector_typeIjLj3EEjjjS8_jjjS8_jjjj.kd
    .uniform_work_group_size: 1
    .uses_dynamic_stack: false
    .vgpr_count:     19
    .vgpr_spill_count: 0
    .wavefront_size: 64
  - .args:
      - .address_space:  global
        .offset:         0
        .size:           8
        .value_kind:     global_buffer
      - .address_space:  global
        .offset:         8
        .size:           8
        .value_kind:     global_buffer
      - .address_space:  global
        .offset:         16
        .size:           8
        .value_kind:     global_buffer
      - .offset:         24
        .size:           32
        .value_kind:     by_value
      - .address_space:  global
        .offset:         56
        .size:           8
        .value_kind:     global_buffer
      - .offset:         64
        .size:           4
        .value_kind:     by_value
      - .offset:         68
        .size:           12
        .value_kind:     by_value
      - .offset:         80
        .size:           4
        .value_kind:     by_value
      - .offset:         84
        .size:           4
        .value_kind:     by_value
      - .offset:         88
        .size:           4
        .value_kind:     by_value
      - .offset:         92
        .size:           12
        .value_kind:     by_value
      - .offset:         104
        .size:           4
        .value_kind:     by_value
      - .offset:         108
        .size:           4
        .value_kind:     by_value
      - .offset:         112
        .size:           4
        .value_kind:     by_value
      - .offset:         116
        .size:           12
        .value_kind:     by_value
      - .offset:         128
        .size:           4
        .value_kind:     by_value
      - .offset:         132
        .size:           4
        .value_kind:     by_value
      - .offset:         136
        .size:           4
        .value_kind:     by_value
      - .offset:         140
        .size:           4
        .value_kind:     by_value
    .group_segment_fixed_size: 1024
    .kernarg_segment_align: 8
    .kernarg_segment_size: 144
    .language:       OpenCL C
    .language_version:
      - 2
      - 0
    .max_flat_workgroup_size: 128
    .name:           _ZL13mul_mat_vec_qIL9ggml_type8ELi2ELb0ELb0EEvPKvS2_PKi31ggml_cuda_mm_fusion_args_devicePfj15HIP_vector_typeIjLj3EEjjjS8_jjjS8_jjjj
    .private_segment_fixed_size: 0
    .sgpr_count:     30
    .sgpr_spill_count: 0
    .symbol:         _ZL13mul_mat_vec_qIL9ggml_type8ELi2ELb0ELb0EEvPKvS2_PKi31ggml_cuda_mm_fusion_args_devicePfj15HIP_vector_typeIjLj3EEjjjS8_jjjS8_jjjj.kd
    .uniform_work_group_size: 1
    .uses_dynamic_stack: false
    .vgpr_count:     23
    .vgpr_spill_count: 0
    .wavefront_size: 64
  - .args:
      - .address_space:  global
        .offset:         0
        .size:           8
        .value_kind:     global_buffer
      - .address_space:  global
        .offset:         8
        .size:           8
        .value_kind:     global_buffer
      - .address_space:  global
        .offset:         16
        .size:           8
        .value_kind:     global_buffer
      - .offset:         24
        .size:           32
        .value_kind:     by_value
      - .address_space:  global
        .offset:         56
        .size:           8
        .value_kind:     global_buffer
      - .offset:         64
        .size:           4
        .value_kind:     by_value
      - .offset:         68
        .size:           12
        .value_kind:     by_value
      - .offset:         80
        .size:           4
        .value_kind:     by_value
      - .offset:         84
        .size:           4
        .value_kind:     by_value
      - .offset:         88
        .size:           4
        .value_kind:     by_value
      - .offset:         92
        .size:           12
        .value_kind:     by_value
      - .offset:         104
        .size:           4
        .value_kind:     by_value
      - .offset:         108
        .size:           4
        .value_kind:     by_value
      - .offset:         112
        .size:           4
        .value_kind:     by_value
      - .offset:         116
        .size:           12
        .value_kind:     by_value
      - .offset:         128
        .size:           4
        .value_kind:     by_value
      - .offset:         132
        .size:           4
        .value_kind:     by_value
      - .offset:         136
        .size:           4
        .value_kind:     by_value
      - .offset:         140
        .size:           4
        .value_kind:     by_value
    .group_segment_fixed_size: 1536
    .kernarg_segment_align: 8
    .kernarg_segment_size: 144
    .language:       OpenCL C
    .language_version:
      - 2
      - 0
    .max_flat_workgroup_size: 128
    .name:           _ZL13mul_mat_vec_qIL9ggml_type8ELi3ELb0ELb0EEvPKvS2_PKi31ggml_cuda_mm_fusion_args_devicePfj15HIP_vector_typeIjLj3EEjjjS8_jjjS8_jjjj
    .private_segment_fixed_size: 0
    .sgpr_count:     30
    .sgpr_spill_count: 0
    .symbol:         _ZL13mul_mat_vec_qIL9ggml_type8ELi3ELb0ELb0EEvPKvS2_PKi31ggml_cuda_mm_fusion_args_devicePfj15HIP_vector_typeIjLj3EEjjjS8_jjjS8_jjjj.kd
    .uniform_work_group_size: 1
    .uses_dynamic_stack: false
    .vgpr_count:     27
    .vgpr_spill_count: 0
    .wavefront_size: 64
  - .args:
      - .address_space:  global
        .offset:         0
        .size:           8
        .value_kind:     global_buffer
      - .address_space:  global
        .offset:         8
        .size:           8
        .value_kind:     global_buffer
      - .address_space:  global
        .offset:         16
        .size:           8
        .value_kind:     global_buffer
      - .offset:         24
        .size:           32
        .value_kind:     by_value
      - .address_space:  global
        .offset:         56
        .size:           8
        .value_kind:     global_buffer
      - .offset:         64
        .size:           4
        .value_kind:     by_value
      - .offset:         68
        .size:           12
        .value_kind:     by_value
      - .offset:         80
        .size:           4
        .value_kind:     by_value
      - .offset:         84
        .size:           4
        .value_kind:     by_value
      - .offset:         88
        .size:           4
        .value_kind:     by_value
      - .offset:         92
        .size:           12
        .value_kind:     by_value
      - .offset:         104
        .size:           4
        .value_kind:     by_value
      - .offset:         108
        .size:           4
        .value_kind:     by_value
      - .offset:         112
        .size:           4
        .value_kind:     by_value
      - .offset:         116
        .size:           12
        .value_kind:     by_value
      - .offset:         128
        .size:           4
        .value_kind:     by_value
      - .offset:         132
        .size:           4
        .value_kind:     by_value
      - .offset:         136
        .size:           4
        .value_kind:     by_value
      - .offset:         140
        .size:           4
        .value_kind:     by_value
    .group_segment_fixed_size: 2048
    .kernarg_segment_align: 8
    .kernarg_segment_size: 144
    .language:       OpenCL C
    .language_version:
      - 2
      - 0
    .max_flat_workgroup_size: 128
    .name:           _ZL13mul_mat_vec_qIL9ggml_type8ELi4ELb0ELb0EEvPKvS2_PKi31ggml_cuda_mm_fusion_args_devicePfj15HIP_vector_typeIjLj3EEjjjS8_jjjS8_jjjj
    .private_segment_fixed_size: 0
    .sgpr_count:     30
    .sgpr_spill_count: 0
    .symbol:         _ZL13mul_mat_vec_qIL9ggml_type8ELi4ELb0ELb0EEvPKvS2_PKi31ggml_cuda_mm_fusion_args_devicePfj15HIP_vector_typeIjLj3EEjjjS8_jjjS8_jjjj.kd
    .uniform_work_group_size: 1
    .uses_dynamic_stack: false
    .vgpr_count:     29
    .vgpr_spill_count: 0
    .wavefront_size: 64
  - .args:
      - .address_space:  global
        .offset:         0
        .size:           8
        .value_kind:     global_buffer
      - .address_space:  global
        .offset:         8
        .size:           8
        .value_kind:     global_buffer
      - .address_space:  global
        .offset:         16
        .size:           8
        .value_kind:     global_buffer
      - .offset:         24
        .size:           32
        .value_kind:     by_value
      - .address_space:  global
        .offset:         56
        .size:           8
        .value_kind:     global_buffer
      - .offset:         64
        .size:           4
        .value_kind:     by_value
      - .offset:         68
        .size:           12
        .value_kind:     by_value
      - .offset:         80
        .size:           4
        .value_kind:     by_value
      - .offset:         84
        .size:           4
        .value_kind:     by_value
      - .offset:         88
        .size:           4
        .value_kind:     by_value
      - .offset:         92
        .size:           12
        .value_kind:     by_value
      - .offset:         104
        .size:           4
        .value_kind:     by_value
      - .offset:         108
        .size:           4
        .value_kind:     by_value
      - .offset:         112
        .size:           4
        .value_kind:     by_value
      - .offset:         116
        .size:           12
        .value_kind:     by_value
      - .offset:         128
        .size:           4
        .value_kind:     by_value
      - .offset:         132
        .size:           4
        .value_kind:     by_value
      - .offset:         136
        .size:           4
        .value_kind:     by_value
      - .offset:         140
        .size:           4
        .value_kind:     by_value
    .group_segment_fixed_size: 0
    .kernarg_segment_align: 8
    .kernarg_segment_size: 144
    .language:       OpenCL C
    .language_version:
      - 2
      - 0
    .max_flat_workgroup_size: 64
    .name:           _ZL13mul_mat_vec_qIL9ggml_type8ELi5ELb0ELb0EEvPKvS2_PKi31ggml_cuda_mm_fusion_args_devicePfj15HIP_vector_typeIjLj3EEjjjS8_jjjS8_jjjj
    .private_segment_fixed_size: 0
    .sgpr_count:     30
    .sgpr_spill_count: 0
    .symbol:         _ZL13mul_mat_vec_qIL9ggml_type8ELi5ELb0ELb0EEvPKvS2_PKi31ggml_cuda_mm_fusion_args_devicePfj15HIP_vector_typeIjLj3EEjjjS8_jjjS8_jjjj.kd
    .uniform_work_group_size: 1
    .uses_dynamic_stack: false
    .vgpr_count:     31
    .vgpr_spill_count: 0
    .wavefront_size: 64
  - .args:
      - .address_space:  global
        .offset:         0
        .size:           8
        .value_kind:     global_buffer
      - .address_space:  global
        .offset:         8
        .size:           8
        .value_kind:     global_buffer
      - .address_space:  global
        .offset:         16
        .size:           8
        .value_kind:     global_buffer
      - .offset:         24
        .size:           32
        .value_kind:     by_value
      - .address_space:  global
        .offset:         56
        .size:           8
        .value_kind:     global_buffer
      - .offset:         64
        .size:           4
        .value_kind:     by_value
      - .offset:         68
        .size:           12
        .value_kind:     by_value
      - .offset:         80
        .size:           4
        .value_kind:     by_value
      - .offset:         84
        .size:           4
        .value_kind:     by_value
      - .offset:         88
        .size:           4
        .value_kind:     by_value
      - .offset:         92
        .size:           12
        .value_kind:     by_value
      - .offset:         104
        .size:           4
        .value_kind:     by_value
      - .offset:         108
        .size:           4
        .value_kind:     by_value
      - .offset:         112
        .size:           4
        .value_kind:     by_value
      - .offset:         116
        .size:           12
        .value_kind:     by_value
      - .offset:         128
        .size:           4
        .value_kind:     by_value
      - .offset:         132
        .size:           4
        .value_kind:     by_value
      - .offset:         136
        .size:           4
        .value_kind:     by_value
      - .offset:         140
        .size:           4
        .value_kind:     by_value
    .group_segment_fixed_size: 0
    .kernarg_segment_align: 8
    .kernarg_segment_size: 144
    .language:       OpenCL C
    .language_version:
      - 2
      - 0
    .max_flat_workgroup_size: 64
    .name:           _ZL13mul_mat_vec_qIL9ggml_type8ELi6ELb0ELb0EEvPKvS2_PKi31ggml_cuda_mm_fusion_args_devicePfj15HIP_vector_typeIjLj3EEjjjS8_jjjS8_jjjj
    .private_segment_fixed_size: 0
    .sgpr_count:     30
    .sgpr_spill_count: 0
    .symbol:         _ZL13mul_mat_vec_qIL9ggml_type8ELi6ELb0ELb0EEvPKvS2_PKi31ggml_cuda_mm_fusion_args_devicePfj15HIP_vector_typeIjLj3EEjjjS8_jjjS8_jjjj.kd
    .uniform_work_group_size: 1
    .uses_dynamic_stack: false
    .vgpr_count:     31
    .vgpr_spill_count: 0
    .wavefront_size: 64
  - .args:
      - .address_space:  global
        .offset:         0
        .size:           8
        .value_kind:     global_buffer
      - .address_space:  global
        .offset:         8
        .size:           8
        .value_kind:     global_buffer
      - .address_space:  global
        .offset:         16
        .size:           8
        .value_kind:     global_buffer
      - .offset:         24
        .size:           32
        .value_kind:     by_value
      - .address_space:  global
        .offset:         56
        .size:           8
        .value_kind:     global_buffer
      - .offset:         64
        .size:           4
        .value_kind:     by_value
      - .offset:         68
        .size:           12
        .value_kind:     by_value
      - .offset:         80
        .size:           4
        .value_kind:     by_value
      - .offset:         84
        .size:           4
        .value_kind:     by_value
      - .offset:         88
        .size:           4
        .value_kind:     by_value
      - .offset:         92
        .size:           12
        .value_kind:     by_value
      - .offset:         104
        .size:           4
        .value_kind:     by_value
      - .offset:         108
        .size:           4
        .value_kind:     by_value
      - .offset:         112
        .size:           4
        .value_kind:     by_value
      - .offset:         116
        .size:           12
        .value_kind:     by_value
      - .offset:         128
        .size:           4
        .value_kind:     by_value
      - .offset:         132
        .size:           4
        .value_kind:     by_value
      - .offset:         136
        .size:           4
        .value_kind:     by_value
      - .offset:         140
        .size:           4
        .value_kind:     by_value
    .group_segment_fixed_size: 0
    .kernarg_segment_align: 8
    .kernarg_segment_size: 144
    .language:       OpenCL C
    .language_version:
      - 2
      - 0
    .max_flat_workgroup_size: 64
    .name:           _ZL13mul_mat_vec_qIL9ggml_type8ELi7ELb0ELb0EEvPKvS2_PKi31ggml_cuda_mm_fusion_args_devicePfj15HIP_vector_typeIjLj3EEjjjS8_jjjS8_jjjj
    .private_segment_fixed_size: 0
    .sgpr_count:     32
    .sgpr_spill_count: 0
    .symbol:         _ZL13mul_mat_vec_qIL9ggml_type8ELi7ELb0ELb0EEvPKvS2_PKi31ggml_cuda_mm_fusion_args_devicePfj15HIP_vector_typeIjLj3EEjjjS8_jjjS8_jjjj.kd
    .uniform_work_group_size: 1
    .uses_dynamic_stack: false
    .vgpr_count:     35
    .vgpr_spill_count: 0
    .wavefront_size: 64
  - .args:
      - .address_space:  global
        .offset:         0
        .size:           8
        .value_kind:     global_buffer
      - .address_space:  global
        .offset:         8
        .size:           8
        .value_kind:     global_buffer
      - .address_space:  global
        .offset:         16
        .size:           8
        .value_kind:     global_buffer
      - .offset:         24
        .size:           32
        .value_kind:     by_value
      - .address_space:  global
        .offset:         56
        .size:           8
        .value_kind:     global_buffer
      - .offset:         64
        .size:           4
        .value_kind:     by_value
      - .offset:         68
        .size:           12
        .value_kind:     by_value
      - .offset:         80
        .size:           4
        .value_kind:     by_value
      - .offset:         84
        .size:           4
        .value_kind:     by_value
      - .offset:         88
        .size:           4
        .value_kind:     by_value
      - .offset:         92
        .size:           12
        .value_kind:     by_value
      - .offset:         104
        .size:           4
        .value_kind:     by_value
      - .offset:         108
        .size:           4
        .value_kind:     by_value
      - .offset:         112
        .size:           4
        .value_kind:     by_value
      - .offset:         116
        .size:           12
        .value_kind:     by_value
      - .offset:         128
        .size:           4
        .value_kind:     by_value
      - .offset:         132
        .size:           4
        .value_kind:     by_value
      - .offset:         136
        .size:           4
        .value_kind:     by_value
      - .offset:         140
        .size:           4
        .value_kind:     by_value
    .group_segment_fixed_size: 0
    .kernarg_segment_align: 8
    .kernarg_segment_size: 144
    .language:       OpenCL C
    .language_version:
      - 2
      - 0
    .max_flat_workgroup_size: 64
    .name:           _ZL13mul_mat_vec_qIL9ggml_type8ELi8ELb0ELb0EEvPKvS2_PKi31ggml_cuda_mm_fusion_args_devicePfj15HIP_vector_typeIjLj3EEjjjS8_jjjS8_jjjj
    .private_segment_fixed_size: 0
    .sgpr_count:     32
    .sgpr_spill_count: 0
    .symbol:         _ZL13mul_mat_vec_qIL9ggml_type8ELi8ELb0ELb0EEvPKvS2_PKi31ggml_cuda_mm_fusion_args_devicePfj15HIP_vector_typeIjLj3EEjjjS8_jjjS8_jjjj.kd
    .uniform_work_group_size: 1
    .uses_dynamic_stack: false
    .vgpr_count:     35
    .vgpr_spill_count: 0
    .wavefront_size: 64
  - .args:
      - .address_space:  global
        .offset:         0
        .size:           8
        .value_kind:     global_buffer
      - .address_space:  global
        .offset:         8
        .size:           8
        .value_kind:     global_buffer
      - .address_space:  global
        .offset:         16
        .size:           8
        .value_kind:     global_buffer
      - .address_space:  global
        .offset:         24
        .size:           8
        .value_kind:     global_buffer
      - .offset:         32
        .size:           4
        .value_kind:     by_value
      - .offset:         36
        .size:           12
        .value_kind:     by_value
      - .offset:         48
        .size:           4
        .value_kind:     by_value
      - .offset:         52
        .size:           4
        .value_kind:     by_value
      - .offset:         56
        .size:           4
        .value_kind:     by_value
      - .offset:         60
        .size:           4
        .value_kind:     by_value
      - .offset:         64
        .size:           4
        .value_kind:     by_value
      - .offset:         68
        .size:           4
        .value_kind:     by_value
      - .offset:         72
        .size:           4
        .value_kind:     by_value
      - .offset:         76
        .size:           4
        .value_kind:     by_value
      - .offset:         80
        .size:           4
        .value_kind:     by_value
    .group_segment_fixed_size: 0
    .kernarg_segment_align: 8
    .kernarg_segment_size: 84
    .language:       OpenCL C
    .language_version:
      - 2
      - 0
    .max_flat_workgroup_size: 512
    .name:           _ZL17mul_mat_vec_q_moeIL9ggml_type39ELi2EEvPKvS2_PKiPfj15HIP_vector_typeIjLj3EEjjjjjjjjj
    .private_segment_fixed_size: 0
    .sgpr_count:     31
    .sgpr_spill_count: 0
    .symbol:         _ZL17mul_mat_vec_q_moeIL9ggml_type39ELi2EEvPKvS2_PKiPfj15HIP_vector_typeIjLj3EEjjjjjjjjj.kd
    .uniform_work_group_size: 1
    .uses_dynamic_stack: false
    .vgpr_count:     30
    .vgpr_spill_count: 0
    .wavefront_size: 64
  - .args:
      - .address_space:  global
        .offset:         0
        .size:           8
        .value_kind:     global_buffer
      - .address_space:  global
        .offset:         8
        .size:           8
        .value_kind:     global_buffer
      - .address_space:  global
        .offset:         16
        .size:           8
        .value_kind:     global_buffer
      - .offset:         24
        .size:           32
        .value_kind:     by_value
      - .address_space:  global
        .offset:         56
        .size:           8
        .value_kind:     global_buffer
      - .offset:         64
        .size:           4
        .value_kind:     by_value
      - .offset:         68
        .size:           12
        .value_kind:     by_value
      - .offset:         80
        .size:           4
        .value_kind:     by_value
      - .offset:         84
        .size:           4
        .value_kind:     by_value
      - .offset:         88
        .size:           4
        .value_kind:     by_value
      - .offset:         92
        .size:           12
        .value_kind:     by_value
      - .offset:         104
        .size:           4
        .value_kind:     by_value
      - .offset:         108
        .size:           4
        .value_kind:     by_value
      - .offset:         112
        .size:           4
        .value_kind:     by_value
      - .offset:         116
        .size:           12
        .value_kind:     by_value
      - .offset:         128
        .size:           4
        .value_kind:     by_value
      - .offset:         132
        .size:           4
        .value_kind:     by_value
      - .offset:         136
        .size:           4
        .value_kind:     by_value
      - .offset:         140
        .size:           4
        .value_kind:     by_value
    .group_segment_fixed_size: 1024
    .kernarg_segment_align: 8
    .kernarg_segment_size: 144
    .language:       OpenCL C
    .language_version:
      - 2
      - 0
    .max_flat_workgroup_size: 128
    .name:           _ZL13mul_mat_vec_qIL9ggml_type39ELi1ELb1ELb1EEvPKvS2_PKi31ggml_cuda_mm_fusion_args_devicePfj15HIP_vector_typeIjLj3EEjjjS8_jjjS8_jjjj
    .private_segment_fixed_size: 0
    .sgpr_count:     48
    .sgpr_spill_count: 0
    .symbol:         _ZL13mul_mat_vec_qIL9ggml_type39ELi1ELb1ELb1EEvPKvS2_PKi31ggml_cuda_mm_fusion_args_devicePfj15HIP_vector_typeIjLj3EEjjjS8_jjjS8_jjjj.kd
    .uniform_work_group_size: 1
    .uses_dynamic_stack: false
    .vgpr_count:     39
    .vgpr_spill_count: 0
    .wavefront_size: 64
  - .args:
      - .address_space:  global
        .offset:         0
        .size:           8
        .value_kind:     global_buffer
      - .address_space:  global
        .offset:         8
        .size:           8
        .value_kind:     global_buffer
      - .address_space:  global
        .offset:         16
        .size:           8
        .value_kind:     global_buffer
      - .offset:         24
        .size:           32
        .value_kind:     by_value
      - .address_space:  global
        .offset:         56
        .size:           8
        .value_kind:     global_buffer
      - .offset:         64
        .size:           4
        .value_kind:     by_value
      - .offset:         68
        .size:           12
        .value_kind:     by_value
      - .offset:         80
        .size:           4
        .value_kind:     by_value
      - .offset:         84
        .size:           4
        .value_kind:     by_value
      - .offset:         88
        .size:           4
        .value_kind:     by_value
      - .offset:         92
        .size:           12
        .value_kind:     by_value
      - .offset:         104
        .size:           4
        .value_kind:     by_value
      - .offset:         108
        .size:           4
        .value_kind:     by_value
      - .offset:         112
        .size:           4
        .value_kind:     by_value
      - .offset:         116
        .size:           12
        .value_kind:     by_value
      - .offset:         128
        .size:           4
        .value_kind:     by_value
      - .offset:         132
        .size:           4
        .value_kind:     by_value
      - .offset:         136
        .size:           4
        .value_kind:     by_value
      - .offset:         140
        .size:           4
        .value_kind:     by_value
    .group_segment_fixed_size: 512
    .kernarg_segment_align: 8
    .kernarg_segment_size: 144
    .language:       OpenCL C
    .language_version:
      - 2
      - 0
    .max_flat_workgroup_size: 128
    .name:           _ZL13mul_mat_vec_qIL9ggml_type39ELi1ELb0ELb1EEvPKvS2_PKi31ggml_cuda_mm_fusion_args_devicePfj15HIP_vector_typeIjLj3EEjjjS8_jjjS8_jjjj
    .private_segment_fixed_size: 0
    .sgpr_count:     31
    .sgpr_spill_count: 0
    .symbol:         _ZL13mul_mat_vec_qIL9ggml_type39ELi1ELb0ELb1EEvPKvS2_PKi31ggml_cuda_mm_fusion_args_devicePfj15HIP_vector_typeIjLj3EEjjjS8_jjjS8_jjjj.kd
    .uniform_work_group_size: 1
    .uses_dynamic_stack: false
    .vgpr_count:     29
    .vgpr_spill_count: 0
    .wavefront_size: 64
  - .args:
      - .address_space:  global
        .offset:         0
        .size:           8
        .value_kind:     global_buffer
      - .address_space:  global
        .offset:         8
        .size:           8
        .value_kind:     global_buffer
      - .address_space:  global
        .offset:         16
        .size:           8
        .value_kind:     global_buffer
      - .offset:         24
        .size:           32
        .value_kind:     by_value
      - .address_space:  global
        .offset:         56
        .size:           8
        .value_kind:     global_buffer
      - .offset:         64
        .size:           4
        .value_kind:     by_value
      - .offset:         68
        .size:           12
        .value_kind:     by_value
      - .offset:         80
        .size:           4
        .value_kind:     by_value
      - .offset:         84
        .size:           4
        .value_kind:     by_value
      - .offset:         88
        .size:           4
        .value_kind:     by_value
      - .offset:         92
        .size:           12
        .value_kind:     by_value
      - .offset:         104
        .size:           4
        .value_kind:     by_value
      - .offset:         108
        .size:           4
        .value_kind:     by_value
      - .offset:         112
        .size:           4
        .value_kind:     by_value
      - .offset:         116
        .size:           12
        .value_kind:     by_value
      - .offset:         128
        .size:           4
        .value_kind:     by_value
      - .offset:         132
        .size:           4
        .value_kind:     by_value
      - .offset:         136
        .size:           4
        .value_kind:     by_value
      - .offset:         140
        .size:           4
        .value_kind:     by_value
    .group_segment_fixed_size: 512
    .kernarg_segment_align: 8
    .kernarg_segment_size: 144
    .language:       OpenCL C
    .language_version:
      - 2
      - 0
    .max_flat_workgroup_size: 128
    .name:           _ZL13mul_mat_vec_qIL9ggml_type39ELi1ELb1ELb0EEvPKvS2_PKi31ggml_cuda_mm_fusion_args_devicePfj15HIP_vector_typeIjLj3EEjjjS8_jjjS8_jjjj
    .private_segment_fixed_size: 0
    .sgpr_count:     48
    .sgpr_spill_count: 0
    .symbol:         _ZL13mul_mat_vec_qIL9ggml_type39ELi1ELb1ELb0EEvPKvS2_PKi31ggml_cuda_mm_fusion_args_devicePfj15HIP_vector_typeIjLj3EEjjjS8_jjjS8_jjjj.kd
    .uniform_work_group_size: 1
    .uses_dynamic_stack: false
    .vgpr_count:     34
    .vgpr_spill_count: 0
    .wavefront_size: 64
  - .args:
      - .address_space:  global
        .offset:         0
        .size:           8
        .value_kind:     global_buffer
      - .address_space:  global
        .offset:         8
        .size:           8
        .value_kind:     global_buffer
      - .address_space:  global
        .offset:         16
        .size:           8
        .value_kind:     global_buffer
      - .offset:         24
        .size:           32
        .value_kind:     by_value
      - .address_space:  global
        .offset:         56
        .size:           8
        .value_kind:     global_buffer
      - .offset:         64
        .size:           4
        .value_kind:     by_value
      - .offset:         68
        .size:           12
        .value_kind:     by_value
      - .offset:         80
        .size:           4
        .value_kind:     by_value
      - .offset:         84
        .size:           4
        .value_kind:     by_value
      - .offset:         88
        .size:           4
        .value_kind:     by_value
      - .offset:         92
        .size:           12
        .value_kind:     by_value
      - .offset:         104
        .size:           4
        .value_kind:     by_value
      - .offset:         108
        .size:           4
        .value_kind:     by_value
      - .offset:         112
        .size:           4
        .value_kind:     by_value
      - .offset:         116
        .size:           12
        .value_kind:     by_value
      - .offset:         128
        .size:           4
        .value_kind:     by_value
      - .offset:         132
        .size:           4
        .value_kind:     by_value
      - .offset:         136
        .size:           4
        .value_kind:     by_value
      - .offset:         140
        .size:           4
        .value_kind:     by_value
    .group_segment_fixed_size: 256
    .kernarg_segment_align: 8
    .kernarg_segment_size: 144
    .language:       OpenCL C
    .language_version:
      - 2
      - 0
    .max_flat_workgroup_size: 128
    .name:           _ZL13mul_mat_vec_qIL9ggml_type39ELi1ELb0ELb0EEvPKvS2_PKi31ggml_cuda_mm_fusion_args_devicePfj15HIP_vector_typeIjLj3EEjjjS8_jjjS8_jjjj
    .private_segment_fixed_size: 0
    .sgpr_count:     28
    .sgpr_spill_count: 0
    .symbol:         _ZL13mul_mat_vec_qIL9ggml_type39ELi1ELb0ELb0EEvPKvS2_PKi31ggml_cuda_mm_fusion_args_devicePfj15HIP_vector_typeIjLj3EEjjjS8_jjjS8_jjjj.kd
    .uniform_work_group_size: 1
    .uses_dynamic_stack: false
    .vgpr_count:     24
    .vgpr_spill_count: 0
    .wavefront_size: 64
  - .args:
      - .address_space:  global
        .offset:         0
        .size:           8
        .value_kind:     global_buffer
      - .address_space:  global
        .offset:         8
        .size:           8
        .value_kind:     global_buffer
      - .address_space:  global
        .offset:         16
        .size:           8
        .value_kind:     global_buffer
      - .offset:         24
        .size:           32
        .value_kind:     by_value
      - .address_space:  global
        .offset:         56
        .size:           8
        .value_kind:     global_buffer
      - .offset:         64
        .size:           4
        .value_kind:     by_value
      - .offset:         68
        .size:           12
        .value_kind:     by_value
      - .offset:         80
        .size:           4
        .value_kind:     by_value
      - .offset:         84
        .size:           4
        .value_kind:     by_value
      - .offset:         88
        .size:           4
        .value_kind:     by_value
      - .offset:         92
        .size:           12
        .value_kind:     by_value
      - .offset:         104
        .size:           4
        .value_kind:     by_value
      - .offset:         108
        .size:           4
        .value_kind:     by_value
      - .offset:         112
        .size:           4
        .value_kind:     by_value
      - .offset:         116
        .size:           12
        .value_kind:     by_value
      - .offset:         128
        .size:           4
        .value_kind:     by_value
      - .offset:         132
        .size:           4
        .value_kind:     by_value
      - .offset:         136
        .size:           4
        .value_kind:     by_value
      - .offset:         140
        .size:           4
        .value_kind:     by_value
    .group_segment_fixed_size: 1024
    .kernarg_segment_align: 8
    .kernarg_segment_size: 144
    .language:       OpenCL C
    .language_version:
      - 2
      - 0
    .max_flat_workgroup_size: 128
    .name:           _ZL13mul_mat_vec_qIL9ggml_type39ELi2ELb0ELb0EEvPKvS2_PKi31ggml_cuda_mm_fusion_args_devicePfj15HIP_vector_typeIjLj3EEjjjS8_jjjS8_jjjj
    .private_segment_fixed_size: 0
    .sgpr_count:     30
    .sgpr_spill_count: 0
    .symbol:         _ZL13mul_mat_vec_qIL9ggml_type39ELi2ELb0ELb0EEvPKvS2_PKi31ggml_cuda_mm_fusion_args_devicePfj15HIP_vector_typeIjLj3EEjjjS8_jjjS8_jjjj.kd
    .uniform_work_group_size: 1
    .uses_dynamic_stack: false
    .vgpr_count:     36
    .vgpr_spill_count: 0
    .wavefront_size: 64
  - .args:
      - .address_space:  global
        .offset:         0
        .size:           8
        .value_kind:     global_buffer
      - .address_space:  global
        .offset:         8
        .size:           8
        .value_kind:     global_buffer
      - .address_space:  global
        .offset:         16
        .size:           8
        .value_kind:     global_buffer
      - .offset:         24
        .size:           32
        .value_kind:     by_value
      - .address_space:  global
        .offset:         56
        .size:           8
        .value_kind:     global_buffer
      - .offset:         64
        .size:           4
        .value_kind:     by_value
      - .offset:         68
        .size:           12
        .value_kind:     by_value
      - .offset:         80
        .size:           4
        .value_kind:     by_value
      - .offset:         84
        .size:           4
        .value_kind:     by_value
      - .offset:         88
        .size:           4
        .value_kind:     by_value
      - .offset:         92
        .size:           12
        .value_kind:     by_value
      - .offset:         104
        .size:           4
        .value_kind:     by_value
      - .offset:         108
        .size:           4
        .value_kind:     by_value
      - .offset:         112
        .size:           4
        .value_kind:     by_value
      - .offset:         116
        .size:           12
        .value_kind:     by_value
      - .offset:         128
        .size:           4
        .value_kind:     by_value
      - .offset:         132
        .size:           4
        .value_kind:     by_value
      - .offset:         136
        .size:           4
        .value_kind:     by_value
      - .offset:         140
        .size:           4
        .value_kind:     by_value
    .group_segment_fixed_size: 1536
    .kernarg_segment_align: 8
    .kernarg_segment_size: 144
    .language:       OpenCL C
    .language_version:
      - 2
      - 0
    .max_flat_workgroup_size: 128
    .name:           _ZL13mul_mat_vec_qIL9ggml_type39ELi3ELb0ELb0EEvPKvS2_PKi31ggml_cuda_mm_fusion_args_devicePfj15HIP_vector_typeIjLj3EEjjjS8_jjjS8_jjjj
    .private_segment_fixed_size: 0
    .sgpr_count:     30
    .sgpr_spill_count: 0
    .symbol:         _ZL13mul_mat_vec_qIL9ggml_type39ELi3ELb0ELb0EEvPKvS2_PKi31ggml_cuda_mm_fusion_args_devicePfj15HIP_vector_typeIjLj3EEjjjS8_jjjS8_jjjj.kd
    .uniform_work_group_size: 1
    .uses_dynamic_stack: false
    .vgpr_count:     36
    .vgpr_spill_count: 0
    .wavefront_size: 64
  - .args:
      - .address_space:  global
        .offset:         0
        .size:           8
        .value_kind:     global_buffer
      - .address_space:  global
        .offset:         8
        .size:           8
        .value_kind:     global_buffer
      - .address_space:  global
        .offset:         16
        .size:           8
        .value_kind:     global_buffer
      - .offset:         24
        .size:           32
        .value_kind:     by_value
      - .address_space:  global
        .offset:         56
        .size:           8
        .value_kind:     global_buffer
      - .offset:         64
        .size:           4
        .value_kind:     by_value
      - .offset:         68
        .size:           12
        .value_kind:     by_value
      - .offset:         80
        .size:           4
        .value_kind:     by_value
      - .offset:         84
        .size:           4
        .value_kind:     by_value
      - .offset:         88
        .size:           4
        .value_kind:     by_value
      - .offset:         92
        .size:           12
        .value_kind:     by_value
      - .offset:         104
        .size:           4
        .value_kind:     by_value
      - .offset:         108
        .size:           4
        .value_kind:     by_value
      - .offset:         112
        .size:           4
        .value_kind:     by_value
      - .offset:         116
        .size:           12
        .value_kind:     by_value
      - .offset:         128
        .size:           4
        .value_kind:     by_value
      - .offset:         132
        .size:           4
        .value_kind:     by_value
      - .offset:         136
        .size:           4
        .value_kind:     by_value
      - .offset:         140
        .size:           4
        .value_kind:     by_value
    .group_segment_fixed_size: 2048
    .kernarg_segment_align: 8
    .kernarg_segment_size: 144
    .language:       OpenCL C
    .language_version:
      - 2
      - 0
    .max_flat_workgroup_size: 128
    .name:           _ZL13mul_mat_vec_qIL9ggml_type39ELi4ELb0ELb0EEvPKvS2_PKi31ggml_cuda_mm_fusion_args_devicePfj15HIP_vector_typeIjLj3EEjjjS8_jjjS8_jjjj
    .private_segment_fixed_size: 0
    .sgpr_count:     30
    .sgpr_spill_count: 0
    .symbol:         _ZL13mul_mat_vec_qIL9ggml_type39ELi4ELb0ELb0EEvPKvS2_PKi31ggml_cuda_mm_fusion_args_devicePfj15HIP_vector_typeIjLj3EEjjjS8_jjjS8_jjjj.kd
    .uniform_work_group_size: 1
    .uses_dynamic_stack: false
    .vgpr_count:     38
    .vgpr_spill_count: 0
    .wavefront_size: 64
  - .args:
      - .address_space:  global
        .offset:         0
        .size:           8
        .value_kind:     global_buffer
      - .address_space:  global
        .offset:         8
        .size:           8
        .value_kind:     global_buffer
      - .address_space:  global
        .offset:         16
        .size:           8
        .value_kind:     global_buffer
      - .offset:         24
        .size:           32
        .value_kind:     by_value
      - .address_space:  global
        .offset:         56
        .size:           8
        .value_kind:     global_buffer
      - .offset:         64
        .size:           4
        .value_kind:     by_value
      - .offset:         68
        .size:           12
        .value_kind:     by_value
      - .offset:         80
        .size:           4
        .value_kind:     by_value
      - .offset:         84
        .size:           4
        .value_kind:     by_value
      - .offset:         88
        .size:           4
        .value_kind:     by_value
      - .offset:         92
        .size:           12
        .value_kind:     by_value
      - .offset:         104
        .size:           4
        .value_kind:     by_value
      - .offset:         108
        .size:           4
        .value_kind:     by_value
      - .offset:         112
        .size:           4
        .value_kind:     by_value
      - .offset:         116
        .size:           12
        .value_kind:     by_value
      - .offset:         128
        .size:           4
        .value_kind:     by_value
      - .offset:         132
        .size:           4
        .value_kind:     by_value
      - .offset:         136
        .size:           4
        .value_kind:     by_value
      - .offset:         140
        .size:           4
        .value_kind:     by_value
    .group_segment_fixed_size: 0
    .kernarg_segment_align: 8
    .kernarg_segment_size: 144
    .language:       OpenCL C
    .language_version:
      - 2
      - 0
    .max_flat_workgroup_size: 64
    .name:           _ZL13mul_mat_vec_qIL9ggml_type39ELi5ELb0ELb0EEvPKvS2_PKi31ggml_cuda_mm_fusion_args_devicePfj15HIP_vector_typeIjLj3EEjjjS8_jjjS8_jjjj
    .private_segment_fixed_size: 0
    .sgpr_count:     32
    .sgpr_spill_count: 0
    .symbol:         _ZL13mul_mat_vec_qIL9ggml_type39ELi5ELb0ELb0EEvPKvS2_PKi31ggml_cuda_mm_fusion_args_devicePfj15HIP_vector_typeIjLj3EEjjjS8_jjjS8_jjjj.kd
    .uniform_work_group_size: 1
    .uses_dynamic_stack: false
    .vgpr_count:     40
    .vgpr_spill_count: 0
    .wavefront_size: 64
  - .args:
      - .address_space:  global
        .offset:         0
        .size:           8
        .value_kind:     global_buffer
      - .address_space:  global
        .offset:         8
        .size:           8
        .value_kind:     global_buffer
      - .address_space:  global
        .offset:         16
        .size:           8
        .value_kind:     global_buffer
      - .offset:         24
        .size:           32
        .value_kind:     by_value
      - .address_space:  global
        .offset:         56
        .size:           8
        .value_kind:     global_buffer
      - .offset:         64
        .size:           4
        .value_kind:     by_value
      - .offset:         68
        .size:           12
        .value_kind:     by_value
      - .offset:         80
        .size:           4
        .value_kind:     by_value
      - .offset:         84
        .size:           4
        .value_kind:     by_value
      - .offset:         88
        .size:           4
        .value_kind:     by_value
      - .offset:         92
        .size:           12
        .value_kind:     by_value
      - .offset:         104
        .size:           4
        .value_kind:     by_value
      - .offset:         108
        .size:           4
        .value_kind:     by_value
      - .offset:         112
        .size:           4
        .value_kind:     by_value
      - .offset:         116
        .size:           12
        .value_kind:     by_value
      - .offset:         128
        .size:           4
        .value_kind:     by_value
      - .offset:         132
        .size:           4
        .value_kind:     by_value
      - .offset:         136
        .size:           4
        .value_kind:     by_value
      - .offset:         140
        .size:           4
        .value_kind:     by_value
    .group_segment_fixed_size: 0
    .kernarg_segment_align: 8
    .kernarg_segment_size: 144
    .language:       OpenCL C
    .language_version:
      - 2
      - 0
    .max_flat_workgroup_size: 64
    .name:           _ZL13mul_mat_vec_qIL9ggml_type39ELi6ELb0ELb0EEvPKvS2_PKi31ggml_cuda_mm_fusion_args_devicePfj15HIP_vector_typeIjLj3EEjjjS8_jjjS8_jjjj
    .private_segment_fixed_size: 0
    .sgpr_count:     32
    .sgpr_spill_count: 0
    .symbol:         _ZL13mul_mat_vec_qIL9ggml_type39ELi6ELb0ELb0EEvPKvS2_PKi31ggml_cuda_mm_fusion_args_devicePfj15HIP_vector_typeIjLj3EEjjjS8_jjjS8_jjjj.kd
    .uniform_work_group_size: 1
    .uses_dynamic_stack: false
    .vgpr_count:     42
    .vgpr_spill_count: 0
    .wavefront_size: 64
  - .args:
      - .address_space:  global
        .offset:         0
        .size:           8
        .value_kind:     global_buffer
      - .address_space:  global
        .offset:         8
        .size:           8
        .value_kind:     global_buffer
      - .address_space:  global
        .offset:         16
        .size:           8
        .value_kind:     global_buffer
      - .offset:         24
        .size:           32
        .value_kind:     by_value
      - .address_space:  global
        .offset:         56
        .size:           8
        .value_kind:     global_buffer
      - .offset:         64
        .size:           4
        .value_kind:     by_value
      - .offset:         68
        .size:           12
        .value_kind:     by_value
      - .offset:         80
        .size:           4
        .value_kind:     by_value
      - .offset:         84
        .size:           4
        .value_kind:     by_value
      - .offset:         88
        .size:           4
        .value_kind:     by_value
      - .offset:         92
        .size:           12
        .value_kind:     by_value
      - .offset:         104
        .size:           4
        .value_kind:     by_value
      - .offset:         108
        .size:           4
        .value_kind:     by_value
      - .offset:         112
        .size:           4
        .value_kind:     by_value
      - .offset:         116
        .size:           12
        .value_kind:     by_value
      - .offset:         128
        .size:           4
        .value_kind:     by_value
      - .offset:         132
        .size:           4
        .value_kind:     by_value
      - .offset:         136
        .size:           4
        .value_kind:     by_value
      - .offset:         140
        .size:           4
        .value_kind:     by_value
    .group_segment_fixed_size: 0
    .kernarg_segment_align: 8
    .kernarg_segment_size: 144
    .language:       OpenCL C
    .language_version:
      - 2
      - 0
    .max_flat_workgroup_size: 64
    .name:           _ZL13mul_mat_vec_qIL9ggml_type39ELi7ELb0ELb0EEvPKvS2_PKi31ggml_cuda_mm_fusion_args_devicePfj15HIP_vector_typeIjLj3EEjjjS8_jjjS8_jjjj
    .private_segment_fixed_size: 0
    .sgpr_count:     34
    .sgpr_spill_count: 0
    .symbol:         _ZL13mul_mat_vec_qIL9ggml_type39ELi7ELb0ELb0EEvPKvS2_PKi31ggml_cuda_mm_fusion_args_devicePfj15HIP_vector_typeIjLj3EEjjjS8_jjjS8_jjjj.kd
    .uniform_work_group_size: 1
    .uses_dynamic_stack: false
    .vgpr_count:     44
    .vgpr_spill_count: 0
    .wavefront_size: 64
  - .args:
      - .address_space:  global
        .offset:         0
        .size:           8
        .value_kind:     global_buffer
      - .address_space:  global
        .offset:         8
        .size:           8
        .value_kind:     global_buffer
      - .address_space:  global
        .offset:         16
        .size:           8
        .value_kind:     global_buffer
      - .offset:         24
        .size:           32
        .value_kind:     by_value
      - .address_space:  global
        .offset:         56
        .size:           8
        .value_kind:     global_buffer
      - .offset:         64
        .size:           4
        .value_kind:     by_value
      - .offset:         68
        .size:           12
        .value_kind:     by_value
      - .offset:         80
        .size:           4
        .value_kind:     by_value
      - .offset:         84
        .size:           4
        .value_kind:     by_value
      - .offset:         88
        .size:           4
        .value_kind:     by_value
      - .offset:         92
        .size:           12
        .value_kind:     by_value
      - .offset:         104
        .size:           4
        .value_kind:     by_value
      - .offset:         108
        .size:           4
        .value_kind:     by_value
      - .offset:         112
        .size:           4
        .value_kind:     by_value
      - .offset:         116
        .size:           12
        .value_kind:     by_value
      - .offset:         128
        .size:           4
        .value_kind:     by_value
      - .offset:         132
        .size:           4
        .value_kind:     by_value
      - .offset:         136
        .size:           4
        .value_kind:     by_value
      - .offset:         140
        .size:           4
        .value_kind:     by_value
    .group_segment_fixed_size: 0
    .kernarg_segment_align: 8
    .kernarg_segment_size: 144
    .language:       OpenCL C
    .language_version:
      - 2
      - 0
    .max_flat_workgroup_size: 64
    .name:           _ZL13mul_mat_vec_qIL9ggml_type39ELi8ELb0ELb0EEvPKvS2_PKi31ggml_cuda_mm_fusion_args_devicePfj15HIP_vector_typeIjLj3EEjjjS8_jjjS8_jjjj
    .private_segment_fixed_size: 0
    .sgpr_count:     34
    .sgpr_spill_count: 0
    .symbol:         _ZL13mul_mat_vec_qIL9ggml_type39ELi8ELb0ELb0EEvPKvS2_PKi31ggml_cuda_mm_fusion_args_devicePfj15HIP_vector_typeIjLj3EEjjjS8_jjjS8_jjjj.kd
    .uniform_work_group_size: 1
    .uses_dynamic_stack: false
    .vgpr_count:     46
    .vgpr_spill_count: 0
    .wavefront_size: 64
  - .args:
      - .address_space:  global
        .offset:         0
        .size:           8
        .value_kind:     global_buffer
      - .address_space:  global
        .offset:         8
        .size:           8
        .value_kind:     global_buffer
      - .address_space:  global
        .offset:         16
        .size:           8
        .value_kind:     global_buffer
      - .address_space:  global
        .offset:         24
        .size:           8
        .value_kind:     global_buffer
      - .offset:         32
        .size:           4
        .value_kind:     by_value
      - .offset:         36
        .size:           12
        .value_kind:     by_value
      - .offset:         48
        .size:           4
        .value_kind:     by_value
      - .offset:         52
        .size:           4
        .value_kind:     by_value
      - .offset:         56
        .size:           4
        .value_kind:     by_value
      - .offset:         60
        .size:           4
        .value_kind:     by_value
      - .offset:         64
        .size:           4
        .value_kind:     by_value
      - .offset:         68
        .size:           4
        .value_kind:     by_value
      - .offset:         72
        .size:           4
        .value_kind:     by_value
      - .offset:         76
        .size:           4
        .value_kind:     by_value
      - .offset:         80
        .size:           4
        .value_kind:     by_value
    .group_segment_fixed_size: 0
    .kernarg_segment_align: 8
    .kernarg_segment_size: 84
    .language:       OpenCL C
    .language_version:
      - 2
      - 0
    .max_flat_workgroup_size: 512
    .name:           _ZL17mul_mat_vec_q_moeIL9ggml_type40ELi2EEvPKvS2_PKiPfj15HIP_vector_typeIjLj3EEjjjjjjjjj
    .private_segment_fixed_size: 0
    .sgpr_count:     35
    .sgpr_spill_count: 0
    .symbol:         _ZL17mul_mat_vec_q_moeIL9ggml_type40ELi2EEvPKvS2_PKiPfj15HIP_vector_typeIjLj3EEjjjjjjjjj.kd
    .uniform_work_group_size: 1
    .uses_dynamic_stack: false
    .vgpr_count:     39
    .vgpr_spill_count: 0
    .wavefront_size: 64
  - .args:
      - .address_space:  global
        .offset:         0
        .size:           8
        .value_kind:     global_buffer
      - .address_space:  global
        .offset:         8
        .size:           8
        .value_kind:     global_buffer
      - .address_space:  global
        .offset:         16
        .size:           8
        .value_kind:     global_buffer
      - .offset:         24
        .size:           32
        .value_kind:     by_value
      - .address_space:  global
        .offset:         56
        .size:           8
        .value_kind:     global_buffer
      - .offset:         64
        .size:           4
        .value_kind:     by_value
      - .offset:         68
        .size:           12
        .value_kind:     by_value
      - .offset:         80
        .size:           4
        .value_kind:     by_value
      - .offset:         84
        .size:           4
        .value_kind:     by_value
      - .offset:         88
        .size:           4
        .value_kind:     by_value
      - .offset:         92
        .size:           12
        .value_kind:     by_value
      - .offset:         104
        .size:           4
        .value_kind:     by_value
      - .offset:         108
        .size:           4
        .value_kind:     by_value
      - .offset:         112
        .size:           4
        .value_kind:     by_value
      - .offset:         116
        .size:           12
        .value_kind:     by_value
      - .offset:         128
        .size:           4
        .value_kind:     by_value
      - .offset:         132
        .size:           4
        .value_kind:     by_value
      - .offset:         136
        .size:           4
        .value_kind:     by_value
      - .offset:         140
        .size:           4
        .value_kind:     by_value
    .group_segment_fixed_size: 1024
    .kernarg_segment_align: 8
    .kernarg_segment_size: 144
    .language:       OpenCL C
    .language_version:
      - 2
      - 0
    .max_flat_workgroup_size: 128
    .name:           _ZL13mul_mat_vec_qIL9ggml_type40ELi1ELb1ELb1EEvPKvS2_PKi31ggml_cuda_mm_fusion_args_devicePfj15HIP_vector_typeIjLj3EEjjjS8_jjjS8_jjjj
    .private_segment_fixed_size: 0
    .sgpr_count:     48
    .sgpr_spill_count: 0
    .symbol:         _ZL13mul_mat_vec_qIL9ggml_type40ELi1ELb1ELb1EEvPKvS2_PKi31ggml_cuda_mm_fusion_args_devicePfj15HIP_vector_typeIjLj3EEjjjS8_jjjS8_jjjj.kd
    .uniform_work_group_size: 1
    .uses_dynamic_stack: false
    .vgpr_count:     49
    .vgpr_spill_count: 0
    .wavefront_size: 64
  - .args:
      - .address_space:  global
        .offset:         0
        .size:           8
        .value_kind:     global_buffer
      - .address_space:  global
        .offset:         8
        .size:           8
        .value_kind:     global_buffer
      - .address_space:  global
        .offset:         16
        .size:           8
        .value_kind:     global_buffer
      - .offset:         24
        .size:           32
        .value_kind:     by_value
      - .address_space:  global
        .offset:         56
        .size:           8
        .value_kind:     global_buffer
      - .offset:         64
        .size:           4
        .value_kind:     by_value
      - .offset:         68
        .size:           12
        .value_kind:     by_value
      - .offset:         80
        .size:           4
        .value_kind:     by_value
      - .offset:         84
        .size:           4
        .value_kind:     by_value
      - .offset:         88
        .size:           4
        .value_kind:     by_value
      - .offset:         92
        .size:           12
        .value_kind:     by_value
      - .offset:         104
        .size:           4
        .value_kind:     by_value
      - .offset:         108
        .size:           4
        .value_kind:     by_value
      - .offset:         112
        .size:           4
        .value_kind:     by_value
      - .offset:         116
        .size:           12
        .value_kind:     by_value
      - .offset:         128
        .size:           4
        .value_kind:     by_value
      - .offset:         132
        .size:           4
        .value_kind:     by_value
      - .offset:         136
        .size:           4
        .value_kind:     by_value
      - .offset:         140
        .size:           4
        .value_kind:     by_value
    .group_segment_fixed_size: 512
    .kernarg_segment_align: 8
    .kernarg_segment_size: 144
    .language:       OpenCL C
    .language_version:
      - 2
      - 0
    .max_flat_workgroup_size: 128
    .name:           _ZL13mul_mat_vec_qIL9ggml_type40ELi1ELb0ELb1EEvPKvS2_PKi31ggml_cuda_mm_fusion_args_devicePfj15HIP_vector_typeIjLj3EEjjjS8_jjjS8_jjjj
    .private_segment_fixed_size: 0
    .sgpr_count:     32
    .sgpr_spill_count: 0
    .symbol:         _ZL13mul_mat_vec_qIL9ggml_type40ELi1ELb0ELb1EEvPKvS2_PKi31ggml_cuda_mm_fusion_args_devicePfj15HIP_vector_typeIjLj3EEjjjS8_jjjS8_jjjj.kd
    .uniform_work_group_size: 1
    .uses_dynamic_stack: false
    .vgpr_count:     38
    .vgpr_spill_count: 0
    .wavefront_size: 64
  - .args:
      - .address_space:  global
        .offset:         0
        .size:           8
        .value_kind:     global_buffer
      - .address_space:  global
        .offset:         8
        .size:           8
        .value_kind:     global_buffer
      - .address_space:  global
        .offset:         16
        .size:           8
        .value_kind:     global_buffer
      - .offset:         24
        .size:           32
        .value_kind:     by_value
      - .address_space:  global
        .offset:         56
        .size:           8
        .value_kind:     global_buffer
      - .offset:         64
        .size:           4
        .value_kind:     by_value
      - .offset:         68
        .size:           12
        .value_kind:     by_value
      - .offset:         80
        .size:           4
        .value_kind:     by_value
      - .offset:         84
        .size:           4
        .value_kind:     by_value
      - .offset:         88
        .size:           4
        .value_kind:     by_value
      - .offset:         92
        .size:           12
        .value_kind:     by_value
      - .offset:         104
        .size:           4
        .value_kind:     by_value
      - .offset:         108
        .size:           4
        .value_kind:     by_value
      - .offset:         112
        .size:           4
        .value_kind:     by_value
      - .offset:         116
        .size:           12
        .value_kind:     by_value
      - .offset:         128
        .size:           4
        .value_kind:     by_value
      - .offset:         132
        .size:           4
        .value_kind:     by_value
      - .offset:         136
        .size:           4
        .value_kind:     by_value
      - .offset:         140
        .size:           4
        .value_kind:     by_value
    .group_segment_fixed_size: 512
    .kernarg_segment_align: 8
    .kernarg_segment_size: 144
    .language:       OpenCL C
    .language_version:
      - 2
      - 0
    .max_flat_workgroup_size: 128
    .name:           _ZL13mul_mat_vec_qIL9ggml_type40ELi1ELb1ELb0EEvPKvS2_PKi31ggml_cuda_mm_fusion_args_devicePfj15HIP_vector_typeIjLj3EEjjjS8_jjjS8_jjjj
    .private_segment_fixed_size: 0
    .sgpr_count:     46
    .sgpr_spill_count: 0
    .symbol:         _ZL13mul_mat_vec_qIL9ggml_type40ELi1ELb1ELb0EEvPKvS2_PKi31ggml_cuda_mm_fusion_args_devicePfj15HIP_vector_typeIjLj3EEjjjS8_jjjS8_jjjj.kd
    .uniform_work_group_size: 1
    .uses_dynamic_stack: false
    .vgpr_count:     41
    .vgpr_spill_count: 0
    .wavefront_size: 64
  - .args:
      - .address_space:  global
        .offset:         0
        .size:           8
        .value_kind:     global_buffer
      - .address_space:  global
        .offset:         8
        .size:           8
        .value_kind:     global_buffer
      - .address_space:  global
        .offset:         16
        .size:           8
        .value_kind:     global_buffer
      - .offset:         24
        .size:           32
        .value_kind:     by_value
      - .address_space:  global
        .offset:         56
        .size:           8
        .value_kind:     global_buffer
      - .offset:         64
        .size:           4
        .value_kind:     by_value
      - .offset:         68
        .size:           12
        .value_kind:     by_value
      - .offset:         80
        .size:           4
        .value_kind:     by_value
      - .offset:         84
        .size:           4
        .value_kind:     by_value
      - .offset:         88
        .size:           4
        .value_kind:     by_value
      - .offset:         92
        .size:           12
        .value_kind:     by_value
      - .offset:         104
        .size:           4
        .value_kind:     by_value
      - .offset:         108
        .size:           4
        .value_kind:     by_value
      - .offset:         112
        .size:           4
        .value_kind:     by_value
      - .offset:         116
        .size:           12
        .value_kind:     by_value
      - .offset:         128
        .size:           4
        .value_kind:     by_value
      - .offset:         132
        .size:           4
        .value_kind:     by_value
      - .offset:         136
        .size:           4
        .value_kind:     by_value
      - .offset:         140
        .size:           4
        .value_kind:     by_value
    .group_segment_fixed_size: 256
    .kernarg_segment_align: 8
    .kernarg_segment_size: 144
    .language:       OpenCL C
    .language_version:
      - 2
      - 0
    .max_flat_workgroup_size: 128
    .name:           _ZL13mul_mat_vec_qIL9ggml_type40ELi1ELb0ELb0EEvPKvS2_PKi31ggml_cuda_mm_fusion_args_devicePfj15HIP_vector_typeIjLj3EEjjjS8_jjjS8_jjjj
    .private_segment_fixed_size: 0
    .sgpr_count:     30
    .sgpr_spill_count: 0
    .symbol:         _ZL13mul_mat_vec_qIL9ggml_type40ELi1ELb0ELb0EEvPKvS2_PKi31ggml_cuda_mm_fusion_args_devicePfj15HIP_vector_typeIjLj3EEjjjS8_jjjS8_jjjj.kd
    .uniform_work_group_size: 1
    .uses_dynamic_stack: false
    .vgpr_count:     31
    .vgpr_spill_count: 0
    .wavefront_size: 64
  - .args:
      - .address_space:  global
        .offset:         0
        .size:           8
        .value_kind:     global_buffer
      - .address_space:  global
        .offset:         8
        .size:           8
        .value_kind:     global_buffer
      - .address_space:  global
        .offset:         16
        .size:           8
        .value_kind:     global_buffer
      - .offset:         24
        .size:           32
        .value_kind:     by_value
      - .address_space:  global
        .offset:         56
        .size:           8
        .value_kind:     global_buffer
      - .offset:         64
        .size:           4
        .value_kind:     by_value
      - .offset:         68
        .size:           12
        .value_kind:     by_value
      - .offset:         80
        .size:           4
        .value_kind:     by_value
      - .offset:         84
        .size:           4
        .value_kind:     by_value
      - .offset:         88
        .size:           4
        .value_kind:     by_value
      - .offset:         92
        .size:           12
        .value_kind:     by_value
      - .offset:         104
        .size:           4
        .value_kind:     by_value
      - .offset:         108
        .size:           4
        .value_kind:     by_value
      - .offset:         112
        .size:           4
        .value_kind:     by_value
      - .offset:         116
        .size:           12
        .value_kind:     by_value
      - .offset:         128
        .size:           4
        .value_kind:     by_value
      - .offset:         132
        .size:           4
        .value_kind:     by_value
      - .offset:         136
        .size:           4
        .value_kind:     by_value
      - .offset:         140
        .size:           4
        .value_kind:     by_value
    .group_segment_fixed_size: 1024
    .kernarg_segment_align: 8
    .kernarg_segment_size: 144
    .language:       OpenCL C
    .language_version:
      - 2
      - 0
    .max_flat_workgroup_size: 128
    .name:           _ZL13mul_mat_vec_qIL9ggml_type40ELi2ELb0ELb0EEvPKvS2_PKi31ggml_cuda_mm_fusion_args_devicePfj15HIP_vector_typeIjLj3EEjjjS8_jjjS8_jjjj
    .private_segment_fixed_size: 0
    .sgpr_count:     34
    .sgpr_spill_count: 0
    .symbol:         _ZL13mul_mat_vec_qIL9ggml_type40ELi2ELb0ELb0EEvPKvS2_PKi31ggml_cuda_mm_fusion_args_devicePfj15HIP_vector_typeIjLj3EEjjjS8_jjjS8_jjjj.kd
    .uniform_work_group_size: 1
    .uses_dynamic_stack: false
    .vgpr_count:     66
    .vgpr_spill_count: 0
    .wavefront_size: 64
  - .args:
      - .address_space:  global
        .offset:         0
        .size:           8
        .value_kind:     global_buffer
      - .address_space:  global
        .offset:         8
        .size:           8
        .value_kind:     global_buffer
      - .address_space:  global
        .offset:         16
        .size:           8
        .value_kind:     global_buffer
      - .offset:         24
        .size:           32
        .value_kind:     by_value
      - .address_space:  global
        .offset:         56
        .size:           8
        .value_kind:     global_buffer
      - .offset:         64
        .size:           4
        .value_kind:     by_value
      - .offset:         68
        .size:           12
        .value_kind:     by_value
      - .offset:         80
        .size:           4
        .value_kind:     by_value
      - .offset:         84
        .size:           4
        .value_kind:     by_value
      - .offset:         88
        .size:           4
        .value_kind:     by_value
      - .offset:         92
        .size:           12
        .value_kind:     by_value
      - .offset:         104
        .size:           4
        .value_kind:     by_value
      - .offset:         108
        .size:           4
        .value_kind:     by_value
      - .offset:         112
        .size:           4
        .value_kind:     by_value
      - .offset:         116
        .size:           12
        .value_kind:     by_value
      - .offset:         128
        .size:           4
        .value_kind:     by_value
      - .offset:         132
        .size:           4
        .value_kind:     by_value
      - .offset:         136
        .size:           4
        .value_kind:     by_value
      - .offset:         140
        .size:           4
        .value_kind:     by_value
    .group_segment_fixed_size: 1536
    .kernarg_segment_align: 8
    .kernarg_segment_size: 144
    .language:       OpenCL C
    .language_version:
      - 2
      - 0
    .max_flat_workgroup_size: 128
    .name:           _ZL13mul_mat_vec_qIL9ggml_type40ELi3ELb0ELb0EEvPKvS2_PKi31ggml_cuda_mm_fusion_args_devicePfj15HIP_vector_typeIjLj3EEjjjS8_jjjS8_jjjj
    .private_segment_fixed_size: 0
    .sgpr_count:     34
    .sgpr_spill_count: 0
    .symbol:         _ZL13mul_mat_vec_qIL9ggml_type40ELi3ELb0ELb0EEvPKvS2_PKi31ggml_cuda_mm_fusion_args_devicePfj15HIP_vector_typeIjLj3EEjjjS8_jjjS8_jjjj.kd
    .uniform_work_group_size: 1
    .uses_dynamic_stack: false
    .vgpr_count:     90
    .vgpr_spill_count: 0
    .wavefront_size: 64
  - .args:
      - .address_space:  global
        .offset:         0
        .size:           8
        .value_kind:     global_buffer
      - .address_space:  global
        .offset:         8
        .size:           8
        .value_kind:     global_buffer
      - .address_space:  global
        .offset:         16
        .size:           8
        .value_kind:     global_buffer
      - .offset:         24
        .size:           32
        .value_kind:     by_value
      - .address_space:  global
        .offset:         56
        .size:           8
        .value_kind:     global_buffer
      - .offset:         64
        .size:           4
        .value_kind:     by_value
      - .offset:         68
        .size:           12
        .value_kind:     by_value
      - .offset:         80
        .size:           4
        .value_kind:     by_value
      - .offset:         84
        .size:           4
        .value_kind:     by_value
      - .offset:         88
        .size:           4
        .value_kind:     by_value
      - .offset:         92
        .size:           12
        .value_kind:     by_value
      - .offset:         104
        .size:           4
        .value_kind:     by_value
      - .offset:         108
        .size:           4
        .value_kind:     by_value
      - .offset:         112
        .size:           4
        .value_kind:     by_value
      - .offset:         116
        .size:           12
        .value_kind:     by_value
      - .offset:         128
        .size:           4
        .value_kind:     by_value
      - .offset:         132
        .size:           4
        .value_kind:     by_value
      - .offset:         136
        .size:           4
        .value_kind:     by_value
      - .offset:         140
        .size:           4
        .value_kind:     by_value
    .group_segment_fixed_size: 2048
    .kernarg_segment_align: 8
    .kernarg_segment_size: 144
    .language:       OpenCL C
    .language_version:
      - 2
      - 0
    .max_flat_workgroup_size: 128
    .name:           _ZL13mul_mat_vec_qIL9ggml_type40ELi4ELb0ELb0EEvPKvS2_PKi31ggml_cuda_mm_fusion_args_devicePfj15HIP_vector_typeIjLj3EEjjjS8_jjjS8_jjjj
    .private_segment_fixed_size: 0
    .sgpr_count:     34
    .sgpr_spill_count: 0
    .symbol:         _ZL13mul_mat_vec_qIL9ggml_type40ELi4ELb0ELb0EEvPKvS2_PKi31ggml_cuda_mm_fusion_args_devicePfj15HIP_vector_typeIjLj3EEjjjS8_jjjS8_jjjj.kd
    .uniform_work_group_size: 1
    .uses_dynamic_stack: false
    .vgpr_count:     114
    .vgpr_spill_count: 0
    .wavefront_size: 64
  - .args:
      - .address_space:  global
        .offset:         0
        .size:           8
        .value_kind:     global_buffer
      - .address_space:  global
        .offset:         8
        .size:           8
        .value_kind:     global_buffer
      - .address_space:  global
        .offset:         16
        .size:           8
        .value_kind:     global_buffer
      - .offset:         24
        .size:           32
        .value_kind:     by_value
      - .address_space:  global
        .offset:         56
        .size:           8
        .value_kind:     global_buffer
      - .offset:         64
        .size:           4
        .value_kind:     by_value
      - .offset:         68
        .size:           12
        .value_kind:     by_value
      - .offset:         80
        .size:           4
        .value_kind:     by_value
      - .offset:         84
        .size:           4
        .value_kind:     by_value
      - .offset:         88
        .size:           4
        .value_kind:     by_value
      - .offset:         92
        .size:           12
        .value_kind:     by_value
      - .offset:         104
        .size:           4
        .value_kind:     by_value
      - .offset:         108
        .size:           4
        .value_kind:     by_value
      - .offset:         112
        .size:           4
        .value_kind:     by_value
      - .offset:         116
        .size:           12
        .value_kind:     by_value
      - .offset:         128
        .size:           4
        .value_kind:     by_value
      - .offset:         132
        .size:           4
        .value_kind:     by_value
      - .offset:         136
        .size:           4
        .value_kind:     by_value
      - .offset:         140
        .size:           4
        .value_kind:     by_value
    .group_segment_fixed_size: 0
    .kernarg_segment_align: 8
    .kernarg_segment_size: 144
    .language:       OpenCL C
    .language_version:
      - 2
      - 0
    .max_flat_workgroup_size: 64
    .name:           _ZL13mul_mat_vec_qIL9ggml_type40ELi5ELb0ELb0EEvPKvS2_PKi31ggml_cuda_mm_fusion_args_devicePfj15HIP_vector_typeIjLj3EEjjjS8_jjjS8_jjjj
    .private_segment_fixed_size: 0
    .sgpr_count:     36
    .sgpr_spill_count: 0
    .symbol:         _ZL13mul_mat_vec_qIL9ggml_type40ELi5ELb0ELb0EEvPKvS2_PKi31ggml_cuda_mm_fusion_args_devicePfj15HIP_vector_typeIjLj3EEjjjS8_jjjS8_jjjj.kd
    .uniform_work_group_size: 1
    .uses_dynamic_stack: false
    .vgpr_count:     132
    .vgpr_spill_count: 0
    .wavefront_size: 64
  - .args:
      - .address_space:  global
        .offset:         0
        .size:           8
        .value_kind:     global_buffer
      - .address_space:  global
        .offset:         8
        .size:           8
        .value_kind:     global_buffer
      - .address_space:  global
        .offset:         16
        .size:           8
        .value_kind:     global_buffer
      - .offset:         24
        .size:           32
        .value_kind:     by_value
      - .address_space:  global
        .offset:         56
        .size:           8
        .value_kind:     global_buffer
      - .offset:         64
        .size:           4
        .value_kind:     by_value
      - .offset:         68
        .size:           12
        .value_kind:     by_value
      - .offset:         80
        .size:           4
        .value_kind:     by_value
      - .offset:         84
        .size:           4
        .value_kind:     by_value
      - .offset:         88
        .size:           4
        .value_kind:     by_value
      - .offset:         92
        .size:           12
        .value_kind:     by_value
      - .offset:         104
        .size:           4
        .value_kind:     by_value
      - .offset:         108
        .size:           4
        .value_kind:     by_value
      - .offset:         112
        .size:           4
        .value_kind:     by_value
      - .offset:         116
        .size:           12
        .value_kind:     by_value
      - .offset:         128
        .size:           4
        .value_kind:     by_value
      - .offset:         132
        .size:           4
        .value_kind:     by_value
      - .offset:         136
        .size:           4
        .value_kind:     by_value
      - .offset:         140
        .size:           4
        .value_kind:     by_value
    .group_segment_fixed_size: 0
    .kernarg_segment_align: 8
    .kernarg_segment_size: 144
    .language:       OpenCL C
    .language_version:
      - 2
      - 0
    .max_flat_workgroup_size: 64
    .name:           _ZL13mul_mat_vec_qIL9ggml_type40ELi6ELb0ELb0EEvPKvS2_PKi31ggml_cuda_mm_fusion_args_devicePfj15HIP_vector_typeIjLj3EEjjjS8_jjjS8_jjjj
    .private_segment_fixed_size: 0
    .sgpr_count:     40
    .sgpr_spill_count: 0
    .symbol:         _ZL13mul_mat_vec_qIL9ggml_type40ELi6ELb0ELb0EEvPKvS2_PKi31ggml_cuda_mm_fusion_args_devicePfj15HIP_vector_typeIjLj3EEjjjS8_jjjS8_jjjj.kd
    .uniform_work_group_size: 1
    .uses_dynamic_stack: false
    .vgpr_count:     155
    .vgpr_spill_count: 0
    .wavefront_size: 64
  - .args:
      - .address_space:  global
        .offset:         0
        .size:           8
        .value_kind:     global_buffer
      - .address_space:  global
        .offset:         8
        .size:           8
        .value_kind:     global_buffer
      - .address_space:  global
        .offset:         16
        .size:           8
        .value_kind:     global_buffer
      - .offset:         24
        .size:           32
        .value_kind:     by_value
      - .address_space:  global
        .offset:         56
        .size:           8
        .value_kind:     global_buffer
      - .offset:         64
        .size:           4
        .value_kind:     by_value
      - .offset:         68
        .size:           12
        .value_kind:     by_value
      - .offset:         80
        .size:           4
        .value_kind:     by_value
      - .offset:         84
        .size:           4
        .value_kind:     by_value
      - .offset:         88
        .size:           4
        .value_kind:     by_value
      - .offset:         92
        .size:           12
        .value_kind:     by_value
      - .offset:         104
        .size:           4
        .value_kind:     by_value
      - .offset:         108
        .size:           4
        .value_kind:     by_value
      - .offset:         112
        .size:           4
        .value_kind:     by_value
      - .offset:         116
        .size:           12
        .value_kind:     by_value
      - .offset:         128
        .size:           4
        .value_kind:     by_value
      - .offset:         132
        .size:           4
        .value_kind:     by_value
      - .offset:         136
        .size:           4
        .value_kind:     by_value
      - .offset:         140
        .size:           4
        .value_kind:     by_value
    .group_segment_fixed_size: 0
    .kernarg_segment_align: 8
    .kernarg_segment_size: 144
    .language:       OpenCL C
    .language_version:
      - 2
      - 0
    .max_flat_workgroup_size: 64
    .name:           _ZL13mul_mat_vec_qIL9ggml_type40ELi7ELb0ELb0EEvPKvS2_PKi31ggml_cuda_mm_fusion_args_devicePfj15HIP_vector_typeIjLj3EEjjjS8_jjjS8_jjjj
    .private_segment_fixed_size: 0
    .sgpr_count:     40
    .sgpr_spill_count: 0
    .symbol:         _ZL13mul_mat_vec_qIL9ggml_type40ELi7ELb0ELb0EEvPKvS2_PKi31ggml_cuda_mm_fusion_args_devicePfj15HIP_vector_typeIjLj3EEjjjS8_jjjS8_jjjj.kd
    .uniform_work_group_size: 1
    .uses_dynamic_stack: false
    .vgpr_count:     178
    .vgpr_spill_count: 0
    .wavefront_size: 64
  - .args:
      - .address_space:  global
        .offset:         0
        .size:           8
        .value_kind:     global_buffer
      - .address_space:  global
        .offset:         8
        .size:           8
        .value_kind:     global_buffer
      - .address_space:  global
        .offset:         16
        .size:           8
        .value_kind:     global_buffer
      - .offset:         24
        .size:           32
        .value_kind:     by_value
      - .address_space:  global
        .offset:         56
        .size:           8
        .value_kind:     global_buffer
      - .offset:         64
        .size:           4
        .value_kind:     by_value
      - .offset:         68
        .size:           12
        .value_kind:     by_value
      - .offset:         80
        .size:           4
        .value_kind:     by_value
      - .offset:         84
        .size:           4
        .value_kind:     by_value
      - .offset:         88
        .size:           4
        .value_kind:     by_value
      - .offset:         92
        .size:           12
        .value_kind:     by_value
      - .offset:         104
        .size:           4
        .value_kind:     by_value
      - .offset:         108
        .size:           4
        .value_kind:     by_value
      - .offset:         112
        .size:           4
        .value_kind:     by_value
      - .offset:         116
        .size:           12
        .value_kind:     by_value
      - .offset:         128
        .size:           4
        .value_kind:     by_value
      - .offset:         132
        .size:           4
        .value_kind:     by_value
      - .offset:         136
        .size:           4
        .value_kind:     by_value
      - .offset:         140
        .size:           4
        .value_kind:     by_value
    .group_segment_fixed_size: 0
    .kernarg_segment_align: 8
    .kernarg_segment_size: 144
    .language:       OpenCL C
    .language_version:
      - 2
      - 0
    .max_flat_workgroup_size: 64
    .name:           _ZL13mul_mat_vec_qIL9ggml_type40ELi8ELb0ELb0EEvPKvS2_PKi31ggml_cuda_mm_fusion_args_devicePfj15HIP_vector_typeIjLj3EEjjjS8_jjjS8_jjjj
    .private_segment_fixed_size: 0
    .sgpr_count:     40
    .sgpr_spill_count: 0
    .symbol:         _ZL13mul_mat_vec_qIL9ggml_type40ELi8ELb0ELb0EEvPKvS2_PKi31ggml_cuda_mm_fusion_args_devicePfj15HIP_vector_typeIjLj3EEjjjS8_jjjS8_jjjj.kd
    .uniform_work_group_size: 1
    .uses_dynamic_stack: false
    .vgpr_count:     201
    .vgpr_spill_count: 0
    .wavefront_size: 64
  - .args:
      - .address_space:  global
        .offset:         0
        .size:           8
        .value_kind:     global_buffer
      - .address_space:  global
        .offset:         8
        .size:           8
        .value_kind:     global_buffer
      - .address_space:  global
        .offset:         16
        .size:           8
        .value_kind:     global_buffer
      - .address_space:  global
        .offset:         24
        .size:           8
        .value_kind:     global_buffer
      - .offset:         32
        .size:           4
        .value_kind:     by_value
      - .offset:         36
        .size:           12
        .value_kind:     by_value
      - .offset:         48
        .size:           4
        .value_kind:     by_value
      - .offset:         52
        .size:           4
        .value_kind:     by_value
      - .offset:         56
        .size:           4
        .value_kind:     by_value
      - .offset:         60
        .size:           4
        .value_kind:     by_value
      - .offset:         64
        .size:           4
        .value_kind:     by_value
      - .offset:         68
        .size:           4
        .value_kind:     by_value
      - .offset:         72
        .size:           4
        .value_kind:     by_value
      - .offset:         76
        .size:           4
        .value_kind:     by_value
      - .offset:         80
        .size:           4
        .value_kind:     by_value
    .group_segment_fixed_size: 0
    .kernarg_segment_align: 8
    .kernarg_segment_size: 84
    .language:       OpenCL C
    .language_version:
      - 2
      - 0
    .max_flat_workgroup_size: 256
    .name:           _ZL17mul_mat_vec_q_moeIL9ggml_type10ELi2EEvPKvS2_PKiPfj15HIP_vector_typeIjLj3EEjjjjjjjjj
    .private_segment_fixed_size: 0
    .sgpr_count:     31
    .sgpr_spill_count: 0
    .symbol:         _ZL17mul_mat_vec_q_moeIL9ggml_type10ELi2EEvPKvS2_PKiPfj15HIP_vector_typeIjLj3EEjjjjjjjjj.kd
    .uniform_work_group_size: 1
    .uses_dynamic_stack: false
    .vgpr_count:     40
    .vgpr_spill_count: 0
    .wavefront_size: 64
  - .args:
      - .address_space:  global
        .offset:         0
        .size:           8
        .value_kind:     global_buffer
      - .address_space:  global
        .offset:         8
        .size:           8
        .value_kind:     global_buffer
      - .address_space:  global
        .offset:         16
        .size:           8
        .value_kind:     global_buffer
      - .offset:         24
        .size:           32
        .value_kind:     by_value
      - .address_space:  global
        .offset:         56
        .size:           8
        .value_kind:     global_buffer
      - .offset:         64
        .size:           4
        .value_kind:     by_value
      - .offset:         68
        .size:           12
        .value_kind:     by_value
      - .offset:         80
        .size:           4
        .value_kind:     by_value
      - .offset:         84
        .size:           4
        .value_kind:     by_value
      - .offset:         88
        .size:           4
        .value_kind:     by_value
      - .offset:         92
        .size:           12
        .value_kind:     by_value
      - .offset:         104
        .size:           4
        .value_kind:     by_value
      - .offset:         108
        .size:           4
        .value_kind:     by_value
      - .offset:         112
        .size:           4
        .value_kind:     by_value
      - .offset:         116
        .size:           12
        .value_kind:     by_value
      - .offset:         128
        .size:           4
        .value_kind:     by_value
      - .offset:         132
        .size:           4
        .value_kind:     by_value
      - .offset:         136
        .size:           4
        .value_kind:     by_value
      - .offset:         140
        .size:           4
        .value_kind:     by_value
    .group_segment_fixed_size: 1024
    .kernarg_segment_align: 8
    .kernarg_segment_size: 144
    .language:       OpenCL C
    .language_version:
      - 2
      - 0
    .max_flat_workgroup_size: 128
    .name:           _ZL13mul_mat_vec_qIL9ggml_type10ELi1ELb1ELb1EEvPKvS2_PKi31ggml_cuda_mm_fusion_args_devicePfj15HIP_vector_typeIjLj3EEjjjS8_jjjS8_jjjj
    .private_segment_fixed_size: 0
    .sgpr_count:     48
    .sgpr_spill_count: 0
    .symbol:         _ZL13mul_mat_vec_qIL9ggml_type10ELi1ELb1ELb1EEvPKvS2_PKi31ggml_cuda_mm_fusion_args_devicePfj15HIP_vector_typeIjLj3EEjjjS8_jjjS8_jjjj.kd
    .uniform_work_group_size: 1
    .uses_dynamic_stack: false
    .vgpr_count:     47
    .vgpr_spill_count: 0
    .wavefront_size: 64
  - .args:
      - .address_space:  global
        .offset:         0
        .size:           8
        .value_kind:     global_buffer
      - .address_space:  global
        .offset:         8
        .size:           8
        .value_kind:     global_buffer
      - .address_space:  global
        .offset:         16
        .size:           8
        .value_kind:     global_buffer
      - .offset:         24
        .size:           32
        .value_kind:     by_value
      - .address_space:  global
        .offset:         56
        .size:           8
        .value_kind:     global_buffer
      - .offset:         64
        .size:           4
        .value_kind:     by_value
      - .offset:         68
        .size:           12
        .value_kind:     by_value
      - .offset:         80
        .size:           4
        .value_kind:     by_value
      - .offset:         84
        .size:           4
        .value_kind:     by_value
      - .offset:         88
        .size:           4
        .value_kind:     by_value
      - .offset:         92
        .size:           12
        .value_kind:     by_value
      - .offset:         104
        .size:           4
        .value_kind:     by_value
      - .offset:         108
        .size:           4
        .value_kind:     by_value
      - .offset:         112
        .size:           4
        .value_kind:     by_value
      - .offset:         116
        .size:           12
        .value_kind:     by_value
      - .offset:         128
        .size:           4
        .value_kind:     by_value
      - .offset:         132
        .size:           4
        .value_kind:     by_value
      - .offset:         136
        .size:           4
        .value_kind:     by_value
      - .offset:         140
        .size:           4
        .value_kind:     by_value
    .group_segment_fixed_size: 512
    .kernarg_segment_align: 8
    .kernarg_segment_size: 144
    .language:       OpenCL C
    .language_version:
      - 2
      - 0
    .max_flat_workgroup_size: 128
    .name:           _ZL13mul_mat_vec_qIL9ggml_type10ELi1ELb0ELb1EEvPKvS2_PKi31ggml_cuda_mm_fusion_args_devicePfj15HIP_vector_typeIjLj3EEjjjS8_jjjS8_jjjj
    .private_segment_fixed_size: 0
    .sgpr_count:     28
    .sgpr_spill_count: 0
    .symbol:         _ZL13mul_mat_vec_qIL9ggml_type10ELi1ELb0ELb1EEvPKvS2_PKi31ggml_cuda_mm_fusion_args_devicePfj15HIP_vector_typeIjLj3EEjjjS8_jjjS8_jjjj.kd
    .uniform_work_group_size: 1
    .uses_dynamic_stack: false
    .vgpr_count:     29
    .vgpr_spill_count: 0
    .wavefront_size: 64
  - .args:
      - .address_space:  global
        .offset:         0
        .size:           8
        .value_kind:     global_buffer
      - .address_space:  global
        .offset:         8
        .size:           8
        .value_kind:     global_buffer
      - .address_space:  global
        .offset:         16
        .size:           8
        .value_kind:     global_buffer
      - .offset:         24
        .size:           32
        .value_kind:     by_value
      - .address_space:  global
        .offset:         56
        .size:           8
        .value_kind:     global_buffer
      - .offset:         64
        .size:           4
        .value_kind:     by_value
      - .offset:         68
        .size:           12
        .value_kind:     by_value
      - .offset:         80
        .size:           4
        .value_kind:     by_value
      - .offset:         84
        .size:           4
        .value_kind:     by_value
      - .offset:         88
        .size:           4
        .value_kind:     by_value
      - .offset:         92
        .size:           12
        .value_kind:     by_value
      - .offset:         104
        .size:           4
        .value_kind:     by_value
      - .offset:         108
        .size:           4
        .value_kind:     by_value
      - .offset:         112
        .size:           4
        .value_kind:     by_value
      - .offset:         116
        .size:           12
        .value_kind:     by_value
      - .offset:         128
        .size:           4
        .value_kind:     by_value
      - .offset:         132
        .size:           4
        .value_kind:     by_value
      - .offset:         136
        .size:           4
        .value_kind:     by_value
      - .offset:         140
        .size:           4
        .value_kind:     by_value
    .group_segment_fixed_size: 512
    .kernarg_segment_align: 8
    .kernarg_segment_size: 144
    .language:       OpenCL C
    .language_version:
      - 2
      - 0
    .max_flat_workgroup_size: 128
    .name:           _ZL13mul_mat_vec_qIL9ggml_type10ELi1ELb1ELb0EEvPKvS2_PKi31ggml_cuda_mm_fusion_args_devicePfj15HIP_vector_typeIjLj3EEjjjS8_jjjS8_jjjj
    .private_segment_fixed_size: 0
    .sgpr_count:     46
    .sgpr_spill_count: 0
    .symbol:         _ZL13mul_mat_vec_qIL9ggml_type10ELi1ELb1ELb0EEvPKvS2_PKi31ggml_cuda_mm_fusion_args_devicePfj15HIP_vector_typeIjLj3EEjjjS8_jjjS8_jjjj.kd
    .uniform_work_group_size: 1
    .uses_dynamic_stack: false
    .vgpr_count:     39
    .vgpr_spill_count: 0
    .wavefront_size: 64
  - .args:
      - .address_space:  global
        .offset:         0
        .size:           8
        .value_kind:     global_buffer
      - .address_space:  global
        .offset:         8
        .size:           8
        .value_kind:     global_buffer
      - .address_space:  global
        .offset:         16
        .size:           8
        .value_kind:     global_buffer
      - .offset:         24
        .size:           32
        .value_kind:     by_value
      - .address_space:  global
        .offset:         56
        .size:           8
        .value_kind:     global_buffer
      - .offset:         64
        .size:           4
        .value_kind:     by_value
      - .offset:         68
        .size:           12
        .value_kind:     by_value
      - .offset:         80
        .size:           4
        .value_kind:     by_value
      - .offset:         84
        .size:           4
        .value_kind:     by_value
      - .offset:         88
        .size:           4
        .value_kind:     by_value
      - .offset:         92
        .size:           12
        .value_kind:     by_value
      - .offset:         104
        .size:           4
        .value_kind:     by_value
      - .offset:         108
        .size:           4
        .value_kind:     by_value
      - .offset:         112
        .size:           4
        .value_kind:     by_value
      - .offset:         116
        .size:           12
        .value_kind:     by_value
      - .offset:         128
        .size:           4
        .value_kind:     by_value
      - .offset:         132
        .size:           4
        .value_kind:     by_value
      - .offset:         136
        .size:           4
        .value_kind:     by_value
      - .offset:         140
        .size:           4
        .value_kind:     by_value
    .group_segment_fixed_size: 256
    .kernarg_segment_align: 8
    .kernarg_segment_size: 144
    .language:       OpenCL C
    .language_version:
      - 2
      - 0
    .max_flat_workgroup_size: 128
    .name:           _ZL13mul_mat_vec_qIL9ggml_type10ELi1ELb0ELb0EEvPKvS2_PKi31ggml_cuda_mm_fusion_args_devicePfj15HIP_vector_typeIjLj3EEjjjS8_jjjS8_jjjj
    .private_segment_fixed_size: 0
    .sgpr_count:     32
    .sgpr_spill_count: 0
    .symbol:         _ZL13mul_mat_vec_qIL9ggml_type10ELi1ELb0ELb0EEvPKvS2_PKi31ggml_cuda_mm_fusion_args_devicePfj15HIP_vector_typeIjLj3EEjjjS8_jjjS8_jjjj.kd
    .uniform_work_group_size: 1
    .uses_dynamic_stack: false
    .vgpr_count:     28
    .vgpr_spill_count: 0
    .wavefront_size: 64
  - .args:
      - .address_space:  global
        .offset:         0
        .size:           8
        .value_kind:     global_buffer
      - .address_space:  global
        .offset:         8
        .size:           8
        .value_kind:     global_buffer
      - .address_space:  global
        .offset:         16
        .size:           8
        .value_kind:     global_buffer
      - .offset:         24
        .size:           32
        .value_kind:     by_value
      - .address_space:  global
        .offset:         56
        .size:           8
        .value_kind:     global_buffer
      - .offset:         64
        .size:           4
        .value_kind:     by_value
      - .offset:         68
        .size:           12
        .value_kind:     by_value
      - .offset:         80
        .size:           4
        .value_kind:     by_value
      - .offset:         84
        .size:           4
        .value_kind:     by_value
      - .offset:         88
        .size:           4
        .value_kind:     by_value
      - .offset:         92
        .size:           12
        .value_kind:     by_value
      - .offset:         104
        .size:           4
        .value_kind:     by_value
      - .offset:         108
        .size:           4
        .value_kind:     by_value
      - .offset:         112
        .size:           4
        .value_kind:     by_value
      - .offset:         116
        .size:           12
        .value_kind:     by_value
      - .offset:         128
        .size:           4
        .value_kind:     by_value
      - .offset:         132
        .size:           4
        .value_kind:     by_value
      - .offset:         136
        .size:           4
        .value_kind:     by_value
      - .offset:         140
        .size:           4
        .value_kind:     by_value
    .group_segment_fixed_size: 1024
    .kernarg_segment_align: 8
    .kernarg_segment_size: 144
    .language:       OpenCL C
    .language_version:
      - 2
      - 0
    .max_flat_workgroup_size: 128
    .name:           _ZL13mul_mat_vec_qIL9ggml_type10ELi2ELb0ELb0EEvPKvS2_PKi31ggml_cuda_mm_fusion_args_devicePfj15HIP_vector_typeIjLj3EEjjjS8_jjjS8_jjjj
    .private_segment_fixed_size: 0
    .sgpr_count:     30
    .sgpr_spill_count: 0
    .symbol:         _ZL13mul_mat_vec_qIL9ggml_type10ELi2ELb0ELb0EEvPKvS2_PKi31ggml_cuda_mm_fusion_args_devicePfj15HIP_vector_typeIjLj3EEjjjS8_jjjS8_jjjj.kd
    .uniform_work_group_size: 1
    .uses_dynamic_stack: false
    .vgpr_count:     62
    .vgpr_spill_count: 0
    .wavefront_size: 64
  - .args:
      - .address_space:  global
        .offset:         0
        .size:           8
        .value_kind:     global_buffer
      - .address_space:  global
        .offset:         8
        .size:           8
        .value_kind:     global_buffer
      - .address_space:  global
        .offset:         16
        .size:           8
        .value_kind:     global_buffer
      - .offset:         24
        .size:           32
        .value_kind:     by_value
      - .address_space:  global
        .offset:         56
        .size:           8
        .value_kind:     global_buffer
      - .offset:         64
        .size:           4
        .value_kind:     by_value
      - .offset:         68
        .size:           12
        .value_kind:     by_value
      - .offset:         80
        .size:           4
        .value_kind:     by_value
      - .offset:         84
        .size:           4
        .value_kind:     by_value
      - .offset:         88
        .size:           4
        .value_kind:     by_value
      - .offset:         92
        .size:           12
        .value_kind:     by_value
      - .offset:         104
        .size:           4
        .value_kind:     by_value
      - .offset:         108
        .size:           4
        .value_kind:     by_value
      - .offset:         112
        .size:           4
        .value_kind:     by_value
      - .offset:         116
        .size:           12
        .value_kind:     by_value
      - .offset:         128
        .size:           4
        .value_kind:     by_value
      - .offset:         132
        .size:           4
        .value_kind:     by_value
      - .offset:         136
        .size:           4
        .value_kind:     by_value
      - .offset:         140
        .size:           4
        .value_kind:     by_value
    .group_segment_fixed_size: 1536
    .kernarg_segment_align: 8
    .kernarg_segment_size: 144
    .language:       OpenCL C
    .language_version:
      - 2
      - 0
    .max_flat_workgroup_size: 128
    .name:           _ZL13mul_mat_vec_qIL9ggml_type10ELi3ELb0ELb0EEvPKvS2_PKi31ggml_cuda_mm_fusion_args_devicePfj15HIP_vector_typeIjLj3EEjjjS8_jjjS8_jjjj
    .private_segment_fixed_size: 0
    .sgpr_count:     30
    .sgpr_spill_count: 0
    .symbol:         _ZL13mul_mat_vec_qIL9ggml_type10ELi3ELb0ELb0EEvPKvS2_PKi31ggml_cuda_mm_fusion_args_devicePfj15HIP_vector_typeIjLj3EEjjjS8_jjjS8_jjjj.kd
    .uniform_work_group_size: 1
    .uses_dynamic_stack: false
    .vgpr_count:     62
    .vgpr_spill_count: 0
    .wavefront_size: 64
  - .args:
      - .address_space:  global
        .offset:         0
        .size:           8
        .value_kind:     global_buffer
      - .address_space:  global
        .offset:         8
        .size:           8
        .value_kind:     global_buffer
      - .address_space:  global
        .offset:         16
        .size:           8
        .value_kind:     global_buffer
      - .offset:         24
        .size:           32
        .value_kind:     by_value
      - .address_space:  global
        .offset:         56
        .size:           8
        .value_kind:     global_buffer
      - .offset:         64
        .size:           4
        .value_kind:     by_value
      - .offset:         68
        .size:           12
        .value_kind:     by_value
      - .offset:         80
        .size:           4
        .value_kind:     by_value
      - .offset:         84
        .size:           4
        .value_kind:     by_value
      - .offset:         88
        .size:           4
        .value_kind:     by_value
      - .offset:         92
        .size:           12
        .value_kind:     by_value
      - .offset:         104
        .size:           4
        .value_kind:     by_value
      - .offset:         108
        .size:           4
        .value_kind:     by_value
      - .offset:         112
        .size:           4
        .value_kind:     by_value
      - .offset:         116
        .size:           12
        .value_kind:     by_value
      - .offset:         128
        .size:           4
        .value_kind:     by_value
      - .offset:         132
        .size:           4
        .value_kind:     by_value
      - .offset:         136
        .size:           4
        .value_kind:     by_value
      - .offset:         140
        .size:           4
        .value_kind:     by_value
    .group_segment_fixed_size: 2048
    .kernarg_segment_align: 8
    .kernarg_segment_size: 144
    .language:       OpenCL C
    .language_version:
      - 2
      - 0
    .max_flat_workgroup_size: 128
    .name:           _ZL13mul_mat_vec_qIL9ggml_type10ELi4ELb0ELb0EEvPKvS2_PKi31ggml_cuda_mm_fusion_args_devicePfj15HIP_vector_typeIjLj3EEjjjS8_jjjS8_jjjj
    .private_segment_fixed_size: 0
    .sgpr_count:     30
    .sgpr_spill_count: 0
    .symbol:         _ZL13mul_mat_vec_qIL9ggml_type10ELi4ELb0ELb0EEvPKvS2_PKi31ggml_cuda_mm_fusion_args_devicePfj15HIP_vector_typeIjLj3EEjjjS8_jjjS8_jjjj.kd
    .uniform_work_group_size: 1
    .uses_dynamic_stack: false
    .vgpr_count:     64
    .vgpr_spill_count: 0
    .wavefront_size: 64
  - .args:
      - .address_space:  global
        .offset:         0
        .size:           8
        .value_kind:     global_buffer
      - .address_space:  global
        .offset:         8
        .size:           8
        .value_kind:     global_buffer
      - .address_space:  global
        .offset:         16
        .size:           8
        .value_kind:     global_buffer
      - .offset:         24
        .size:           32
        .value_kind:     by_value
      - .address_space:  global
        .offset:         56
        .size:           8
        .value_kind:     global_buffer
      - .offset:         64
        .size:           4
        .value_kind:     by_value
      - .offset:         68
        .size:           12
        .value_kind:     by_value
      - .offset:         80
        .size:           4
        .value_kind:     by_value
      - .offset:         84
        .size:           4
        .value_kind:     by_value
      - .offset:         88
        .size:           4
        .value_kind:     by_value
      - .offset:         92
        .size:           12
        .value_kind:     by_value
      - .offset:         104
        .size:           4
        .value_kind:     by_value
      - .offset:         108
        .size:           4
        .value_kind:     by_value
      - .offset:         112
        .size:           4
        .value_kind:     by_value
      - .offset:         116
        .size:           12
        .value_kind:     by_value
      - .offset:         128
        .size:           4
        .value_kind:     by_value
      - .offset:         132
        .size:           4
        .value_kind:     by_value
      - .offset:         136
        .size:           4
        .value_kind:     by_value
      - .offset:         140
        .size:           4
        .value_kind:     by_value
    .group_segment_fixed_size: 0
    .kernarg_segment_align: 8
    .kernarg_segment_size: 144
    .language:       OpenCL C
    .language_version:
      - 2
      - 0
    .max_flat_workgroup_size: 64
    .name:           _ZL13mul_mat_vec_qIL9ggml_type10ELi5ELb0ELb0EEvPKvS2_PKi31ggml_cuda_mm_fusion_args_devicePfj15HIP_vector_typeIjLj3EEjjjS8_jjjS8_jjjj
    .private_segment_fixed_size: 0
    .sgpr_count:     30
    .sgpr_spill_count: 0
    .symbol:         _ZL13mul_mat_vec_qIL9ggml_type10ELi5ELb0ELb0EEvPKvS2_PKi31ggml_cuda_mm_fusion_args_devicePfj15HIP_vector_typeIjLj3EEjjjS8_jjjS8_jjjj.kd
    .uniform_work_group_size: 1
    .uses_dynamic_stack: false
    .vgpr_count:     62
    .vgpr_spill_count: 0
    .wavefront_size: 64
  - .args:
      - .address_space:  global
        .offset:         0
        .size:           8
        .value_kind:     global_buffer
      - .address_space:  global
        .offset:         8
        .size:           8
        .value_kind:     global_buffer
      - .address_space:  global
        .offset:         16
        .size:           8
        .value_kind:     global_buffer
      - .offset:         24
        .size:           32
        .value_kind:     by_value
      - .address_space:  global
        .offset:         56
        .size:           8
        .value_kind:     global_buffer
      - .offset:         64
        .size:           4
        .value_kind:     by_value
      - .offset:         68
        .size:           12
        .value_kind:     by_value
      - .offset:         80
        .size:           4
        .value_kind:     by_value
      - .offset:         84
        .size:           4
        .value_kind:     by_value
      - .offset:         88
        .size:           4
        .value_kind:     by_value
      - .offset:         92
        .size:           12
        .value_kind:     by_value
      - .offset:         104
        .size:           4
        .value_kind:     by_value
      - .offset:         108
        .size:           4
        .value_kind:     by_value
      - .offset:         112
        .size:           4
        .value_kind:     by_value
      - .offset:         116
        .size:           12
        .value_kind:     by_value
      - .offset:         128
        .size:           4
        .value_kind:     by_value
      - .offset:         132
        .size:           4
        .value_kind:     by_value
      - .offset:         136
        .size:           4
        .value_kind:     by_value
      - .offset:         140
        .size:           4
        .value_kind:     by_value
    .group_segment_fixed_size: 0
    .kernarg_segment_align: 8
    .kernarg_segment_size: 144
    .language:       OpenCL C
    .language_version:
      - 2
      - 0
    .max_flat_workgroup_size: 64
    .name:           _ZL13mul_mat_vec_qIL9ggml_type10ELi6ELb0ELb0EEvPKvS2_PKi31ggml_cuda_mm_fusion_args_devicePfj15HIP_vector_typeIjLj3EEjjjS8_jjjS8_jjjj
    .private_segment_fixed_size: 0
    .sgpr_count:     30
    .sgpr_spill_count: 0
    .symbol:         _ZL13mul_mat_vec_qIL9ggml_type10ELi6ELb0ELb0EEvPKvS2_PKi31ggml_cuda_mm_fusion_args_devicePfj15HIP_vector_typeIjLj3EEjjjS8_jjjS8_jjjj.kd
    .uniform_work_group_size: 1
    .uses_dynamic_stack: false
    .vgpr_count:     64
    .vgpr_spill_count: 0
    .wavefront_size: 64
  - .args:
      - .address_space:  global
        .offset:         0
        .size:           8
        .value_kind:     global_buffer
      - .address_space:  global
        .offset:         8
        .size:           8
        .value_kind:     global_buffer
      - .address_space:  global
        .offset:         16
        .size:           8
        .value_kind:     global_buffer
      - .offset:         24
        .size:           32
        .value_kind:     by_value
      - .address_space:  global
        .offset:         56
        .size:           8
        .value_kind:     global_buffer
      - .offset:         64
        .size:           4
        .value_kind:     by_value
      - .offset:         68
        .size:           12
        .value_kind:     by_value
      - .offset:         80
        .size:           4
        .value_kind:     by_value
      - .offset:         84
        .size:           4
        .value_kind:     by_value
      - .offset:         88
        .size:           4
        .value_kind:     by_value
      - .offset:         92
        .size:           12
        .value_kind:     by_value
      - .offset:         104
        .size:           4
        .value_kind:     by_value
      - .offset:         108
        .size:           4
        .value_kind:     by_value
      - .offset:         112
        .size:           4
        .value_kind:     by_value
      - .offset:         116
        .size:           12
        .value_kind:     by_value
      - .offset:         128
        .size:           4
        .value_kind:     by_value
      - .offset:         132
        .size:           4
        .value_kind:     by_value
      - .offset:         136
        .size:           4
        .value_kind:     by_value
      - .offset:         140
        .size:           4
        .value_kind:     by_value
    .group_segment_fixed_size: 0
    .kernarg_segment_align: 8
    .kernarg_segment_size: 144
    .language:       OpenCL C
    .language_version:
      - 2
      - 0
    .max_flat_workgroup_size: 64
    .name:           _ZL13mul_mat_vec_qIL9ggml_type10ELi7ELb0ELb0EEvPKvS2_PKi31ggml_cuda_mm_fusion_args_devicePfj15HIP_vector_typeIjLj3EEjjjS8_jjjS8_jjjj
    .private_segment_fixed_size: 0
    .sgpr_count:     32
    .sgpr_spill_count: 0
    .symbol:         _ZL13mul_mat_vec_qIL9ggml_type10ELi7ELb0ELb0EEvPKvS2_PKi31ggml_cuda_mm_fusion_args_devicePfj15HIP_vector_typeIjLj3EEjjjS8_jjjS8_jjjj.kd
    .uniform_work_group_size: 1
    .uses_dynamic_stack: false
    .vgpr_count:     66
    .vgpr_spill_count: 0
    .wavefront_size: 64
  - .args:
      - .address_space:  global
        .offset:         0
        .size:           8
        .value_kind:     global_buffer
      - .address_space:  global
        .offset:         8
        .size:           8
        .value_kind:     global_buffer
      - .address_space:  global
        .offset:         16
        .size:           8
        .value_kind:     global_buffer
      - .offset:         24
        .size:           32
        .value_kind:     by_value
      - .address_space:  global
        .offset:         56
        .size:           8
        .value_kind:     global_buffer
      - .offset:         64
        .size:           4
        .value_kind:     by_value
      - .offset:         68
        .size:           12
        .value_kind:     by_value
      - .offset:         80
        .size:           4
        .value_kind:     by_value
      - .offset:         84
        .size:           4
        .value_kind:     by_value
      - .offset:         88
        .size:           4
        .value_kind:     by_value
      - .offset:         92
        .size:           12
        .value_kind:     by_value
      - .offset:         104
        .size:           4
        .value_kind:     by_value
      - .offset:         108
        .size:           4
        .value_kind:     by_value
      - .offset:         112
        .size:           4
        .value_kind:     by_value
      - .offset:         116
        .size:           12
        .value_kind:     by_value
      - .offset:         128
        .size:           4
        .value_kind:     by_value
      - .offset:         132
        .size:           4
        .value_kind:     by_value
      - .offset:         136
        .size:           4
        .value_kind:     by_value
      - .offset:         140
        .size:           4
        .value_kind:     by_value
    .group_segment_fixed_size: 0
    .kernarg_segment_align: 8
    .kernarg_segment_size: 144
    .language:       OpenCL C
    .language_version:
      - 2
      - 0
    .max_flat_workgroup_size: 64
    .name:           _ZL13mul_mat_vec_qIL9ggml_type10ELi8ELb0ELb0EEvPKvS2_PKi31ggml_cuda_mm_fusion_args_devicePfj15HIP_vector_typeIjLj3EEjjjS8_jjjS8_jjjj
    .private_segment_fixed_size: 0
    .sgpr_count:     32
    .sgpr_spill_count: 0
    .symbol:         _ZL13mul_mat_vec_qIL9ggml_type10ELi8ELb0ELb0EEvPKvS2_PKi31ggml_cuda_mm_fusion_args_devicePfj15HIP_vector_typeIjLj3EEjjjS8_jjjS8_jjjj.kd
    .uniform_work_group_size: 1
    .uses_dynamic_stack: false
    .vgpr_count:     68
    .vgpr_spill_count: 0
    .wavefront_size: 64
  - .args:
      - .address_space:  global
        .offset:         0
        .size:           8
        .value_kind:     global_buffer
      - .address_space:  global
        .offset:         8
        .size:           8
        .value_kind:     global_buffer
      - .address_space:  global
        .offset:         16
        .size:           8
        .value_kind:     global_buffer
      - .address_space:  global
        .offset:         24
        .size:           8
        .value_kind:     global_buffer
      - .offset:         32
        .size:           4
        .value_kind:     by_value
      - .offset:         36
        .size:           12
        .value_kind:     by_value
      - .offset:         48
        .size:           4
        .value_kind:     by_value
      - .offset:         52
        .size:           4
        .value_kind:     by_value
      - .offset:         56
        .size:           4
        .value_kind:     by_value
      - .offset:         60
        .size:           4
        .value_kind:     by_value
      - .offset:         64
        .size:           4
        .value_kind:     by_value
      - .offset:         68
        .size:           4
        .value_kind:     by_value
      - .offset:         72
        .size:           4
        .value_kind:     by_value
      - .offset:         76
        .size:           4
        .value_kind:     by_value
      - .offset:         80
        .size:           4
        .value_kind:     by_value
    .group_segment_fixed_size: 0
    .kernarg_segment_align: 8
    .kernarg_segment_size: 84
    .language:       OpenCL C
    .language_version:
      - 2
      - 0
    .max_flat_workgroup_size: 256
    .name:           _ZL17mul_mat_vec_q_moeIL9ggml_type11ELi2EEvPKvS2_PKiPfj15HIP_vector_typeIjLj3EEjjjjjjjjj
    .private_segment_fixed_size: 0
    .sgpr_count:     30
    .sgpr_spill_count: 0
    .symbol:         _ZL17mul_mat_vec_q_moeIL9ggml_type11ELi2EEvPKvS2_PKiPfj15HIP_vector_typeIjLj3EEjjjjjjjjj.kd
    .uniform_work_group_size: 1
    .uses_dynamic_stack: false
    .vgpr_count:     64
    .vgpr_spill_count: 0
    .wavefront_size: 64
  - .args:
      - .address_space:  global
        .offset:         0
        .size:           8
        .value_kind:     global_buffer
      - .address_space:  global
        .offset:         8
        .size:           8
        .value_kind:     global_buffer
      - .address_space:  global
        .offset:         16
        .size:           8
        .value_kind:     global_buffer
      - .offset:         24
        .size:           32
        .value_kind:     by_value
      - .address_space:  global
        .offset:         56
        .size:           8
        .value_kind:     global_buffer
      - .offset:         64
        .size:           4
        .value_kind:     by_value
      - .offset:         68
        .size:           12
        .value_kind:     by_value
      - .offset:         80
        .size:           4
        .value_kind:     by_value
      - .offset:         84
        .size:           4
        .value_kind:     by_value
      - .offset:         88
        .size:           4
        .value_kind:     by_value
      - .offset:         92
        .size:           12
        .value_kind:     by_value
      - .offset:         104
        .size:           4
        .value_kind:     by_value
      - .offset:         108
        .size:           4
        .value_kind:     by_value
      - .offset:         112
        .size:           4
        .value_kind:     by_value
      - .offset:         116
        .size:           12
        .value_kind:     by_value
      - .offset:         128
        .size:           4
        .value_kind:     by_value
      - .offset:         132
        .size:           4
        .value_kind:     by_value
      - .offset:         136
        .size:           4
        .value_kind:     by_value
      - .offset:         140
        .size:           4
        .value_kind:     by_value
    .group_segment_fixed_size: 1024
    .kernarg_segment_align: 8
    .kernarg_segment_size: 144
    .language:       OpenCL C
    .language_version:
      - 2
      - 0
    .max_flat_workgroup_size: 128
    .name:           _ZL13mul_mat_vec_qIL9ggml_type11ELi1ELb1ELb1EEvPKvS2_PKi31ggml_cuda_mm_fusion_args_devicePfj15HIP_vector_typeIjLj3EEjjjS8_jjjS8_jjjj
    .private_segment_fixed_size: 0
    .sgpr_count:     48
    .sgpr_spill_count: 0
    .symbol:         _ZL13mul_mat_vec_qIL9ggml_type11ELi1ELb1ELb1EEvPKvS2_PKi31ggml_cuda_mm_fusion_args_devicePfj15HIP_vector_typeIjLj3EEjjjS8_jjjS8_jjjj.kd
    .uniform_work_group_size: 1
    .uses_dynamic_stack: false
    .vgpr_count:     72
    .vgpr_spill_count: 0
    .wavefront_size: 64
  - .args:
      - .address_space:  global
        .offset:         0
        .size:           8
        .value_kind:     global_buffer
      - .address_space:  global
        .offset:         8
        .size:           8
        .value_kind:     global_buffer
      - .address_space:  global
        .offset:         16
        .size:           8
        .value_kind:     global_buffer
      - .offset:         24
        .size:           32
        .value_kind:     by_value
      - .address_space:  global
        .offset:         56
        .size:           8
        .value_kind:     global_buffer
      - .offset:         64
        .size:           4
        .value_kind:     by_value
      - .offset:         68
        .size:           12
        .value_kind:     by_value
      - .offset:         80
        .size:           4
        .value_kind:     by_value
      - .offset:         84
        .size:           4
        .value_kind:     by_value
      - .offset:         88
        .size:           4
        .value_kind:     by_value
      - .offset:         92
        .size:           12
        .value_kind:     by_value
      - .offset:         104
        .size:           4
        .value_kind:     by_value
      - .offset:         108
        .size:           4
        .value_kind:     by_value
      - .offset:         112
        .size:           4
        .value_kind:     by_value
      - .offset:         116
        .size:           12
        .value_kind:     by_value
      - .offset:         128
        .size:           4
        .value_kind:     by_value
      - .offset:         132
        .size:           4
        .value_kind:     by_value
      - .offset:         136
        .size:           4
        .value_kind:     by_value
      - .offset:         140
        .size:           4
        .value_kind:     by_value
    .group_segment_fixed_size: 512
    .kernarg_segment_align: 8
    .kernarg_segment_size: 144
    .language:       OpenCL C
    .language_version:
      - 2
      - 0
    .max_flat_workgroup_size: 128
    .name:           _ZL13mul_mat_vec_qIL9ggml_type11ELi1ELb0ELb1EEvPKvS2_PKi31ggml_cuda_mm_fusion_args_devicePfj15HIP_vector_typeIjLj3EEjjjS8_jjjS8_jjjj
    .private_segment_fixed_size: 0
    .sgpr_count:     28
    .sgpr_spill_count: 0
    .symbol:         _ZL13mul_mat_vec_qIL9ggml_type11ELi1ELb0ELb1EEvPKvS2_PKi31ggml_cuda_mm_fusion_args_devicePfj15HIP_vector_typeIjLj3EEjjjS8_jjjS8_jjjj.kd
    .uniform_work_group_size: 1
    .uses_dynamic_stack: false
    .vgpr_count:     42
    .vgpr_spill_count: 0
    .wavefront_size: 64
  - .args:
      - .address_space:  global
        .offset:         0
        .size:           8
        .value_kind:     global_buffer
      - .address_space:  global
        .offset:         8
        .size:           8
        .value_kind:     global_buffer
      - .address_space:  global
        .offset:         16
        .size:           8
        .value_kind:     global_buffer
      - .offset:         24
        .size:           32
        .value_kind:     by_value
      - .address_space:  global
        .offset:         56
        .size:           8
        .value_kind:     global_buffer
      - .offset:         64
        .size:           4
        .value_kind:     by_value
      - .offset:         68
        .size:           12
        .value_kind:     by_value
      - .offset:         80
        .size:           4
        .value_kind:     by_value
      - .offset:         84
        .size:           4
        .value_kind:     by_value
      - .offset:         88
        .size:           4
        .value_kind:     by_value
      - .offset:         92
        .size:           12
        .value_kind:     by_value
      - .offset:         104
        .size:           4
        .value_kind:     by_value
      - .offset:         108
        .size:           4
        .value_kind:     by_value
      - .offset:         112
        .size:           4
        .value_kind:     by_value
      - .offset:         116
        .size:           12
        .value_kind:     by_value
      - .offset:         128
        .size:           4
        .value_kind:     by_value
      - .offset:         132
        .size:           4
        .value_kind:     by_value
      - .offset:         136
        .size:           4
        .value_kind:     by_value
      - .offset:         140
        .size:           4
        .value_kind:     by_value
    .group_segment_fixed_size: 512
    .kernarg_segment_align: 8
    .kernarg_segment_size: 144
    .language:       OpenCL C
    .language_version:
      - 2
      - 0
    .max_flat_workgroup_size: 128
    .name:           _ZL13mul_mat_vec_qIL9ggml_type11ELi1ELb1ELb0EEvPKvS2_PKi31ggml_cuda_mm_fusion_args_devicePfj15HIP_vector_typeIjLj3EEjjjS8_jjjS8_jjjj
    .private_segment_fixed_size: 0
    .sgpr_count:     46
    .sgpr_spill_count: 0
    .symbol:         _ZL13mul_mat_vec_qIL9ggml_type11ELi1ELb1ELb0EEvPKvS2_PKi31ggml_cuda_mm_fusion_args_devicePfj15HIP_vector_typeIjLj3EEjjjS8_jjjS8_jjjj.kd
    .uniform_work_group_size: 1
    .uses_dynamic_stack: false
    .vgpr_count:     60
    .vgpr_spill_count: 0
    .wavefront_size: 64
  - .args:
      - .address_space:  global
        .offset:         0
        .size:           8
        .value_kind:     global_buffer
      - .address_space:  global
        .offset:         8
        .size:           8
        .value_kind:     global_buffer
      - .address_space:  global
        .offset:         16
        .size:           8
        .value_kind:     global_buffer
      - .offset:         24
        .size:           32
        .value_kind:     by_value
      - .address_space:  global
        .offset:         56
        .size:           8
        .value_kind:     global_buffer
      - .offset:         64
        .size:           4
        .value_kind:     by_value
      - .offset:         68
        .size:           12
        .value_kind:     by_value
      - .offset:         80
        .size:           4
        .value_kind:     by_value
      - .offset:         84
        .size:           4
        .value_kind:     by_value
      - .offset:         88
        .size:           4
        .value_kind:     by_value
      - .offset:         92
        .size:           12
        .value_kind:     by_value
      - .offset:         104
        .size:           4
        .value_kind:     by_value
      - .offset:         108
        .size:           4
        .value_kind:     by_value
      - .offset:         112
        .size:           4
        .value_kind:     by_value
      - .offset:         116
        .size:           12
        .value_kind:     by_value
      - .offset:         128
        .size:           4
        .value_kind:     by_value
      - .offset:         132
        .size:           4
        .value_kind:     by_value
      - .offset:         136
        .size:           4
        .value_kind:     by_value
      - .offset:         140
        .size:           4
        .value_kind:     by_value
    .group_segment_fixed_size: 256
    .kernarg_segment_align: 8
    .kernarg_segment_size: 144
    .language:       OpenCL C
    .language_version:
      - 2
      - 0
    .max_flat_workgroup_size: 128
    .name:           _ZL13mul_mat_vec_qIL9ggml_type11ELi1ELb0ELb0EEvPKvS2_PKi31ggml_cuda_mm_fusion_args_devicePfj15HIP_vector_typeIjLj3EEjjjS8_jjjS8_jjjj
    .private_segment_fixed_size: 0
    .sgpr_count:     28
    .sgpr_spill_count: 0
    .symbol:         _ZL13mul_mat_vec_qIL9ggml_type11ELi1ELb0ELb0EEvPKvS2_PKi31ggml_cuda_mm_fusion_args_devicePfj15HIP_vector_typeIjLj3EEjjjS8_jjjS8_jjjj.kd
    .uniform_work_group_size: 1
    .uses_dynamic_stack: false
    .vgpr_count:     39
    .vgpr_spill_count: 0
    .wavefront_size: 64
  - .args:
      - .address_space:  global
        .offset:         0
        .size:           8
        .value_kind:     global_buffer
      - .address_space:  global
        .offset:         8
        .size:           8
        .value_kind:     global_buffer
      - .address_space:  global
        .offset:         16
        .size:           8
        .value_kind:     global_buffer
      - .offset:         24
        .size:           32
        .value_kind:     by_value
      - .address_space:  global
        .offset:         56
        .size:           8
        .value_kind:     global_buffer
      - .offset:         64
        .size:           4
        .value_kind:     by_value
      - .offset:         68
        .size:           12
        .value_kind:     by_value
      - .offset:         80
        .size:           4
        .value_kind:     by_value
      - .offset:         84
        .size:           4
        .value_kind:     by_value
      - .offset:         88
        .size:           4
        .value_kind:     by_value
      - .offset:         92
        .size:           12
        .value_kind:     by_value
      - .offset:         104
        .size:           4
        .value_kind:     by_value
      - .offset:         108
        .size:           4
        .value_kind:     by_value
      - .offset:         112
        .size:           4
        .value_kind:     by_value
      - .offset:         116
        .size:           12
        .value_kind:     by_value
      - .offset:         128
        .size:           4
        .value_kind:     by_value
      - .offset:         132
        .size:           4
        .value_kind:     by_value
      - .offset:         136
        .size:           4
        .value_kind:     by_value
      - .offset:         140
        .size:           4
        .value_kind:     by_value
    .group_segment_fixed_size: 1024
    .kernarg_segment_align: 8
    .kernarg_segment_size: 144
    .language:       OpenCL C
    .language_version:
      - 2
      - 0
    .max_flat_workgroup_size: 128
    .name:           _ZL13mul_mat_vec_qIL9ggml_type11ELi2ELb0ELb0EEvPKvS2_PKi31ggml_cuda_mm_fusion_args_devicePfj15HIP_vector_typeIjLj3EEjjjS8_jjjS8_jjjj
    .private_segment_fixed_size: 0
    .sgpr_count:     30
    .sgpr_spill_count: 0
    .symbol:         _ZL13mul_mat_vec_qIL9ggml_type11ELi2ELb0ELb0EEvPKvS2_PKi31ggml_cuda_mm_fusion_args_devicePfj15HIP_vector_typeIjLj3EEjjjS8_jjjS8_jjjj.kd
    .uniform_work_group_size: 1
    .uses_dynamic_stack: false
    .vgpr_count:     71
    .vgpr_spill_count: 0
    .wavefront_size: 64
  - .args:
      - .address_space:  global
        .offset:         0
        .size:           8
        .value_kind:     global_buffer
      - .address_space:  global
        .offset:         8
        .size:           8
        .value_kind:     global_buffer
      - .address_space:  global
        .offset:         16
        .size:           8
        .value_kind:     global_buffer
      - .offset:         24
        .size:           32
        .value_kind:     by_value
      - .address_space:  global
        .offset:         56
        .size:           8
        .value_kind:     global_buffer
      - .offset:         64
        .size:           4
        .value_kind:     by_value
      - .offset:         68
        .size:           12
        .value_kind:     by_value
      - .offset:         80
        .size:           4
        .value_kind:     by_value
      - .offset:         84
        .size:           4
        .value_kind:     by_value
      - .offset:         88
        .size:           4
        .value_kind:     by_value
      - .offset:         92
        .size:           12
        .value_kind:     by_value
      - .offset:         104
        .size:           4
        .value_kind:     by_value
      - .offset:         108
        .size:           4
        .value_kind:     by_value
      - .offset:         112
        .size:           4
        .value_kind:     by_value
      - .offset:         116
        .size:           12
        .value_kind:     by_value
      - .offset:         128
        .size:           4
        .value_kind:     by_value
      - .offset:         132
        .size:           4
        .value_kind:     by_value
      - .offset:         136
        .size:           4
        .value_kind:     by_value
      - .offset:         140
        .size:           4
        .value_kind:     by_value
    .group_segment_fixed_size: 1536
    .kernarg_segment_align: 8
    .kernarg_segment_size: 144
    .language:       OpenCL C
    .language_version:
      - 2
      - 0
    .max_flat_workgroup_size: 128
    .name:           _ZL13mul_mat_vec_qIL9ggml_type11ELi3ELb0ELb0EEvPKvS2_PKi31ggml_cuda_mm_fusion_args_devicePfj15HIP_vector_typeIjLj3EEjjjS8_jjjS8_jjjj
    .private_segment_fixed_size: 0
    .sgpr_count:     30
    .sgpr_spill_count: 0
    .symbol:         _ZL13mul_mat_vec_qIL9ggml_type11ELi3ELb0ELb0EEvPKvS2_PKi31ggml_cuda_mm_fusion_args_devicePfj15HIP_vector_typeIjLj3EEjjjS8_jjjS8_jjjj.kd
    .uniform_work_group_size: 1
    .uses_dynamic_stack: false
    .vgpr_count:     78
    .vgpr_spill_count: 0
    .wavefront_size: 64
  - .args:
      - .address_space:  global
        .offset:         0
        .size:           8
        .value_kind:     global_buffer
      - .address_space:  global
        .offset:         8
        .size:           8
        .value_kind:     global_buffer
      - .address_space:  global
        .offset:         16
        .size:           8
        .value_kind:     global_buffer
      - .offset:         24
        .size:           32
        .value_kind:     by_value
      - .address_space:  global
        .offset:         56
        .size:           8
        .value_kind:     global_buffer
      - .offset:         64
        .size:           4
        .value_kind:     by_value
      - .offset:         68
        .size:           12
        .value_kind:     by_value
      - .offset:         80
        .size:           4
        .value_kind:     by_value
      - .offset:         84
        .size:           4
        .value_kind:     by_value
      - .offset:         88
        .size:           4
        .value_kind:     by_value
      - .offset:         92
        .size:           12
        .value_kind:     by_value
      - .offset:         104
        .size:           4
        .value_kind:     by_value
      - .offset:         108
        .size:           4
        .value_kind:     by_value
      - .offset:         112
        .size:           4
        .value_kind:     by_value
      - .offset:         116
        .size:           12
        .value_kind:     by_value
      - .offset:         128
        .size:           4
        .value_kind:     by_value
      - .offset:         132
        .size:           4
        .value_kind:     by_value
      - .offset:         136
        .size:           4
        .value_kind:     by_value
      - .offset:         140
        .size:           4
        .value_kind:     by_value
    .group_segment_fixed_size: 2048
    .kernarg_segment_align: 8
    .kernarg_segment_size: 144
    .language:       OpenCL C
    .language_version:
      - 2
      - 0
    .max_flat_workgroup_size: 128
    .name:           _ZL13mul_mat_vec_qIL9ggml_type11ELi4ELb0ELb0EEvPKvS2_PKi31ggml_cuda_mm_fusion_args_devicePfj15HIP_vector_typeIjLj3EEjjjS8_jjjS8_jjjj
    .private_segment_fixed_size: 0
    .sgpr_count:     30
    .sgpr_spill_count: 0
    .symbol:         _ZL13mul_mat_vec_qIL9ggml_type11ELi4ELb0ELb0EEvPKvS2_PKi31ggml_cuda_mm_fusion_args_devicePfj15HIP_vector_typeIjLj3EEjjjS8_jjjS8_jjjj.kd
    .uniform_work_group_size: 1
    .uses_dynamic_stack: false
    .vgpr_count:     84
    .vgpr_spill_count: 0
    .wavefront_size: 64
  - .args:
      - .address_space:  global
        .offset:         0
        .size:           8
        .value_kind:     global_buffer
      - .address_space:  global
        .offset:         8
        .size:           8
        .value_kind:     global_buffer
      - .address_space:  global
        .offset:         16
        .size:           8
        .value_kind:     global_buffer
      - .offset:         24
        .size:           32
        .value_kind:     by_value
      - .address_space:  global
        .offset:         56
        .size:           8
        .value_kind:     global_buffer
      - .offset:         64
        .size:           4
        .value_kind:     by_value
      - .offset:         68
        .size:           12
        .value_kind:     by_value
      - .offset:         80
        .size:           4
        .value_kind:     by_value
      - .offset:         84
        .size:           4
        .value_kind:     by_value
      - .offset:         88
        .size:           4
        .value_kind:     by_value
      - .offset:         92
        .size:           12
        .value_kind:     by_value
      - .offset:         104
        .size:           4
        .value_kind:     by_value
      - .offset:         108
        .size:           4
        .value_kind:     by_value
      - .offset:         112
        .size:           4
        .value_kind:     by_value
      - .offset:         116
        .size:           12
        .value_kind:     by_value
      - .offset:         128
        .size:           4
        .value_kind:     by_value
      - .offset:         132
        .size:           4
        .value_kind:     by_value
      - .offset:         136
        .size:           4
        .value_kind:     by_value
      - .offset:         140
        .size:           4
        .value_kind:     by_value
    .group_segment_fixed_size: 0
    .kernarg_segment_align: 8
    .kernarg_segment_size: 144
    .language:       OpenCL C
    .language_version:
      - 2
      - 0
    .max_flat_workgroup_size: 64
    .name:           _ZL13mul_mat_vec_qIL9ggml_type11ELi5ELb0ELb0EEvPKvS2_PKi31ggml_cuda_mm_fusion_args_devicePfj15HIP_vector_typeIjLj3EEjjjS8_jjjS8_jjjj
    .private_segment_fixed_size: 0
    .sgpr_count:     30
    .sgpr_spill_count: 0
    .symbol:         _ZL13mul_mat_vec_qIL9ggml_type11ELi5ELb0ELb0EEvPKvS2_PKi31ggml_cuda_mm_fusion_args_devicePfj15HIP_vector_typeIjLj3EEjjjS8_jjjS8_jjjj.kd
    .uniform_work_group_size: 1
    .uses_dynamic_stack: false
    .vgpr_count:     125
    .vgpr_spill_count: 0
    .wavefront_size: 64
  - .args:
      - .address_space:  global
        .offset:         0
        .size:           8
        .value_kind:     global_buffer
      - .address_space:  global
        .offset:         8
        .size:           8
        .value_kind:     global_buffer
      - .address_space:  global
        .offset:         16
        .size:           8
        .value_kind:     global_buffer
      - .offset:         24
        .size:           32
        .value_kind:     by_value
      - .address_space:  global
        .offset:         56
        .size:           8
        .value_kind:     global_buffer
      - .offset:         64
        .size:           4
        .value_kind:     by_value
      - .offset:         68
        .size:           12
        .value_kind:     by_value
      - .offset:         80
        .size:           4
        .value_kind:     by_value
      - .offset:         84
        .size:           4
        .value_kind:     by_value
      - .offset:         88
        .size:           4
        .value_kind:     by_value
      - .offset:         92
        .size:           12
        .value_kind:     by_value
      - .offset:         104
        .size:           4
        .value_kind:     by_value
      - .offset:         108
        .size:           4
        .value_kind:     by_value
      - .offset:         112
        .size:           4
        .value_kind:     by_value
      - .offset:         116
        .size:           12
        .value_kind:     by_value
      - .offset:         128
        .size:           4
        .value_kind:     by_value
      - .offset:         132
        .size:           4
        .value_kind:     by_value
      - .offset:         136
        .size:           4
        .value_kind:     by_value
      - .offset:         140
        .size:           4
        .value_kind:     by_value
    .group_segment_fixed_size: 0
    .kernarg_segment_align: 8
    .kernarg_segment_size: 144
    .language:       OpenCL C
    .language_version:
      - 2
      - 0
    .max_flat_workgroup_size: 64
    .name:           _ZL13mul_mat_vec_qIL9ggml_type11ELi6ELb0ELb0EEvPKvS2_PKi31ggml_cuda_mm_fusion_args_devicePfj15HIP_vector_typeIjLj3EEjjjS8_jjjS8_jjjj
    .private_segment_fixed_size: 0
    .sgpr_count:     30
    .sgpr_spill_count: 0
    .symbol:         _ZL13mul_mat_vec_qIL9ggml_type11ELi6ELb0ELb0EEvPKvS2_PKi31ggml_cuda_mm_fusion_args_devicePfj15HIP_vector_typeIjLj3EEjjjS8_jjjS8_jjjj.kd
    .uniform_work_group_size: 1
    .uses_dynamic_stack: false
    .vgpr_count:     126
    .vgpr_spill_count: 0
    .wavefront_size: 64
  - .args:
      - .address_space:  global
        .offset:         0
        .size:           8
        .value_kind:     global_buffer
      - .address_space:  global
        .offset:         8
        .size:           8
        .value_kind:     global_buffer
      - .address_space:  global
        .offset:         16
        .size:           8
        .value_kind:     global_buffer
      - .offset:         24
        .size:           32
        .value_kind:     by_value
      - .address_space:  global
        .offset:         56
        .size:           8
        .value_kind:     global_buffer
      - .offset:         64
        .size:           4
        .value_kind:     by_value
      - .offset:         68
        .size:           12
        .value_kind:     by_value
      - .offset:         80
        .size:           4
        .value_kind:     by_value
      - .offset:         84
        .size:           4
        .value_kind:     by_value
      - .offset:         88
        .size:           4
        .value_kind:     by_value
      - .offset:         92
        .size:           12
        .value_kind:     by_value
      - .offset:         104
        .size:           4
        .value_kind:     by_value
      - .offset:         108
        .size:           4
        .value_kind:     by_value
      - .offset:         112
        .size:           4
        .value_kind:     by_value
      - .offset:         116
        .size:           12
        .value_kind:     by_value
      - .offset:         128
        .size:           4
        .value_kind:     by_value
      - .offset:         132
        .size:           4
        .value_kind:     by_value
      - .offset:         136
        .size:           4
        .value_kind:     by_value
      - .offset:         140
        .size:           4
        .value_kind:     by_value
    .group_segment_fixed_size: 0
    .kernarg_segment_align: 8
    .kernarg_segment_size: 144
    .language:       OpenCL C
    .language_version:
      - 2
      - 0
    .max_flat_workgroup_size: 64
    .name:           _ZL13mul_mat_vec_qIL9ggml_type11ELi7ELb0ELb0EEvPKvS2_PKi31ggml_cuda_mm_fusion_args_devicePfj15HIP_vector_typeIjLj3EEjjjS8_jjjS8_jjjj
    .private_segment_fixed_size: 0
    .sgpr_count:     30
    .sgpr_spill_count: 0
    .symbol:         _ZL13mul_mat_vec_qIL9ggml_type11ELi7ELb0ELb0EEvPKvS2_PKi31ggml_cuda_mm_fusion_args_devicePfj15HIP_vector_typeIjLj3EEjjjS8_jjjS8_jjjj.kd
    .uniform_work_group_size: 1
    .uses_dynamic_stack: false
    .vgpr_count:     107
    .vgpr_spill_count: 0
    .wavefront_size: 64
  - .args:
      - .address_space:  global
        .offset:         0
        .size:           8
        .value_kind:     global_buffer
      - .address_space:  global
        .offset:         8
        .size:           8
        .value_kind:     global_buffer
      - .address_space:  global
        .offset:         16
        .size:           8
        .value_kind:     global_buffer
      - .offset:         24
        .size:           32
        .value_kind:     by_value
      - .address_space:  global
        .offset:         56
        .size:           8
        .value_kind:     global_buffer
      - .offset:         64
        .size:           4
        .value_kind:     by_value
      - .offset:         68
        .size:           12
        .value_kind:     by_value
      - .offset:         80
        .size:           4
        .value_kind:     by_value
      - .offset:         84
        .size:           4
        .value_kind:     by_value
      - .offset:         88
        .size:           4
        .value_kind:     by_value
      - .offset:         92
        .size:           12
        .value_kind:     by_value
      - .offset:         104
        .size:           4
        .value_kind:     by_value
      - .offset:         108
        .size:           4
        .value_kind:     by_value
      - .offset:         112
        .size:           4
        .value_kind:     by_value
      - .offset:         116
        .size:           12
        .value_kind:     by_value
      - .offset:         128
        .size:           4
        .value_kind:     by_value
      - .offset:         132
        .size:           4
        .value_kind:     by_value
      - .offset:         136
        .size:           4
        .value_kind:     by_value
      - .offset:         140
        .size:           4
        .value_kind:     by_value
    .group_segment_fixed_size: 0
    .kernarg_segment_align: 8
    .kernarg_segment_size: 144
    .language:       OpenCL C
    .language_version:
      - 2
      - 0
    .max_flat_workgroup_size: 64
    .name:           _ZL13mul_mat_vec_qIL9ggml_type11ELi8ELb0ELb0EEvPKvS2_PKi31ggml_cuda_mm_fusion_args_devicePfj15HIP_vector_typeIjLj3EEjjjS8_jjjS8_jjjj
    .private_segment_fixed_size: 0
    .sgpr_count:     32
    .sgpr_spill_count: 0
    .symbol:         _ZL13mul_mat_vec_qIL9ggml_type11ELi8ELb0ELb0EEvPKvS2_PKi31ggml_cuda_mm_fusion_args_devicePfj15HIP_vector_typeIjLj3EEjjjS8_jjjS8_jjjj.kd
    .uniform_work_group_size: 1
    .uses_dynamic_stack: false
    .vgpr_count:     67
    .vgpr_spill_count: 0
    .wavefront_size: 64
  - .args:
      - .address_space:  global
        .offset:         0
        .size:           8
        .value_kind:     global_buffer
      - .address_space:  global
        .offset:         8
        .size:           8
        .value_kind:     global_buffer
      - .address_space:  global
        .offset:         16
        .size:           8
        .value_kind:     global_buffer
      - .address_space:  global
        .offset:         24
        .size:           8
        .value_kind:     global_buffer
      - .offset:         32
        .size:           4
        .value_kind:     by_value
      - .offset:         36
        .size:           12
        .value_kind:     by_value
      - .offset:         48
        .size:           4
        .value_kind:     by_value
      - .offset:         52
        .size:           4
        .value_kind:     by_value
      - .offset:         56
        .size:           4
        .value_kind:     by_value
      - .offset:         60
        .size:           4
        .value_kind:     by_value
      - .offset:         64
        .size:           4
        .value_kind:     by_value
      - .offset:         68
        .size:           4
        .value_kind:     by_value
      - .offset:         72
        .size:           4
        .value_kind:     by_value
      - .offset:         76
        .size:           4
        .value_kind:     by_value
      - .offset:         80
        .size:           4
        .value_kind:     by_value
    .group_segment_fixed_size: 0
    .kernarg_segment_align: 8
    .kernarg_segment_size: 84
    .language:       OpenCL C
    .language_version:
      - 2
      - 0
    .max_flat_workgroup_size: 256
    .name:           _ZL17mul_mat_vec_q_moeIL9ggml_type12ELi2EEvPKvS2_PKiPfj15HIP_vector_typeIjLj3EEjjjjjjjjj
    .private_segment_fixed_size: 0
    .sgpr_count:     38
    .sgpr_spill_count: 0
    .symbol:         _ZL17mul_mat_vec_q_moeIL9ggml_type12ELi2EEvPKvS2_PKiPfj15HIP_vector_typeIjLj3EEjjjjjjjjj.kd
    .uniform_work_group_size: 1
    .uses_dynamic_stack: false
    .vgpr_count:     34
    .vgpr_spill_count: 0
    .wavefront_size: 64
  - .args:
      - .address_space:  global
        .offset:         0
        .size:           8
        .value_kind:     global_buffer
      - .address_space:  global
        .offset:         8
        .size:           8
        .value_kind:     global_buffer
      - .address_space:  global
        .offset:         16
        .size:           8
        .value_kind:     global_buffer
      - .offset:         24
        .size:           32
        .value_kind:     by_value
      - .address_space:  global
        .offset:         56
        .size:           8
        .value_kind:     global_buffer
      - .offset:         64
        .size:           4
        .value_kind:     by_value
      - .offset:         68
        .size:           12
        .value_kind:     by_value
      - .offset:         80
        .size:           4
        .value_kind:     by_value
      - .offset:         84
        .size:           4
        .value_kind:     by_value
      - .offset:         88
        .size:           4
        .value_kind:     by_value
      - .offset:         92
        .size:           12
        .value_kind:     by_value
      - .offset:         104
        .size:           4
        .value_kind:     by_value
      - .offset:         108
        .size:           4
        .value_kind:     by_value
      - .offset:         112
        .size:           4
        .value_kind:     by_value
      - .offset:         116
        .size:           12
        .value_kind:     by_value
      - .offset:         128
        .size:           4
        .value_kind:     by_value
      - .offset:         132
        .size:           4
        .value_kind:     by_value
      - .offset:         136
        .size:           4
        .value_kind:     by_value
      - .offset:         140
        .size:           4
        .value_kind:     by_value
    .group_segment_fixed_size: 1024
    .kernarg_segment_align: 8
    .kernarg_segment_size: 144
    .language:       OpenCL C
    .language_version:
      - 2
      - 0
    .max_flat_workgroup_size: 128
    .name:           _ZL13mul_mat_vec_qIL9ggml_type12ELi1ELb1ELb1EEvPKvS2_PKi31ggml_cuda_mm_fusion_args_devicePfj15HIP_vector_typeIjLj3EEjjjS8_jjjS8_jjjj
    .private_segment_fixed_size: 0
    .sgpr_count:     48
    .sgpr_spill_count: 0
    .symbol:         _ZL13mul_mat_vec_qIL9ggml_type12ELi1ELb1ELb1EEvPKvS2_PKi31ggml_cuda_mm_fusion_args_devicePfj15HIP_vector_typeIjLj3EEjjjS8_jjjS8_jjjj.kd
    .uniform_work_group_size: 1
    .uses_dynamic_stack: false
    .vgpr_count:     42
    .vgpr_spill_count: 0
    .wavefront_size: 64
  - .args:
      - .address_space:  global
        .offset:         0
        .size:           8
        .value_kind:     global_buffer
      - .address_space:  global
        .offset:         8
        .size:           8
        .value_kind:     global_buffer
      - .address_space:  global
        .offset:         16
        .size:           8
        .value_kind:     global_buffer
      - .offset:         24
        .size:           32
        .value_kind:     by_value
      - .address_space:  global
        .offset:         56
        .size:           8
        .value_kind:     global_buffer
      - .offset:         64
        .size:           4
        .value_kind:     by_value
      - .offset:         68
        .size:           12
        .value_kind:     by_value
      - .offset:         80
        .size:           4
        .value_kind:     by_value
      - .offset:         84
        .size:           4
        .value_kind:     by_value
      - .offset:         88
        .size:           4
        .value_kind:     by_value
      - .offset:         92
        .size:           12
        .value_kind:     by_value
      - .offset:         104
        .size:           4
        .value_kind:     by_value
      - .offset:         108
        .size:           4
        .value_kind:     by_value
      - .offset:         112
        .size:           4
        .value_kind:     by_value
      - .offset:         116
        .size:           12
        .value_kind:     by_value
      - .offset:         128
        .size:           4
        .value_kind:     by_value
      - .offset:         132
        .size:           4
        .value_kind:     by_value
      - .offset:         136
        .size:           4
        .value_kind:     by_value
      - .offset:         140
        .size:           4
        .value_kind:     by_value
    .group_segment_fixed_size: 512
    .kernarg_segment_align: 8
    .kernarg_segment_size: 144
    .language:       OpenCL C
    .language_version:
      - 2
      - 0
    .max_flat_workgroup_size: 128
    .name:           _ZL13mul_mat_vec_qIL9ggml_type12ELi1ELb0ELb1EEvPKvS2_PKi31ggml_cuda_mm_fusion_args_devicePfj15HIP_vector_typeIjLj3EEjjjS8_jjjS8_jjjj
    .private_segment_fixed_size: 0
    .sgpr_count:     31
    .sgpr_spill_count: 0
    .symbol:         _ZL13mul_mat_vec_qIL9ggml_type12ELi1ELb0ELb1EEvPKvS2_PKi31ggml_cuda_mm_fusion_args_devicePfj15HIP_vector_typeIjLj3EEjjjS8_jjjS8_jjjj.kd
    .uniform_work_group_size: 1
    .uses_dynamic_stack: false
    .vgpr_count:     31
    .vgpr_spill_count: 0
    .wavefront_size: 64
  - .args:
      - .address_space:  global
        .offset:         0
        .size:           8
        .value_kind:     global_buffer
      - .address_space:  global
        .offset:         8
        .size:           8
        .value_kind:     global_buffer
      - .address_space:  global
        .offset:         16
        .size:           8
        .value_kind:     global_buffer
      - .offset:         24
        .size:           32
        .value_kind:     by_value
      - .address_space:  global
        .offset:         56
        .size:           8
        .value_kind:     global_buffer
      - .offset:         64
        .size:           4
        .value_kind:     by_value
      - .offset:         68
        .size:           12
        .value_kind:     by_value
      - .offset:         80
        .size:           4
        .value_kind:     by_value
      - .offset:         84
        .size:           4
        .value_kind:     by_value
      - .offset:         88
        .size:           4
        .value_kind:     by_value
      - .offset:         92
        .size:           12
        .value_kind:     by_value
      - .offset:         104
        .size:           4
        .value_kind:     by_value
      - .offset:         108
        .size:           4
        .value_kind:     by_value
      - .offset:         112
        .size:           4
        .value_kind:     by_value
      - .offset:         116
        .size:           12
        .value_kind:     by_value
      - .offset:         128
        .size:           4
        .value_kind:     by_value
      - .offset:         132
        .size:           4
        .value_kind:     by_value
      - .offset:         136
        .size:           4
        .value_kind:     by_value
      - .offset:         140
        .size:           4
        .value_kind:     by_value
    .group_segment_fixed_size: 512
    .kernarg_segment_align: 8
    .kernarg_segment_size: 144
    .language:       OpenCL C
    .language_version:
      - 2
      - 0
    .max_flat_workgroup_size: 128
    .name:           _ZL13mul_mat_vec_qIL9ggml_type12ELi1ELb1ELb0EEvPKvS2_PKi31ggml_cuda_mm_fusion_args_devicePfj15HIP_vector_typeIjLj3EEjjjS8_jjjS8_jjjj
    .private_segment_fixed_size: 0
    .sgpr_count:     46
    .sgpr_spill_count: 0
    .symbol:         _ZL13mul_mat_vec_qIL9ggml_type12ELi1ELb1ELb0EEvPKvS2_PKi31ggml_cuda_mm_fusion_args_devicePfj15HIP_vector_typeIjLj3EEjjjS8_jjjS8_jjjj.kd
    .uniform_work_group_size: 1
    .uses_dynamic_stack: false
    .vgpr_count:     36
    .vgpr_spill_count: 0
    .wavefront_size: 64
  - .args:
      - .address_space:  global
        .offset:         0
        .size:           8
        .value_kind:     global_buffer
      - .address_space:  global
        .offset:         8
        .size:           8
        .value_kind:     global_buffer
      - .address_space:  global
        .offset:         16
        .size:           8
        .value_kind:     global_buffer
      - .offset:         24
        .size:           32
        .value_kind:     by_value
      - .address_space:  global
        .offset:         56
        .size:           8
        .value_kind:     global_buffer
      - .offset:         64
        .size:           4
        .value_kind:     by_value
      - .offset:         68
        .size:           12
        .value_kind:     by_value
      - .offset:         80
        .size:           4
        .value_kind:     by_value
      - .offset:         84
        .size:           4
        .value_kind:     by_value
      - .offset:         88
        .size:           4
        .value_kind:     by_value
      - .offset:         92
        .size:           12
        .value_kind:     by_value
      - .offset:         104
        .size:           4
        .value_kind:     by_value
      - .offset:         108
        .size:           4
        .value_kind:     by_value
      - .offset:         112
        .size:           4
        .value_kind:     by_value
      - .offset:         116
        .size:           12
        .value_kind:     by_value
      - .offset:         128
        .size:           4
        .value_kind:     by_value
      - .offset:         132
        .size:           4
        .value_kind:     by_value
      - .offset:         136
        .size:           4
        .value_kind:     by_value
      - .offset:         140
        .size:           4
        .value_kind:     by_value
    .group_segment_fixed_size: 256
    .kernarg_segment_align: 8
    .kernarg_segment_size: 144
    .language:       OpenCL C
    .language_version:
      - 2
      - 0
    .max_flat_workgroup_size: 128
    .name:           _ZL13mul_mat_vec_qIL9ggml_type12ELi1ELb0ELb0EEvPKvS2_PKi31ggml_cuda_mm_fusion_args_devicePfj15HIP_vector_typeIjLj3EEjjjS8_jjjS8_jjjj
    .private_segment_fixed_size: 0
    .sgpr_count:     31
    .sgpr_spill_count: 0
    .symbol:         _ZL13mul_mat_vec_qIL9ggml_type12ELi1ELb0ELb0EEvPKvS2_PKi31ggml_cuda_mm_fusion_args_devicePfj15HIP_vector_typeIjLj3EEjjjS8_jjjS8_jjjj.kd
    .uniform_work_group_size: 1
    .uses_dynamic_stack: false
    .vgpr_count:     26
    .vgpr_spill_count: 0
    .wavefront_size: 64
  - .args:
      - .address_space:  global
        .offset:         0
        .size:           8
        .value_kind:     global_buffer
      - .address_space:  global
        .offset:         8
        .size:           8
        .value_kind:     global_buffer
      - .address_space:  global
        .offset:         16
        .size:           8
        .value_kind:     global_buffer
      - .offset:         24
        .size:           32
        .value_kind:     by_value
      - .address_space:  global
        .offset:         56
        .size:           8
        .value_kind:     global_buffer
      - .offset:         64
        .size:           4
        .value_kind:     by_value
      - .offset:         68
        .size:           12
        .value_kind:     by_value
      - .offset:         80
        .size:           4
        .value_kind:     by_value
      - .offset:         84
        .size:           4
        .value_kind:     by_value
      - .offset:         88
        .size:           4
        .value_kind:     by_value
      - .offset:         92
        .size:           12
        .value_kind:     by_value
      - .offset:         104
        .size:           4
        .value_kind:     by_value
      - .offset:         108
        .size:           4
        .value_kind:     by_value
      - .offset:         112
        .size:           4
        .value_kind:     by_value
      - .offset:         116
        .size:           12
        .value_kind:     by_value
      - .offset:         128
        .size:           4
        .value_kind:     by_value
      - .offset:         132
        .size:           4
        .value_kind:     by_value
      - .offset:         136
        .size:           4
        .value_kind:     by_value
      - .offset:         140
        .size:           4
        .value_kind:     by_value
    .group_segment_fixed_size: 1024
    .kernarg_segment_align: 8
    .kernarg_segment_size: 144
    .language:       OpenCL C
    .language_version:
      - 2
      - 0
    .max_flat_workgroup_size: 128
    .name:           _ZL13mul_mat_vec_qIL9ggml_type12ELi2ELb0ELb0EEvPKvS2_PKi31ggml_cuda_mm_fusion_args_devicePfj15HIP_vector_typeIjLj3EEjjjS8_jjjS8_jjjj
    .private_segment_fixed_size: 0
    .sgpr_count:     30
    .sgpr_spill_count: 0
    .symbol:         _ZL13mul_mat_vec_qIL9ggml_type12ELi2ELb0ELb0EEvPKvS2_PKi31ggml_cuda_mm_fusion_args_devicePfj15HIP_vector_typeIjLj3EEjjjS8_jjjS8_jjjj.kd
    .uniform_work_group_size: 1
    .uses_dynamic_stack: false
    .vgpr_count:     54
    .vgpr_spill_count: 0
    .wavefront_size: 64
  - .args:
      - .address_space:  global
        .offset:         0
        .size:           8
        .value_kind:     global_buffer
      - .address_space:  global
        .offset:         8
        .size:           8
        .value_kind:     global_buffer
      - .address_space:  global
        .offset:         16
        .size:           8
        .value_kind:     global_buffer
      - .offset:         24
        .size:           32
        .value_kind:     by_value
      - .address_space:  global
        .offset:         56
        .size:           8
        .value_kind:     global_buffer
      - .offset:         64
        .size:           4
        .value_kind:     by_value
      - .offset:         68
        .size:           12
        .value_kind:     by_value
      - .offset:         80
        .size:           4
        .value_kind:     by_value
      - .offset:         84
        .size:           4
        .value_kind:     by_value
      - .offset:         88
        .size:           4
        .value_kind:     by_value
      - .offset:         92
        .size:           12
        .value_kind:     by_value
      - .offset:         104
        .size:           4
        .value_kind:     by_value
      - .offset:         108
        .size:           4
        .value_kind:     by_value
      - .offset:         112
        .size:           4
        .value_kind:     by_value
      - .offset:         116
        .size:           12
        .value_kind:     by_value
      - .offset:         128
        .size:           4
        .value_kind:     by_value
      - .offset:         132
        .size:           4
        .value_kind:     by_value
      - .offset:         136
        .size:           4
        .value_kind:     by_value
      - .offset:         140
        .size:           4
        .value_kind:     by_value
    .group_segment_fixed_size: 1536
    .kernarg_segment_align: 8
    .kernarg_segment_size: 144
    .language:       OpenCL C
    .language_version:
      - 2
      - 0
    .max_flat_workgroup_size: 128
    .name:           _ZL13mul_mat_vec_qIL9ggml_type12ELi3ELb0ELb0EEvPKvS2_PKi31ggml_cuda_mm_fusion_args_devicePfj15HIP_vector_typeIjLj3EEjjjS8_jjjS8_jjjj
    .private_segment_fixed_size: 0
    .sgpr_count:     30
    .sgpr_spill_count: 0
    .symbol:         _ZL13mul_mat_vec_qIL9ggml_type12ELi3ELb0ELb0EEvPKvS2_PKi31ggml_cuda_mm_fusion_args_devicePfj15HIP_vector_typeIjLj3EEjjjS8_jjjS8_jjjj.kd
    .uniform_work_group_size: 1
    .uses_dynamic_stack: false
    .vgpr_count:     71
    .vgpr_spill_count: 0
    .wavefront_size: 64
  - .args:
      - .address_space:  global
        .offset:         0
        .size:           8
        .value_kind:     global_buffer
      - .address_space:  global
        .offset:         8
        .size:           8
        .value_kind:     global_buffer
      - .address_space:  global
        .offset:         16
        .size:           8
        .value_kind:     global_buffer
      - .offset:         24
        .size:           32
        .value_kind:     by_value
      - .address_space:  global
        .offset:         56
        .size:           8
        .value_kind:     global_buffer
      - .offset:         64
        .size:           4
        .value_kind:     by_value
      - .offset:         68
        .size:           12
        .value_kind:     by_value
      - .offset:         80
        .size:           4
        .value_kind:     by_value
      - .offset:         84
        .size:           4
        .value_kind:     by_value
      - .offset:         88
        .size:           4
        .value_kind:     by_value
      - .offset:         92
        .size:           12
        .value_kind:     by_value
      - .offset:         104
        .size:           4
        .value_kind:     by_value
      - .offset:         108
        .size:           4
        .value_kind:     by_value
      - .offset:         112
        .size:           4
        .value_kind:     by_value
      - .offset:         116
        .size:           12
        .value_kind:     by_value
      - .offset:         128
        .size:           4
        .value_kind:     by_value
      - .offset:         132
        .size:           4
        .value_kind:     by_value
      - .offset:         136
        .size:           4
        .value_kind:     by_value
      - .offset:         140
        .size:           4
        .value_kind:     by_value
    .group_segment_fixed_size: 2048
    .kernarg_segment_align: 8
    .kernarg_segment_size: 144
    .language:       OpenCL C
    .language_version:
      - 2
      - 0
    .max_flat_workgroup_size: 128
    .name:           _ZL13mul_mat_vec_qIL9ggml_type12ELi4ELb0ELb0EEvPKvS2_PKi31ggml_cuda_mm_fusion_args_devicePfj15HIP_vector_typeIjLj3EEjjjS8_jjjS8_jjjj
    .private_segment_fixed_size: 0
    .sgpr_count:     30
    .sgpr_spill_count: 0
    .symbol:         _ZL13mul_mat_vec_qIL9ggml_type12ELi4ELb0ELb0EEvPKvS2_PKi31ggml_cuda_mm_fusion_args_devicePfj15HIP_vector_typeIjLj3EEjjjS8_jjjS8_jjjj.kd
    .uniform_work_group_size: 1
    .uses_dynamic_stack: false
    .vgpr_count:     82
    .vgpr_spill_count: 0
    .wavefront_size: 64
  - .args:
      - .address_space:  global
        .offset:         0
        .size:           8
        .value_kind:     global_buffer
      - .address_space:  global
        .offset:         8
        .size:           8
        .value_kind:     global_buffer
      - .address_space:  global
        .offset:         16
        .size:           8
        .value_kind:     global_buffer
      - .offset:         24
        .size:           32
        .value_kind:     by_value
      - .address_space:  global
        .offset:         56
        .size:           8
        .value_kind:     global_buffer
      - .offset:         64
        .size:           4
        .value_kind:     by_value
      - .offset:         68
        .size:           12
        .value_kind:     by_value
      - .offset:         80
        .size:           4
        .value_kind:     by_value
      - .offset:         84
        .size:           4
        .value_kind:     by_value
      - .offset:         88
        .size:           4
        .value_kind:     by_value
      - .offset:         92
        .size:           12
        .value_kind:     by_value
      - .offset:         104
        .size:           4
        .value_kind:     by_value
      - .offset:         108
        .size:           4
        .value_kind:     by_value
      - .offset:         112
        .size:           4
        .value_kind:     by_value
      - .offset:         116
        .size:           12
        .value_kind:     by_value
      - .offset:         128
        .size:           4
        .value_kind:     by_value
      - .offset:         132
        .size:           4
        .value_kind:     by_value
      - .offset:         136
        .size:           4
        .value_kind:     by_value
      - .offset:         140
        .size:           4
        .value_kind:     by_value
    .group_segment_fixed_size: 0
    .kernarg_segment_align: 8
    .kernarg_segment_size: 144
    .language:       OpenCL C
    .language_version:
      - 2
      - 0
    .max_flat_workgroup_size: 64
    .name:           _ZL13mul_mat_vec_qIL9ggml_type12ELi5ELb0ELb0EEvPKvS2_PKi31ggml_cuda_mm_fusion_args_devicePfj15HIP_vector_typeIjLj3EEjjjS8_jjjS8_jjjj
    .private_segment_fixed_size: 0
    .sgpr_count:     35
    .sgpr_spill_count: 0
    .symbol:         _ZL13mul_mat_vec_qIL9ggml_type12ELi5ELb0ELb0EEvPKvS2_PKi31ggml_cuda_mm_fusion_args_devicePfj15HIP_vector_typeIjLj3EEjjjS8_jjjS8_jjjj.kd
    .uniform_work_group_size: 1
    .uses_dynamic_stack: false
    .vgpr_count:     90
    .vgpr_spill_count: 0
    .wavefront_size: 64
  - .args:
      - .address_space:  global
        .offset:         0
        .size:           8
        .value_kind:     global_buffer
      - .address_space:  global
        .offset:         8
        .size:           8
        .value_kind:     global_buffer
      - .address_space:  global
        .offset:         16
        .size:           8
        .value_kind:     global_buffer
      - .offset:         24
        .size:           32
        .value_kind:     by_value
      - .address_space:  global
        .offset:         56
        .size:           8
        .value_kind:     global_buffer
      - .offset:         64
        .size:           4
        .value_kind:     by_value
      - .offset:         68
        .size:           12
        .value_kind:     by_value
      - .offset:         80
        .size:           4
        .value_kind:     by_value
      - .offset:         84
        .size:           4
        .value_kind:     by_value
      - .offset:         88
        .size:           4
        .value_kind:     by_value
      - .offset:         92
        .size:           12
        .value_kind:     by_value
      - .offset:         104
        .size:           4
        .value_kind:     by_value
      - .offset:         108
        .size:           4
        .value_kind:     by_value
      - .offset:         112
        .size:           4
        .value_kind:     by_value
      - .offset:         116
        .size:           12
        .value_kind:     by_value
      - .offset:         128
        .size:           4
        .value_kind:     by_value
      - .offset:         132
        .size:           4
        .value_kind:     by_value
      - .offset:         136
        .size:           4
        .value_kind:     by_value
      - .offset:         140
        .size:           4
        .value_kind:     by_value
    .group_segment_fixed_size: 0
    .kernarg_segment_align: 8
    .kernarg_segment_size: 144
    .language:       OpenCL C
    .language_version:
      - 2
      - 0
    .max_flat_workgroup_size: 64
    .name:           _ZL13mul_mat_vec_qIL9ggml_type12ELi6ELb0ELb0EEvPKvS2_PKi31ggml_cuda_mm_fusion_args_devicePfj15HIP_vector_typeIjLj3EEjjjS8_jjjS8_jjjj
    .private_segment_fixed_size: 0
    .sgpr_count:     36
    .sgpr_spill_count: 0
    .symbol:         _ZL13mul_mat_vec_qIL9ggml_type12ELi6ELb0ELb0EEvPKvS2_PKi31ggml_cuda_mm_fusion_args_devicePfj15HIP_vector_typeIjLj3EEjjjS8_jjjS8_jjjj.kd
    .uniform_work_group_size: 1
    .uses_dynamic_stack: false
    .vgpr_count:     102
    .vgpr_spill_count: 0
    .wavefront_size: 64
  - .args:
      - .address_space:  global
        .offset:         0
        .size:           8
        .value_kind:     global_buffer
      - .address_space:  global
        .offset:         8
        .size:           8
        .value_kind:     global_buffer
      - .address_space:  global
        .offset:         16
        .size:           8
        .value_kind:     global_buffer
      - .offset:         24
        .size:           32
        .value_kind:     by_value
      - .address_space:  global
        .offset:         56
        .size:           8
        .value_kind:     global_buffer
      - .offset:         64
        .size:           4
        .value_kind:     by_value
      - .offset:         68
        .size:           12
        .value_kind:     by_value
      - .offset:         80
        .size:           4
        .value_kind:     by_value
      - .offset:         84
        .size:           4
        .value_kind:     by_value
      - .offset:         88
        .size:           4
        .value_kind:     by_value
      - .offset:         92
        .size:           12
        .value_kind:     by_value
      - .offset:         104
        .size:           4
        .value_kind:     by_value
      - .offset:         108
        .size:           4
        .value_kind:     by_value
      - .offset:         112
        .size:           4
        .value_kind:     by_value
      - .offset:         116
        .size:           12
        .value_kind:     by_value
      - .offset:         128
        .size:           4
        .value_kind:     by_value
      - .offset:         132
        .size:           4
        .value_kind:     by_value
      - .offset:         136
        .size:           4
        .value_kind:     by_value
      - .offset:         140
        .size:           4
        .value_kind:     by_value
    .group_segment_fixed_size: 0
    .kernarg_segment_align: 8
    .kernarg_segment_size: 144
    .language:       OpenCL C
    .language_version:
      - 2
      - 0
    .max_flat_workgroup_size: 64
    .name:           _ZL13mul_mat_vec_qIL9ggml_type12ELi7ELb0ELb0EEvPKvS2_PKi31ggml_cuda_mm_fusion_args_devicePfj15HIP_vector_typeIjLj3EEjjjS8_jjjS8_jjjj
    .private_segment_fixed_size: 0
    .sgpr_count:     38
    .sgpr_spill_count: 0
    .symbol:         _ZL13mul_mat_vec_qIL9ggml_type12ELi7ELb0ELb0EEvPKvS2_PKi31ggml_cuda_mm_fusion_args_devicePfj15HIP_vector_typeIjLj3EEjjjS8_jjjS8_jjjj.kd
    .uniform_work_group_size: 1
    .uses_dynamic_stack: false
    .vgpr_count:     114
    .vgpr_spill_count: 0
    .wavefront_size: 64
  - .args:
      - .address_space:  global
        .offset:         0
        .size:           8
        .value_kind:     global_buffer
      - .address_space:  global
        .offset:         8
        .size:           8
        .value_kind:     global_buffer
      - .address_space:  global
        .offset:         16
        .size:           8
        .value_kind:     global_buffer
      - .offset:         24
        .size:           32
        .value_kind:     by_value
      - .address_space:  global
        .offset:         56
        .size:           8
        .value_kind:     global_buffer
      - .offset:         64
        .size:           4
        .value_kind:     by_value
      - .offset:         68
        .size:           12
        .value_kind:     by_value
      - .offset:         80
        .size:           4
        .value_kind:     by_value
      - .offset:         84
        .size:           4
        .value_kind:     by_value
      - .offset:         88
        .size:           4
        .value_kind:     by_value
      - .offset:         92
        .size:           12
        .value_kind:     by_value
      - .offset:         104
        .size:           4
        .value_kind:     by_value
      - .offset:         108
        .size:           4
        .value_kind:     by_value
      - .offset:         112
        .size:           4
        .value_kind:     by_value
      - .offset:         116
        .size:           12
        .value_kind:     by_value
      - .offset:         128
        .size:           4
        .value_kind:     by_value
      - .offset:         132
        .size:           4
        .value_kind:     by_value
      - .offset:         136
        .size:           4
        .value_kind:     by_value
      - .offset:         140
        .size:           4
        .value_kind:     by_value
    .group_segment_fixed_size: 0
    .kernarg_segment_align: 8
    .kernarg_segment_size: 144
    .language:       OpenCL C
    .language_version:
      - 2
      - 0
    .max_flat_workgroup_size: 64
    .name:           _ZL13mul_mat_vec_qIL9ggml_type12ELi8ELb0ELb0EEvPKvS2_PKi31ggml_cuda_mm_fusion_args_devicePfj15HIP_vector_typeIjLj3EEjjjS8_jjjS8_jjjj
    .private_segment_fixed_size: 0
    .sgpr_count:     39
    .sgpr_spill_count: 0
    .symbol:         _ZL13mul_mat_vec_qIL9ggml_type12ELi8ELb0ELb0EEvPKvS2_PKi31ggml_cuda_mm_fusion_args_devicePfj15HIP_vector_typeIjLj3EEjjjS8_jjjS8_jjjj.kd
    .uniform_work_group_size: 1
    .uses_dynamic_stack: false
    .vgpr_count:     126
    .vgpr_spill_count: 0
    .wavefront_size: 64
  - .args:
      - .address_space:  global
        .offset:         0
        .size:           8
        .value_kind:     global_buffer
      - .address_space:  global
        .offset:         8
        .size:           8
        .value_kind:     global_buffer
      - .address_space:  global
        .offset:         16
        .size:           8
        .value_kind:     global_buffer
      - .address_space:  global
        .offset:         24
        .size:           8
        .value_kind:     global_buffer
      - .offset:         32
        .size:           4
        .value_kind:     by_value
      - .offset:         36
        .size:           12
        .value_kind:     by_value
      - .offset:         48
        .size:           4
        .value_kind:     by_value
      - .offset:         52
        .size:           4
        .value_kind:     by_value
      - .offset:         56
        .size:           4
        .value_kind:     by_value
      - .offset:         60
        .size:           4
        .value_kind:     by_value
      - .offset:         64
        .size:           4
        .value_kind:     by_value
      - .offset:         68
        .size:           4
        .value_kind:     by_value
      - .offset:         72
        .size:           4
        .value_kind:     by_value
      - .offset:         76
        .size:           4
        .value_kind:     by_value
      - .offset:         80
        .size:           4
        .value_kind:     by_value
    .group_segment_fixed_size: 0
    .kernarg_segment_align: 8
    .kernarg_segment_size: 84
    .language:       OpenCL C
    .language_version:
      - 2
      - 0
    .max_flat_workgroup_size: 256
    .name:           _ZL17mul_mat_vec_q_moeIL9ggml_type13ELi2EEvPKvS2_PKiPfj15HIP_vector_typeIjLj3EEjjjjjjjjj
    .private_segment_fixed_size: 0
    .sgpr_count:     39
    .sgpr_spill_count: 0
    .symbol:         _ZL17mul_mat_vec_q_moeIL9ggml_type13ELi2EEvPKvS2_PKiPfj15HIP_vector_typeIjLj3EEjjjjjjjjj.kd
    .uniform_work_group_size: 1
    .uses_dynamic_stack: false
    .vgpr_count:     42
    .vgpr_spill_count: 0
    .wavefront_size: 64
  - .args:
      - .address_space:  global
        .offset:         0
        .size:           8
        .value_kind:     global_buffer
      - .address_space:  global
        .offset:         8
        .size:           8
        .value_kind:     global_buffer
      - .address_space:  global
        .offset:         16
        .size:           8
        .value_kind:     global_buffer
      - .offset:         24
        .size:           32
        .value_kind:     by_value
      - .address_space:  global
        .offset:         56
        .size:           8
        .value_kind:     global_buffer
      - .offset:         64
        .size:           4
        .value_kind:     by_value
      - .offset:         68
        .size:           12
        .value_kind:     by_value
      - .offset:         80
        .size:           4
        .value_kind:     by_value
      - .offset:         84
        .size:           4
        .value_kind:     by_value
      - .offset:         88
        .size:           4
        .value_kind:     by_value
      - .offset:         92
        .size:           12
        .value_kind:     by_value
      - .offset:         104
        .size:           4
        .value_kind:     by_value
      - .offset:         108
        .size:           4
        .value_kind:     by_value
      - .offset:         112
        .size:           4
        .value_kind:     by_value
      - .offset:         116
        .size:           12
        .value_kind:     by_value
      - .offset:         128
        .size:           4
        .value_kind:     by_value
      - .offset:         132
        .size:           4
        .value_kind:     by_value
      - .offset:         136
        .size:           4
        .value_kind:     by_value
      - .offset:         140
        .size:           4
        .value_kind:     by_value
    .group_segment_fixed_size: 1024
    .kernarg_segment_align: 8
    .kernarg_segment_size: 144
    .language:       OpenCL C
    .language_version:
      - 2
      - 0
    .max_flat_workgroup_size: 128
    .name:           _ZL13mul_mat_vec_qIL9ggml_type13ELi1ELb1ELb1EEvPKvS2_PKi31ggml_cuda_mm_fusion_args_devicePfj15HIP_vector_typeIjLj3EEjjjS8_jjjS8_jjjj
    .private_segment_fixed_size: 0
    .sgpr_count:     48
    .sgpr_spill_count: 0
    .symbol:         _ZL13mul_mat_vec_qIL9ggml_type13ELi1ELb1ELb1EEvPKvS2_PKi31ggml_cuda_mm_fusion_args_devicePfj15HIP_vector_typeIjLj3EEjjjS8_jjjS8_jjjj.kd
    .uniform_work_group_size: 1
    .uses_dynamic_stack: false
    .vgpr_count:     49
    .vgpr_spill_count: 0
    .wavefront_size: 64
  - .args:
      - .address_space:  global
        .offset:         0
        .size:           8
        .value_kind:     global_buffer
      - .address_space:  global
        .offset:         8
        .size:           8
        .value_kind:     global_buffer
      - .address_space:  global
        .offset:         16
        .size:           8
        .value_kind:     global_buffer
      - .offset:         24
        .size:           32
        .value_kind:     by_value
      - .address_space:  global
        .offset:         56
        .size:           8
        .value_kind:     global_buffer
      - .offset:         64
        .size:           4
        .value_kind:     by_value
      - .offset:         68
        .size:           12
        .value_kind:     by_value
      - .offset:         80
        .size:           4
        .value_kind:     by_value
      - .offset:         84
        .size:           4
        .value_kind:     by_value
      - .offset:         88
        .size:           4
        .value_kind:     by_value
      - .offset:         92
        .size:           12
        .value_kind:     by_value
      - .offset:         104
        .size:           4
        .value_kind:     by_value
      - .offset:         108
        .size:           4
        .value_kind:     by_value
      - .offset:         112
        .size:           4
        .value_kind:     by_value
      - .offset:         116
        .size:           12
        .value_kind:     by_value
      - .offset:         128
        .size:           4
        .value_kind:     by_value
      - .offset:         132
        .size:           4
        .value_kind:     by_value
      - .offset:         136
        .size:           4
        .value_kind:     by_value
      - .offset:         140
        .size:           4
        .value_kind:     by_value
    .group_segment_fixed_size: 512
    .kernarg_segment_align: 8
    .kernarg_segment_size: 144
    .language:       OpenCL C
    .language_version:
      - 2
      - 0
    .max_flat_workgroup_size: 128
    .name:           _ZL13mul_mat_vec_qIL9ggml_type13ELi1ELb0ELb1EEvPKvS2_PKi31ggml_cuda_mm_fusion_args_devicePfj15HIP_vector_typeIjLj3EEjjjS8_jjjS8_jjjj
    .private_segment_fixed_size: 0
    .sgpr_count:     31
    .sgpr_spill_count: 0
    .symbol:         _ZL13mul_mat_vec_qIL9ggml_type13ELi1ELb0ELb1EEvPKvS2_PKi31ggml_cuda_mm_fusion_args_devicePfj15HIP_vector_typeIjLj3EEjjjS8_jjjS8_jjjj.kd
    .uniform_work_group_size: 1
    .uses_dynamic_stack: false
    .vgpr_count:     39
    .vgpr_spill_count: 0
    .wavefront_size: 64
  - .args:
      - .address_space:  global
        .offset:         0
        .size:           8
        .value_kind:     global_buffer
      - .address_space:  global
        .offset:         8
        .size:           8
        .value_kind:     global_buffer
      - .address_space:  global
        .offset:         16
        .size:           8
        .value_kind:     global_buffer
      - .offset:         24
        .size:           32
        .value_kind:     by_value
      - .address_space:  global
        .offset:         56
        .size:           8
        .value_kind:     global_buffer
      - .offset:         64
        .size:           4
        .value_kind:     by_value
      - .offset:         68
        .size:           12
        .value_kind:     by_value
      - .offset:         80
        .size:           4
        .value_kind:     by_value
      - .offset:         84
        .size:           4
        .value_kind:     by_value
      - .offset:         88
        .size:           4
        .value_kind:     by_value
      - .offset:         92
        .size:           12
        .value_kind:     by_value
      - .offset:         104
        .size:           4
        .value_kind:     by_value
      - .offset:         108
        .size:           4
        .value_kind:     by_value
      - .offset:         112
        .size:           4
        .value_kind:     by_value
      - .offset:         116
        .size:           12
        .value_kind:     by_value
      - .offset:         128
        .size:           4
        .value_kind:     by_value
      - .offset:         132
        .size:           4
        .value_kind:     by_value
      - .offset:         136
        .size:           4
        .value_kind:     by_value
      - .offset:         140
        .size:           4
        .value_kind:     by_value
    .group_segment_fixed_size: 512
    .kernarg_segment_align: 8
    .kernarg_segment_size: 144
    .language:       OpenCL C
    .language_version:
      - 2
      - 0
    .max_flat_workgroup_size: 128
    .name:           _ZL13mul_mat_vec_qIL9ggml_type13ELi1ELb1ELb0EEvPKvS2_PKi31ggml_cuda_mm_fusion_args_devicePfj15HIP_vector_typeIjLj3EEjjjS8_jjjS8_jjjj
    .private_segment_fixed_size: 0
    .sgpr_count:     46
    .sgpr_spill_count: 0
    .symbol:         _ZL13mul_mat_vec_qIL9ggml_type13ELi1ELb1ELb0EEvPKvS2_PKi31ggml_cuda_mm_fusion_args_devicePfj15HIP_vector_typeIjLj3EEjjjS8_jjjS8_jjjj.kd
    .uniform_work_group_size: 1
    .uses_dynamic_stack: false
    .vgpr_count:     41
    .vgpr_spill_count: 0
    .wavefront_size: 64
  - .args:
      - .address_space:  global
        .offset:         0
        .size:           8
        .value_kind:     global_buffer
      - .address_space:  global
        .offset:         8
        .size:           8
        .value_kind:     global_buffer
      - .address_space:  global
        .offset:         16
        .size:           8
        .value_kind:     global_buffer
      - .offset:         24
        .size:           32
        .value_kind:     by_value
      - .address_space:  global
        .offset:         56
        .size:           8
        .value_kind:     global_buffer
      - .offset:         64
        .size:           4
        .value_kind:     by_value
      - .offset:         68
        .size:           12
        .value_kind:     by_value
      - .offset:         80
        .size:           4
        .value_kind:     by_value
      - .offset:         84
        .size:           4
        .value_kind:     by_value
      - .offset:         88
        .size:           4
        .value_kind:     by_value
      - .offset:         92
        .size:           12
        .value_kind:     by_value
      - .offset:         104
        .size:           4
        .value_kind:     by_value
      - .offset:         108
        .size:           4
        .value_kind:     by_value
      - .offset:         112
        .size:           4
        .value_kind:     by_value
      - .offset:         116
        .size:           12
        .value_kind:     by_value
      - .offset:         128
        .size:           4
        .value_kind:     by_value
      - .offset:         132
        .size:           4
        .value_kind:     by_value
      - .offset:         136
        .size:           4
        .value_kind:     by_value
      - .offset:         140
        .size:           4
        .value_kind:     by_value
    .group_segment_fixed_size: 256
    .kernarg_segment_align: 8
    .kernarg_segment_size: 144
    .language:       OpenCL C
    .language_version:
      - 2
      - 0
    .max_flat_workgroup_size: 128
    .name:           _ZL13mul_mat_vec_qIL9ggml_type13ELi1ELb0ELb0EEvPKvS2_PKi31ggml_cuda_mm_fusion_args_devicePfj15HIP_vector_typeIjLj3EEjjjS8_jjjS8_jjjj
    .private_segment_fixed_size: 0
    .sgpr_count:     31
    .sgpr_spill_count: 0
    .symbol:         _ZL13mul_mat_vec_qIL9ggml_type13ELi1ELb0ELb0EEvPKvS2_PKi31ggml_cuda_mm_fusion_args_devicePfj15HIP_vector_typeIjLj3EEjjjS8_jjjS8_jjjj.kd
    .uniform_work_group_size: 1
    .uses_dynamic_stack: false
    .vgpr_count:     32
    .vgpr_spill_count: 0
    .wavefront_size: 64
  - .args:
      - .address_space:  global
        .offset:         0
        .size:           8
        .value_kind:     global_buffer
      - .address_space:  global
        .offset:         8
        .size:           8
        .value_kind:     global_buffer
      - .address_space:  global
        .offset:         16
        .size:           8
        .value_kind:     global_buffer
      - .offset:         24
        .size:           32
        .value_kind:     by_value
      - .address_space:  global
        .offset:         56
        .size:           8
        .value_kind:     global_buffer
      - .offset:         64
        .size:           4
        .value_kind:     by_value
      - .offset:         68
        .size:           12
        .value_kind:     by_value
      - .offset:         80
        .size:           4
        .value_kind:     by_value
      - .offset:         84
        .size:           4
        .value_kind:     by_value
      - .offset:         88
        .size:           4
        .value_kind:     by_value
      - .offset:         92
        .size:           12
        .value_kind:     by_value
      - .offset:         104
        .size:           4
        .value_kind:     by_value
      - .offset:         108
        .size:           4
        .value_kind:     by_value
      - .offset:         112
        .size:           4
        .value_kind:     by_value
      - .offset:         116
        .size:           12
        .value_kind:     by_value
      - .offset:         128
        .size:           4
        .value_kind:     by_value
      - .offset:         132
        .size:           4
        .value_kind:     by_value
      - .offset:         136
        .size:           4
        .value_kind:     by_value
      - .offset:         140
        .size:           4
        .value_kind:     by_value
    .group_segment_fixed_size: 1024
    .kernarg_segment_align: 8
    .kernarg_segment_size: 144
    .language:       OpenCL C
    .language_version:
      - 2
      - 0
    .max_flat_workgroup_size: 128
    .name:           _ZL13mul_mat_vec_qIL9ggml_type13ELi2ELb0ELb0EEvPKvS2_PKi31ggml_cuda_mm_fusion_args_devicePfj15HIP_vector_typeIjLj3EEjjjS8_jjjS8_jjjj
    .private_segment_fixed_size: 0
    .sgpr_count:     32
    .sgpr_spill_count: 0
    .symbol:         _ZL13mul_mat_vec_qIL9ggml_type13ELi2ELb0ELb0EEvPKvS2_PKi31ggml_cuda_mm_fusion_args_devicePfj15HIP_vector_typeIjLj3EEjjjS8_jjjS8_jjjj.kd
    .uniform_work_group_size: 1
    .uses_dynamic_stack: false
    .vgpr_count:     56
    .vgpr_spill_count: 0
    .wavefront_size: 64
  - .args:
      - .address_space:  global
        .offset:         0
        .size:           8
        .value_kind:     global_buffer
      - .address_space:  global
        .offset:         8
        .size:           8
        .value_kind:     global_buffer
      - .address_space:  global
        .offset:         16
        .size:           8
        .value_kind:     global_buffer
      - .offset:         24
        .size:           32
        .value_kind:     by_value
      - .address_space:  global
        .offset:         56
        .size:           8
        .value_kind:     global_buffer
      - .offset:         64
        .size:           4
        .value_kind:     by_value
      - .offset:         68
        .size:           12
        .value_kind:     by_value
      - .offset:         80
        .size:           4
        .value_kind:     by_value
      - .offset:         84
        .size:           4
        .value_kind:     by_value
      - .offset:         88
        .size:           4
        .value_kind:     by_value
      - .offset:         92
        .size:           12
        .value_kind:     by_value
      - .offset:         104
        .size:           4
        .value_kind:     by_value
      - .offset:         108
        .size:           4
        .value_kind:     by_value
      - .offset:         112
        .size:           4
        .value_kind:     by_value
      - .offset:         116
        .size:           12
        .value_kind:     by_value
      - .offset:         128
        .size:           4
        .value_kind:     by_value
      - .offset:         132
        .size:           4
        .value_kind:     by_value
      - .offset:         136
        .size:           4
        .value_kind:     by_value
      - .offset:         140
        .size:           4
        .value_kind:     by_value
    .group_segment_fixed_size: 1536
    .kernarg_segment_align: 8
    .kernarg_segment_size: 144
    .language:       OpenCL C
    .language_version:
      - 2
      - 0
    .max_flat_workgroup_size: 128
    .name:           _ZL13mul_mat_vec_qIL9ggml_type13ELi3ELb0ELb0EEvPKvS2_PKi31ggml_cuda_mm_fusion_args_devicePfj15HIP_vector_typeIjLj3EEjjjS8_jjjS8_jjjj
    .private_segment_fixed_size: 0
    .sgpr_count:     32
    .sgpr_spill_count: 0
    .symbol:         _ZL13mul_mat_vec_qIL9ggml_type13ELi3ELb0ELb0EEvPKvS2_PKi31ggml_cuda_mm_fusion_args_devicePfj15HIP_vector_typeIjLj3EEjjjS8_jjjS8_jjjj.kd
    .uniform_work_group_size: 1
    .uses_dynamic_stack: false
    .vgpr_count:     75
    .vgpr_spill_count: 0
    .wavefront_size: 64
  - .args:
      - .address_space:  global
        .offset:         0
        .size:           8
        .value_kind:     global_buffer
      - .address_space:  global
        .offset:         8
        .size:           8
        .value_kind:     global_buffer
      - .address_space:  global
        .offset:         16
        .size:           8
        .value_kind:     global_buffer
      - .offset:         24
        .size:           32
        .value_kind:     by_value
      - .address_space:  global
        .offset:         56
        .size:           8
        .value_kind:     global_buffer
      - .offset:         64
        .size:           4
        .value_kind:     by_value
      - .offset:         68
        .size:           12
        .value_kind:     by_value
      - .offset:         80
        .size:           4
        .value_kind:     by_value
      - .offset:         84
        .size:           4
        .value_kind:     by_value
      - .offset:         88
        .size:           4
        .value_kind:     by_value
      - .offset:         92
        .size:           12
        .value_kind:     by_value
      - .offset:         104
        .size:           4
        .value_kind:     by_value
      - .offset:         108
        .size:           4
        .value_kind:     by_value
      - .offset:         112
        .size:           4
        .value_kind:     by_value
      - .offset:         116
        .size:           12
        .value_kind:     by_value
      - .offset:         128
        .size:           4
        .value_kind:     by_value
      - .offset:         132
        .size:           4
        .value_kind:     by_value
      - .offset:         136
        .size:           4
        .value_kind:     by_value
      - .offset:         140
        .size:           4
        .value_kind:     by_value
    .group_segment_fixed_size: 2048
    .kernarg_segment_align: 8
    .kernarg_segment_size: 144
    .language:       OpenCL C
    .language_version:
      - 2
      - 0
    .max_flat_workgroup_size: 128
    .name:           _ZL13mul_mat_vec_qIL9ggml_type13ELi4ELb0ELb0EEvPKvS2_PKi31ggml_cuda_mm_fusion_args_devicePfj15HIP_vector_typeIjLj3EEjjjS8_jjjS8_jjjj
    .private_segment_fixed_size: 0
    .sgpr_count:     32
    .sgpr_spill_count: 0
    .symbol:         _ZL13mul_mat_vec_qIL9ggml_type13ELi4ELb0ELb0EEvPKvS2_PKi31ggml_cuda_mm_fusion_args_devicePfj15HIP_vector_typeIjLj3EEjjjS8_jjjS8_jjjj.kd
    .uniform_work_group_size: 1
    .uses_dynamic_stack: false
    .vgpr_count:     86
    .vgpr_spill_count: 0
    .wavefront_size: 64
  - .args:
      - .address_space:  global
        .offset:         0
        .size:           8
        .value_kind:     global_buffer
      - .address_space:  global
        .offset:         8
        .size:           8
        .value_kind:     global_buffer
      - .address_space:  global
        .offset:         16
        .size:           8
        .value_kind:     global_buffer
      - .offset:         24
        .size:           32
        .value_kind:     by_value
      - .address_space:  global
        .offset:         56
        .size:           8
        .value_kind:     global_buffer
      - .offset:         64
        .size:           4
        .value_kind:     by_value
      - .offset:         68
        .size:           12
        .value_kind:     by_value
      - .offset:         80
        .size:           4
        .value_kind:     by_value
      - .offset:         84
        .size:           4
        .value_kind:     by_value
      - .offset:         88
        .size:           4
        .value_kind:     by_value
      - .offset:         92
        .size:           12
        .value_kind:     by_value
      - .offset:         104
        .size:           4
        .value_kind:     by_value
      - .offset:         108
        .size:           4
        .value_kind:     by_value
      - .offset:         112
        .size:           4
        .value_kind:     by_value
      - .offset:         116
        .size:           12
        .value_kind:     by_value
      - .offset:         128
        .size:           4
        .value_kind:     by_value
      - .offset:         132
        .size:           4
        .value_kind:     by_value
      - .offset:         136
        .size:           4
        .value_kind:     by_value
      - .offset:         140
        .size:           4
        .value_kind:     by_value
    .group_segment_fixed_size: 0
    .kernarg_segment_align: 8
    .kernarg_segment_size: 144
    .language:       OpenCL C
    .language_version:
      - 2
      - 0
    .max_flat_workgroup_size: 64
    .name:           _ZL13mul_mat_vec_qIL9ggml_type13ELi5ELb0ELb0EEvPKvS2_PKi31ggml_cuda_mm_fusion_args_devicePfj15HIP_vector_typeIjLj3EEjjjS8_jjjS8_jjjj
    .private_segment_fixed_size: 0
    .sgpr_count:     36
    .sgpr_spill_count: 0
    .symbol:         _ZL13mul_mat_vec_qIL9ggml_type13ELi5ELb0ELb0EEvPKvS2_PKi31ggml_cuda_mm_fusion_args_devicePfj15HIP_vector_typeIjLj3EEjjjS8_jjjS8_jjjj.kd
    .uniform_work_group_size: 1
    .uses_dynamic_stack: false
    .vgpr_count:     95
    .vgpr_spill_count: 0
    .wavefront_size: 64
  - .args:
      - .address_space:  global
        .offset:         0
        .size:           8
        .value_kind:     global_buffer
      - .address_space:  global
        .offset:         8
        .size:           8
        .value_kind:     global_buffer
      - .address_space:  global
        .offset:         16
        .size:           8
        .value_kind:     global_buffer
      - .offset:         24
        .size:           32
        .value_kind:     by_value
      - .address_space:  global
        .offset:         56
        .size:           8
        .value_kind:     global_buffer
      - .offset:         64
        .size:           4
        .value_kind:     by_value
      - .offset:         68
        .size:           12
        .value_kind:     by_value
      - .offset:         80
        .size:           4
        .value_kind:     by_value
      - .offset:         84
        .size:           4
        .value_kind:     by_value
      - .offset:         88
        .size:           4
        .value_kind:     by_value
      - .offset:         92
        .size:           12
        .value_kind:     by_value
      - .offset:         104
        .size:           4
        .value_kind:     by_value
      - .offset:         108
        .size:           4
        .value_kind:     by_value
      - .offset:         112
        .size:           4
        .value_kind:     by_value
      - .offset:         116
        .size:           12
        .value_kind:     by_value
      - .offset:         128
        .size:           4
        .value_kind:     by_value
      - .offset:         132
        .size:           4
        .value_kind:     by_value
      - .offset:         136
        .size:           4
        .value_kind:     by_value
      - .offset:         140
        .size:           4
        .value_kind:     by_value
    .group_segment_fixed_size: 0
    .kernarg_segment_align: 8
    .kernarg_segment_size: 144
    .language:       OpenCL C
    .language_version:
      - 2
      - 0
    .max_flat_workgroup_size: 64
    .name:           _ZL13mul_mat_vec_qIL9ggml_type13ELi6ELb0ELb0EEvPKvS2_PKi31ggml_cuda_mm_fusion_args_devicePfj15HIP_vector_typeIjLj3EEjjjS8_jjjS8_jjjj
    .private_segment_fixed_size: 0
    .sgpr_count:     38
    .sgpr_spill_count: 0
    .symbol:         _ZL13mul_mat_vec_qIL9ggml_type13ELi6ELb0ELb0EEvPKvS2_PKi31ggml_cuda_mm_fusion_args_devicePfj15HIP_vector_typeIjLj3EEjjjS8_jjjS8_jjjj.kd
    .uniform_work_group_size: 1
    .uses_dynamic_stack: false
    .vgpr_count:     107
    .vgpr_spill_count: 0
    .wavefront_size: 64
  - .args:
      - .address_space:  global
        .offset:         0
        .size:           8
        .value_kind:     global_buffer
      - .address_space:  global
        .offset:         8
        .size:           8
        .value_kind:     global_buffer
      - .address_space:  global
        .offset:         16
        .size:           8
        .value_kind:     global_buffer
      - .offset:         24
        .size:           32
        .value_kind:     by_value
      - .address_space:  global
        .offset:         56
        .size:           8
        .value_kind:     global_buffer
      - .offset:         64
        .size:           4
        .value_kind:     by_value
      - .offset:         68
        .size:           12
        .value_kind:     by_value
      - .offset:         80
        .size:           4
        .value_kind:     by_value
      - .offset:         84
        .size:           4
        .value_kind:     by_value
      - .offset:         88
        .size:           4
        .value_kind:     by_value
      - .offset:         92
        .size:           12
        .value_kind:     by_value
      - .offset:         104
        .size:           4
        .value_kind:     by_value
      - .offset:         108
        .size:           4
        .value_kind:     by_value
      - .offset:         112
        .size:           4
        .value_kind:     by_value
      - .offset:         116
        .size:           12
        .value_kind:     by_value
      - .offset:         128
        .size:           4
        .value_kind:     by_value
      - .offset:         132
        .size:           4
        .value_kind:     by_value
      - .offset:         136
        .size:           4
        .value_kind:     by_value
      - .offset:         140
        .size:           4
        .value_kind:     by_value
    .group_segment_fixed_size: 0
    .kernarg_segment_align: 8
    .kernarg_segment_size: 144
    .language:       OpenCL C
    .language_version:
      - 2
      - 0
    .max_flat_workgroup_size: 64
    .name:           _ZL13mul_mat_vec_qIL9ggml_type13ELi7ELb0ELb0EEvPKvS2_PKi31ggml_cuda_mm_fusion_args_devicePfj15HIP_vector_typeIjLj3EEjjjS8_jjjS8_jjjj
    .private_segment_fixed_size: 0
    .sgpr_count:     39
    .sgpr_spill_count: 0
    .symbol:         _ZL13mul_mat_vec_qIL9ggml_type13ELi7ELb0ELb0EEvPKvS2_PKi31ggml_cuda_mm_fusion_args_devicePfj15HIP_vector_typeIjLj3EEjjjS8_jjjS8_jjjj.kd
    .uniform_work_group_size: 1
    .uses_dynamic_stack: false
    .vgpr_count:     119
    .vgpr_spill_count: 0
    .wavefront_size: 64
  - .args:
      - .address_space:  global
        .offset:         0
        .size:           8
        .value_kind:     global_buffer
      - .address_space:  global
        .offset:         8
        .size:           8
        .value_kind:     global_buffer
      - .address_space:  global
        .offset:         16
        .size:           8
        .value_kind:     global_buffer
      - .offset:         24
        .size:           32
        .value_kind:     by_value
      - .address_space:  global
        .offset:         56
        .size:           8
        .value_kind:     global_buffer
      - .offset:         64
        .size:           4
        .value_kind:     by_value
      - .offset:         68
        .size:           12
        .value_kind:     by_value
      - .offset:         80
        .size:           4
        .value_kind:     by_value
      - .offset:         84
        .size:           4
        .value_kind:     by_value
      - .offset:         88
        .size:           4
        .value_kind:     by_value
      - .offset:         92
        .size:           12
        .value_kind:     by_value
      - .offset:         104
        .size:           4
        .value_kind:     by_value
      - .offset:         108
        .size:           4
        .value_kind:     by_value
      - .offset:         112
        .size:           4
        .value_kind:     by_value
      - .offset:         116
        .size:           12
        .value_kind:     by_value
      - .offset:         128
        .size:           4
        .value_kind:     by_value
      - .offset:         132
        .size:           4
        .value_kind:     by_value
      - .offset:         136
        .size:           4
        .value_kind:     by_value
      - .offset:         140
        .size:           4
        .value_kind:     by_value
    .group_segment_fixed_size: 0
    .kernarg_segment_align: 8
    .kernarg_segment_size: 144
    .language:       OpenCL C
    .language_version:
      - 2
      - 0
    .max_flat_workgroup_size: 64
    .name:           _ZL13mul_mat_vec_qIL9ggml_type13ELi8ELb0ELb0EEvPKvS2_PKi31ggml_cuda_mm_fusion_args_devicePfj15HIP_vector_typeIjLj3EEjjjS8_jjjS8_jjjj
    .private_segment_fixed_size: 0
    .sgpr_count:     40
    .sgpr_spill_count: 0
    .symbol:         _ZL13mul_mat_vec_qIL9ggml_type13ELi8ELb0ELb0EEvPKvS2_PKi31ggml_cuda_mm_fusion_args_devicePfj15HIP_vector_typeIjLj3EEjjjS8_jjjS8_jjjj.kd
    .uniform_work_group_size: 1
    .uses_dynamic_stack: false
    .vgpr_count:     131
    .vgpr_spill_count: 0
    .wavefront_size: 64
  - .args:
      - .address_space:  global
        .offset:         0
        .size:           8
        .value_kind:     global_buffer
      - .address_space:  global
        .offset:         8
        .size:           8
        .value_kind:     global_buffer
      - .address_space:  global
        .offset:         16
        .size:           8
        .value_kind:     global_buffer
      - .address_space:  global
        .offset:         24
        .size:           8
        .value_kind:     global_buffer
      - .offset:         32
        .size:           4
        .value_kind:     by_value
      - .offset:         36
        .size:           12
        .value_kind:     by_value
      - .offset:         48
        .size:           4
        .value_kind:     by_value
      - .offset:         52
        .size:           4
        .value_kind:     by_value
      - .offset:         56
        .size:           4
        .value_kind:     by_value
      - .offset:         60
        .size:           4
        .value_kind:     by_value
      - .offset:         64
        .size:           4
        .value_kind:     by_value
      - .offset:         68
        .size:           4
        .value_kind:     by_value
      - .offset:         72
        .size:           4
        .value_kind:     by_value
      - .offset:         76
        .size:           4
        .value_kind:     by_value
      - .offset:         80
        .size:           4
        .value_kind:     by_value
    .group_segment_fixed_size: 0
    .kernarg_segment_align: 8
    .kernarg_segment_size: 84
    .language:       OpenCL C
    .language_version:
      - 2
      - 0
    .max_flat_workgroup_size: 256
    .name:           _ZL17mul_mat_vec_q_moeIL9ggml_type14ELi2EEvPKvS2_PKiPfj15HIP_vector_typeIjLj3EEjjjjjjjjj
    .private_segment_fixed_size: 0
    .sgpr_count:     33
    .sgpr_spill_count: 0
    .symbol:         _ZL17mul_mat_vec_q_moeIL9ggml_type14ELi2EEvPKvS2_PKiPfj15HIP_vector_typeIjLj3EEjjjjjjjjj.kd
    .uniform_work_group_size: 1
    .uses_dynamic_stack: false
    .vgpr_count:     42
    .vgpr_spill_count: 0
    .wavefront_size: 64
  - .args:
      - .address_space:  global
        .offset:         0
        .size:           8
        .value_kind:     global_buffer
      - .address_space:  global
        .offset:         8
        .size:           8
        .value_kind:     global_buffer
      - .address_space:  global
        .offset:         16
        .size:           8
        .value_kind:     global_buffer
      - .offset:         24
        .size:           32
        .value_kind:     by_value
      - .address_space:  global
        .offset:         56
        .size:           8
        .value_kind:     global_buffer
      - .offset:         64
        .size:           4
        .value_kind:     by_value
      - .offset:         68
        .size:           12
        .value_kind:     by_value
      - .offset:         80
        .size:           4
        .value_kind:     by_value
      - .offset:         84
        .size:           4
        .value_kind:     by_value
      - .offset:         88
        .size:           4
        .value_kind:     by_value
      - .offset:         92
        .size:           12
        .value_kind:     by_value
      - .offset:         104
        .size:           4
        .value_kind:     by_value
      - .offset:         108
        .size:           4
        .value_kind:     by_value
      - .offset:         112
        .size:           4
        .value_kind:     by_value
      - .offset:         116
        .size:           12
        .value_kind:     by_value
      - .offset:         128
        .size:           4
        .value_kind:     by_value
      - .offset:         132
        .size:           4
        .value_kind:     by_value
      - .offset:         136
        .size:           4
        .value_kind:     by_value
      - .offset:         140
        .size:           4
        .value_kind:     by_value
    .group_segment_fixed_size: 1024
    .kernarg_segment_align: 8
    .kernarg_segment_size: 144
    .language:       OpenCL C
    .language_version:
      - 2
      - 0
    .max_flat_workgroup_size: 128
    .name:           _ZL13mul_mat_vec_qIL9ggml_type14ELi1ELb1ELb1EEvPKvS2_PKi31ggml_cuda_mm_fusion_args_devicePfj15HIP_vector_typeIjLj3EEjjjS8_jjjS8_jjjj
    .private_segment_fixed_size: 0
    .sgpr_count:     48
    .sgpr_spill_count: 0
    .symbol:         _ZL13mul_mat_vec_qIL9ggml_type14ELi1ELb1ELb1EEvPKvS2_PKi31ggml_cuda_mm_fusion_args_devicePfj15HIP_vector_typeIjLj3EEjjjS8_jjjS8_jjjj.kd
    .uniform_work_group_size: 1
    .uses_dynamic_stack: false
    .vgpr_count:     43
    .vgpr_spill_count: 0
    .wavefront_size: 64
  - .args:
      - .address_space:  global
        .offset:         0
        .size:           8
        .value_kind:     global_buffer
      - .address_space:  global
        .offset:         8
        .size:           8
        .value_kind:     global_buffer
      - .address_space:  global
        .offset:         16
        .size:           8
        .value_kind:     global_buffer
      - .offset:         24
        .size:           32
        .value_kind:     by_value
      - .address_space:  global
        .offset:         56
        .size:           8
        .value_kind:     global_buffer
      - .offset:         64
        .size:           4
        .value_kind:     by_value
      - .offset:         68
        .size:           12
        .value_kind:     by_value
      - .offset:         80
        .size:           4
        .value_kind:     by_value
      - .offset:         84
        .size:           4
        .value_kind:     by_value
      - .offset:         88
        .size:           4
        .value_kind:     by_value
      - .offset:         92
        .size:           12
        .value_kind:     by_value
      - .offset:         104
        .size:           4
        .value_kind:     by_value
      - .offset:         108
        .size:           4
        .value_kind:     by_value
      - .offset:         112
        .size:           4
        .value_kind:     by_value
      - .offset:         116
        .size:           12
        .value_kind:     by_value
      - .offset:         128
        .size:           4
        .value_kind:     by_value
      - .offset:         132
        .size:           4
        .value_kind:     by_value
      - .offset:         136
        .size:           4
        .value_kind:     by_value
      - .offset:         140
        .size:           4
        .value_kind:     by_value
    .group_segment_fixed_size: 512
    .kernarg_segment_align: 8
    .kernarg_segment_size: 144
    .language:       OpenCL C
    .language_version:
      - 2
      - 0
    .max_flat_workgroup_size: 128
    .name:           _ZL13mul_mat_vec_qIL9ggml_type14ELi1ELb0ELb1EEvPKvS2_PKi31ggml_cuda_mm_fusion_args_devicePfj15HIP_vector_typeIjLj3EEjjjS8_jjjS8_jjjj
    .private_segment_fixed_size: 0
    .sgpr_count:     28
    .sgpr_spill_count: 0
    .symbol:         _ZL13mul_mat_vec_qIL9ggml_type14ELi1ELb0ELb1EEvPKvS2_PKi31ggml_cuda_mm_fusion_args_devicePfj15HIP_vector_typeIjLj3EEjjjS8_jjjS8_jjjj.kd
    .uniform_work_group_size: 1
    .uses_dynamic_stack: false
    .vgpr_count:     28
    .vgpr_spill_count: 0
    .wavefront_size: 64
  - .args:
      - .address_space:  global
        .offset:         0
        .size:           8
        .value_kind:     global_buffer
      - .address_space:  global
        .offset:         8
        .size:           8
        .value_kind:     global_buffer
      - .address_space:  global
        .offset:         16
        .size:           8
        .value_kind:     global_buffer
      - .offset:         24
        .size:           32
        .value_kind:     by_value
      - .address_space:  global
        .offset:         56
        .size:           8
        .value_kind:     global_buffer
      - .offset:         64
        .size:           4
        .value_kind:     by_value
      - .offset:         68
        .size:           12
        .value_kind:     by_value
      - .offset:         80
        .size:           4
        .value_kind:     by_value
      - .offset:         84
        .size:           4
        .value_kind:     by_value
      - .offset:         88
        .size:           4
        .value_kind:     by_value
      - .offset:         92
        .size:           12
        .value_kind:     by_value
      - .offset:         104
        .size:           4
        .value_kind:     by_value
      - .offset:         108
        .size:           4
        .value_kind:     by_value
      - .offset:         112
        .size:           4
        .value_kind:     by_value
      - .offset:         116
        .size:           12
        .value_kind:     by_value
      - .offset:         128
        .size:           4
        .value_kind:     by_value
      - .offset:         132
        .size:           4
        .value_kind:     by_value
      - .offset:         136
        .size:           4
        .value_kind:     by_value
      - .offset:         140
        .size:           4
        .value_kind:     by_value
    .group_segment_fixed_size: 512
    .kernarg_segment_align: 8
    .kernarg_segment_size: 144
    .language:       OpenCL C
    .language_version:
      - 2
      - 0
    .max_flat_workgroup_size: 128
    .name:           _ZL13mul_mat_vec_qIL9ggml_type14ELi1ELb1ELb0EEvPKvS2_PKi31ggml_cuda_mm_fusion_args_devicePfj15HIP_vector_typeIjLj3EEjjjS8_jjjS8_jjjj
    .private_segment_fixed_size: 0
    .sgpr_count:     46
    .sgpr_spill_count: 0
    .symbol:         _ZL13mul_mat_vec_qIL9ggml_type14ELi1ELb1ELb0EEvPKvS2_PKi31ggml_cuda_mm_fusion_args_devicePfj15HIP_vector_typeIjLj3EEjjjS8_jjjS8_jjjj.kd
    .uniform_work_group_size: 1
    .uses_dynamic_stack: false
    .vgpr_count:     38
    .vgpr_spill_count: 0
    .wavefront_size: 64
  - .args:
      - .address_space:  global
        .offset:         0
        .size:           8
        .value_kind:     global_buffer
      - .address_space:  global
        .offset:         8
        .size:           8
        .value_kind:     global_buffer
      - .address_space:  global
        .offset:         16
        .size:           8
        .value_kind:     global_buffer
      - .offset:         24
        .size:           32
        .value_kind:     by_value
      - .address_space:  global
        .offset:         56
        .size:           8
        .value_kind:     global_buffer
      - .offset:         64
        .size:           4
        .value_kind:     by_value
      - .offset:         68
        .size:           12
        .value_kind:     by_value
      - .offset:         80
        .size:           4
        .value_kind:     by_value
      - .offset:         84
        .size:           4
        .value_kind:     by_value
      - .offset:         88
        .size:           4
        .value_kind:     by_value
      - .offset:         92
        .size:           12
        .value_kind:     by_value
      - .offset:         104
        .size:           4
        .value_kind:     by_value
      - .offset:         108
        .size:           4
        .value_kind:     by_value
      - .offset:         112
        .size:           4
        .value_kind:     by_value
      - .offset:         116
        .size:           12
        .value_kind:     by_value
      - .offset:         128
        .size:           4
        .value_kind:     by_value
      - .offset:         132
        .size:           4
        .value_kind:     by_value
      - .offset:         136
        .size:           4
        .value_kind:     by_value
      - .offset:         140
        .size:           4
        .value_kind:     by_value
    .group_segment_fixed_size: 256
    .kernarg_segment_align: 8
    .kernarg_segment_size: 144
    .language:       OpenCL C
    .language_version:
      - 2
      - 0
    .max_flat_workgroup_size: 128
    .name:           _ZL13mul_mat_vec_qIL9ggml_type14ELi1ELb0ELb0EEvPKvS2_PKi31ggml_cuda_mm_fusion_args_devicePfj15HIP_vector_typeIjLj3EEjjjS8_jjjS8_jjjj
    .private_segment_fixed_size: 0
    .sgpr_count:     28
    .sgpr_spill_count: 0
    .symbol:         _ZL13mul_mat_vec_qIL9ggml_type14ELi1ELb0ELb0EEvPKvS2_PKi31ggml_cuda_mm_fusion_args_devicePfj15HIP_vector_typeIjLj3EEjjjS8_jjjS8_jjjj.kd
    .uniform_work_group_size: 1
    .uses_dynamic_stack: false
    .vgpr_count:     27
    .vgpr_spill_count: 0
    .wavefront_size: 64
  - .args:
      - .address_space:  global
        .offset:         0
        .size:           8
        .value_kind:     global_buffer
      - .address_space:  global
        .offset:         8
        .size:           8
        .value_kind:     global_buffer
      - .address_space:  global
        .offset:         16
        .size:           8
        .value_kind:     global_buffer
      - .offset:         24
        .size:           32
        .value_kind:     by_value
      - .address_space:  global
        .offset:         56
        .size:           8
        .value_kind:     global_buffer
      - .offset:         64
        .size:           4
        .value_kind:     by_value
      - .offset:         68
        .size:           12
        .value_kind:     by_value
      - .offset:         80
        .size:           4
        .value_kind:     by_value
      - .offset:         84
        .size:           4
        .value_kind:     by_value
      - .offset:         88
        .size:           4
        .value_kind:     by_value
      - .offset:         92
        .size:           12
        .value_kind:     by_value
      - .offset:         104
        .size:           4
        .value_kind:     by_value
      - .offset:         108
        .size:           4
        .value_kind:     by_value
      - .offset:         112
        .size:           4
        .value_kind:     by_value
      - .offset:         116
        .size:           12
        .value_kind:     by_value
      - .offset:         128
        .size:           4
        .value_kind:     by_value
      - .offset:         132
        .size:           4
        .value_kind:     by_value
      - .offset:         136
        .size:           4
        .value_kind:     by_value
      - .offset:         140
        .size:           4
        .value_kind:     by_value
    .group_segment_fixed_size: 1024
    .kernarg_segment_align: 8
    .kernarg_segment_size: 144
    .language:       OpenCL C
    .language_version:
      - 2
      - 0
    .max_flat_workgroup_size: 128
    .name:           _ZL13mul_mat_vec_qIL9ggml_type14ELi2ELb0ELb0EEvPKvS2_PKi31ggml_cuda_mm_fusion_args_devicePfj15HIP_vector_typeIjLj3EEjjjS8_jjjS8_jjjj
    .private_segment_fixed_size: 0
    .sgpr_count:     30
    .sgpr_spill_count: 0
    .symbol:         _ZL13mul_mat_vec_qIL9ggml_type14ELi2ELb0ELb0EEvPKvS2_PKi31ggml_cuda_mm_fusion_args_devicePfj15HIP_vector_typeIjLj3EEjjjS8_jjjS8_jjjj.kd
    .uniform_work_group_size: 1
    .uses_dynamic_stack: false
    .vgpr_count:     40
    .vgpr_spill_count: 0
    .wavefront_size: 64
  - .args:
      - .address_space:  global
        .offset:         0
        .size:           8
        .value_kind:     global_buffer
      - .address_space:  global
        .offset:         8
        .size:           8
        .value_kind:     global_buffer
      - .address_space:  global
        .offset:         16
        .size:           8
        .value_kind:     global_buffer
      - .offset:         24
        .size:           32
        .value_kind:     by_value
      - .address_space:  global
        .offset:         56
        .size:           8
        .value_kind:     global_buffer
      - .offset:         64
        .size:           4
        .value_kind:     by_value
      - .offset:         68
        .size:           12
        .value_kind:     by_value
      - .offset:         80
        .size:           4
        .value_kind:     by_value
      - .offset:         84
        .size:           4
        .value_kind:     by_value
      - .offset:         88
        .size:           4
        .value_kind:     by_value
      - .offset:         92
        .size:           12
        .value_kind:     by_value
      - .offset:         104
        .size:           4
        .value_kind:     by_value
      - .offset:         108
        .size:           4
        .value_kind:     by_value
      - .offset:         112
        .size:           4
        .value_kind:     by_value
      - .offset:         116
        .size:           12
        .value_kind:     by_value
      - .offset:         128
        .size:           4
        .value_kind:     by_value
      - .offset:         132
        .size:           4
        .value_kind:     by_value
      - .offset:         136
        .size:           4
        .value_kind:     by_value
      - .offset:         140
        .size:           4
        .value_kind:     by_value
    .group_segment_fixed_size: 1536
    .kernarg_segment_align: 8
    .kernarg_segment_size: 144
    .language:       OpenCL C
    .language_version:
      - 2
      - 0
    .max_flat_workgroup_size: 128
    .name:           _ZL13mul_mat_vec_qIL9ggml_type14ELi3ELb0ELb0EEvPKvS2_PKi31ggml_cuda_mm_fusion_args_devicePfj15HIP_vector_typeIjLj3EEjjjS8_jjjS8_jjjj
    .private_segment_fixed_size: 0
    .sgpr_count:     30
    .sgpr_spill_count: 0
    .symbol:         _ZL13mul_mat_vec_qIL9ggml_type14ELi3ELb0ELb0EEvPKvS2_PKi31ggml_cuda_mm_fusion_args_devicePfj15HIP_vector_typeIjLj3EEjjjS8_jjjS8_jjjj.kd
    .uniform_work_group_size: 1
    .uses_dynamic_stack: false
    .vgpr_count:     48
    .vgpr_spill_count: 0
    .wavefront_size: 64
  - .args:
      - .address_space:  global
        .offset:         0
        .size:           8
        .value_kind:     global_buffer
      - .address_space:  global
        .offset:         8
        .size:           8
        .value_kind:     global_buffer
      - .address_space:  global
        .offset:         16
        .size:           8
        .value_kind:     global_buffer
      - .offset:         24
        .size:           32
        .value_kind:     by_value
      - .address_space:  global
        .offset:         56
        .size:           8
        .value_kind:     global_buffer
      - .offset:         64
        .size:           4
        .value_kind:     by_value
      - .offset:         68
        .size:           12
        .value_kind:     by_value
      - .offset:         80
        .size:           4
        .value_kind:     by_value
      - .offset:         84
        .size:           4
        .value_kind:     by_value
      - .offset:         88
        .size:           4
        .value_kind:     by_value
      - .offset:         92
        .size:           12
        .value_kind:     by_value
      - .offset:         104
        .size:           4
        .value_kind:     by_value
      - .offset:         108
        .size:           4
        .value_kind:     by_value
      - .offset:         112
        .size:           4
        .value_kind:     by_value
      - .offset:         116
        .size:           12
        .value_kind:     by_value
      - .offset:         128
        .size:           4
        .value_kind:     by_value
      - .offset:         132
        .size:           4
        .value_kind:     by_value
      - .offset:         136
        .size:           4
        .value_kind:     by_value
      - .offset:         140
        .size:           4
        .value_kind:     by_value
    .group_segment_fixed_size: 2048
    .kernarg_segment_align: 8
    .kernarg_segment_size: 144
    .language:       OpenCL C
    .language_version:
      - 2
      - 0
    .max_flat_workgroup_size: 128
    .name:           _ZL13mul_mat_vec_qIL9ggml_type14ELi4ELb0ELb0EEvPKvS2_PKi31ggml_cuda_mm_fusion_args_devicePfj15HIP_vector_typeIjLj3EEjjjS8_jjjS8_jjjj
    .private_segment_fixed_size: 0
    .sgpr_count:     30
    .sgpr_spill_count: 0
    .symbol:         _ZL13mul_mat_vec_qIL9ggml_type14ELi4ELb0ELb0EEvPKvS2_PKi31ggml_cuda_mm_fusion_args_devicePfj15HIP_vector_typeIjLj3EEjjjS8_jjjS8_jjjj.kd
    .uniform_work_group_size: 1
    .uses_dynamic_stack: false
    .vgpr_count:     48
    .vgpr_spill_count: 0
    .wavefront_size: 64
  - .args:
      - .address_space:  global
        .offset:         0
        .size:           8
        .value_kind:     global_buffer
      - .address_space:  global
        .offset:         8
        .size:           8
        .value_kind:     global_buffer
      - .address_space:  global
        .offset:         16
        .size:           8
        .value_kind:     global_buffer
      - .offset:         24
        .size:           32
        .value_kind:     by_value
      - .address_space:  global
        .offset:         56
        .size:           8
        .value_kind:     global_buffer
      - .offset:         64
        .size:           4
        .value_kind:     by_value
      - .offset:         68
        .size:           12
        .value_kind:     by_value
      - .offset:         80
        .size:           4
        .value_kind:     by_value
      - .offset:         84
        .size:           4
        .value_kind:     by_value
      - .offset:         88
        .size:           4
        .value_kind:     by_value
      - .offset:         92
        .size:           12
        .value_kind:     by_value
      - .offset:         104
        .size:           4
        .value_kind:     by_value
      - .offset:         108
        .size:           4
        .value_kind:     by_value
      - .offset:         112
        .size:           4
        .value_kind:     by_value
      - .offset:         116
        .size:           12
        .value_kind:     by_value
      - .offset:         128
        .size:           4
        .value_kind:     by_value
      - .offset:         132
        .size:           4
        .value_kind:     by_value
      - .offset:         136
        .size:           4
        .value_kind:     by_value
      - .offset:         140
        .size:           4
        .value_kind:     by_value
    .group_segment_fixed_size: 0
    .kernarg_segment_align: 8
    .kernarg_segment_size: 144
    .language:       OpenCL C
    .language_version:
      - 2
      - 0
    .max_flat_workgroup_size: 64
    .name:           _ZL13mul_mat_vec_qIL9ggml_type14ELi5ELb0ELb0EEvPKvS2_PKi31ggml_cuda_mm_fusion_args_devicePfj15HIP_vector_typeIjLj3EEjjjS8_jjjS8_jjjj
    .private_segment_fixed_size: 0
    .sgpr_count:     32
    .sgpr_spill_count: 0
    .symbol:         _ZL13mul_mat_vec_qIL9ggml_type14ELi5ELb0ELb0EEvPKvS2_PKi31ggml_cuda_mm_fusion_args_devicePfj15HIP_vector_typeIjLj3EEjjjS8_jjjS8_jjjj.kd
    .uniform_work_group_size: 1
    .uses_dynamic_stack: false
    .vgpr_count:     43
    .vgpr_spill_count: 0
    .wavefront_size: 64
  - .args:
      - .address_space:  global
        .offset:         0
        .size:           8
        .value_kind:     global_buffer
      - .address_space:  global
        .offset:         8
        .size:           8
        .value_kind:     global_buffer
      - .address_space:  global
        .offset:         16
        .size:           8
        .value_kind:     global_buffer
      - .offset:         24
        .size:           32
        .value_kind:     by_value
      - .address_space:  global
        .offset:         56
        .size:           8
        .value_kind:     global_buffer
      - .offset:         64
        .size:           4
        .value_kind:     by_value
      - .offset:         68
        .size:           12
        .value_kind:     by_value
      - .offset:         80
        .size:           4
        .value_kind:     by_value
      - .offset:         84
        .size:           4
        .value_kind:     by_value
      - .offset:         88
        .size:           4
        .value_kind:     by_value
      - .offset:         92
        .size:           12
        .value_kind:     by_value
      - .offset:         104
        .size:           4
        .value_kind:     by_value
      - .offset:         108
        .size:           4
        .value_kind:     by_value
      - .offset:         112
        .size:           4
        .value_kind:     by_value
      - .offset:         116
        .size:           12
        .value_kind:     by_value
      - .offset:         128
        .size:           4
        .value_kind:     by_value
      - .offset:         132
        .size:           4
        .value_kind:     by_value
      - .offset:         136
        .size:           4
        .value_kind:     by_value
      - .offset:         140
        .size:           4
        .value_kind:     by_value
    .group_segment_fixed_size: 0
    .kernarg_segment_align: 8
    .kernarg_segment_size: 144
    .language:       OpenCL C
    .language_version:
      - 2
      - 0
    .max_flat_workgroup_size: 64
    .name:           _ZL13mul_mat_vec_qIL9ggml_type14ELi6ELb0ELb0EEvPKvS2_PKi31ggml_cuda_mm_fusion_args_devicePfj15HIP_vector_typeIjLj3EEjjjS8_jjjS8_jjjj
    .private_segment_fixed_size: 0
    .sgpr_count:     32
    .sgpr_spill_count: 0
    .symbol:         _ZL13mul_mat_vec_qIL9ggml_type14ELi6ELb0ELb0EEvPKvS2_PKi31ggml_cuda_mm_fusion_args_devicePfj15HIP_vector_typeIjLj3EEjjjS8_jjjS8_jjjj.kd
    .uniform_work_group_size: 1
    .uses_dynamic_stack: false
    .vgpr_count:     45
    .vgpr_spill_count: 0
    .wavefront_size: 64
  - .args:
      - .address_space:  global
        .offset:         0
        .size:           8
        .value_kind:     global_buffer
      - .address_space:  global
        .offset:         8
        .size:           8
        .value_kind:     global_buffer
      - .address_space:  global
        .offset:         16
        .size:           8
        .value_kind:     global_buffer
      - .offset:         24
        .size:           32
        .value_kind:     by_value
      - .address_space:  global
        .offset:         56
        .size:           8
        .value_kind:     global_buffer
      - .offset:         64
        .size:           4
        .value_kind:     by_value
      - .offset:         68
        .size:           12
        .value_kind:     by_value
      - .offset:         80
        .size:           4
        .value_kind:     by_value
      - .offset:         84
        .size:           4
        .value_kind:     by_value
      - .offset:         88
        .size:           4
        .value_kind:     by_value
      - .offset:         92
        .size:           12
        .value_kind:     by_value
      - .offset:         104
        .size:           4
        .value_kind:     by_value
      - .offset:         108
        .size:           4
        .value_kind:     by_value
      - .offset:         112
        .size:           4
        .value_kind:     by_value
      - .offset:         116
        .size:           12
        .value_kind:     by_value
      - .offset:         128
        .size:           4
        .value_kind:     by_value
      - .offset:         132
        .size:           4
        .value_kind:     by_value
      - .offset:         136
        .size:           4
        .value_kind:     by_value
      - .offset:         140
        .size:           4
        .value_kind:     by_value
    .group_segment_fixed_size: 0
    .kernarg_segment_align: 8
    .kernarg_segment_size: 144
    .language:       OpenCL C
    .language_version:
      - 2
      - 0
    .max_flat_workgroup_size: 64
    .name:           _ZL13mul_mat_vec_qIL9ggml_type14ELi7ELb0ELb0EEvPKvS2_PKi31ggml_cuda_mm_fusion_args_devicePfj15HIP_vector_typeIjLj3EEjjjS8_jjjS8_jjjj
    .private_segment_fixed_size: 0
    .sgpr_count:     34
    .sgpr_spill_count: 0
    .symbol:         _ZL13mul_mat_vec_qIL9ggml_type14ELi7ELb0ELb0EEvPKvS2_PKi31ggml_cuda_mm_fusion_args_devicePfj15HIP_vector_typeIjLj3EEjjjS8_jjjS8_jjjj.kd
    .uniform_work_group_size: 1
    .uses_dynamic_stack: false
    .vgpr_count:     47
    .vgpr_spill_count: 0
    .wavefront_size: 64
  - .args:
      - .address_space:  global
        .offset:         0
        .size:           8
        .value_kind:     global_buffer
      - .address_space:  global
        .offset:         8
        .size:           8
        .value_kind:     global_buffer
      - .address_space:  global
        .offset:         16
        .size:           8
        .value_kind:     global_buffer
      - .offset:         24
        .size:           32
        .value_kind:     by_value
      - .address_space:  global
        .offset:         56
        .size:           8
        .value_kind:     global_buffer
      - .offset:         64
        .size:           4
        .value_kind:     by_value
      - .offset:         68
        .size:           12
        .value_kind:     by_value
      - .offset:         80
        .size:           4
        .value_kind:     by_value
      - .offset:         84
        .size:           4
        .value_kind:     by_value
      - .offset:         88
        .size:           4
        .value_kind:     by_value
      - .offset:         92
        .size:           12
        .value_kind:     by_value
      - .offset:         104
        .size:           4
        .value_kind:     by_value
      - .offset:         108
        .size:           4
        .value_kind:     by_value
      - .offset:         112
        .size:           4
        .value_kind:     by_value
      - .offset:         116
        .size:           12
        .value_kind:     by_value
      - .offset:         128
        .size:           4
        .value_kind:     by_value
      - .offset:         132
        .size:           4
        .value_kind:     by_value
      - .offset:         136
        .size:           4
        .value_kind:     by_value
      - .offset:         140
        .size:           4
        .value_kind:     by_value
    .group_segment_fixed_size: 0
    .kernarg_segment_align: 8
    .kernarg_segment_size: 144
    .language:       OpenCL C
    .language_version:
      - 2
      - 0
    .max_flat_workgroup_size: 64
    .name:           _ZL13mul_mat_vec_qIL9ggml_type14ELi8ELb0ELb0EEvPKvS2_PKi31ggml_cuda_mm_fusion_args_devicePfj15HIP_vector_typeIjLj3EEjjjS8_jjjS8_jjjj
    .private_segment_fixed_size: 0
    .sgpr_count:     34
    .sgpr_spill_count: 0
    .symbol:         _ZL13mul_mat_vec_qIL9ggml_type14ELi8ELb0ELb0EEvPKvS2_PKi31ggml_cuda_mm_fusion_args_devicePfj15HIP_vector_typeIjLj3EEjjjS8_jjjS8_jjjj.kd
    .uniform_work_group_size: 1
    .uses_dynamic_stack: false
    .vgpr_count:     64
    .vgpr_spill_count: 0
    .wavefront_size: 64
  - .args:
      - .address_space:  global
        .offset:         0
        .size:           8
        .value_kind:     global_buffer
      - .address_space:  global
        .offset:         8
        .size:           8
        .value_kind:     global_buffer
      - .address_space:  global
        .offset:         16
        .size:           8
        .value_kind:     global_buffer
      - .address_space:  global
        .offset:         24
        .size:           8
        .value_kind:     global_buffer
      - .offset:         32
        .size:           4
        .value_kind:     by_value
      - .offset:         36
        .size:           12
        .value_kind:     by_value
      - .offset:         48
        .size:           4
        .value_kind:     by_value
      - .offset:         52
        .size:           4
        .value_kind:     by_value
      - .offset:         56
        .size:           4
        .value_kind:     by_value
      - .offset:         60
        .size:           4
        .value_kind:     by_value
      - .offset:         64
        .size:           4
        .value_kind:     by_value
      - .offset:         68
        .size:           4
        .value_kind:     by_value
      - .offset:         72
        .size:           4
        .value_kind:     by_value
      - .offset:         76
        .size:           4
        .value_kind:     by_value
      - .offset:         80
        .size:           4
        .value_kind:     by_value
    .group_segment_fixed_size: 0
    .kernarg_segment_align: 8
    .kernarg_segment_size: 84
    .language:       OpenCL C
    .language_version:
      - 2
      - 0
    .max_flat_workgroup_size: 256
    .name:           _ZL17mul_mat_vec_q_moeIL9ggml_type16ELi2EEvPKvS2_PKiPfj15HIP_vector_typeIjLj3EEjjjjjjjjj
    .private_segment_fixed_size: 0
    .sgpr_count:     32
    .sgpr_spill_count: 0
    .symbol:         _ZL17mul_mat_vec_q_moeIL9ggml_type16ELi2EEvPKvS2_PKiPfj15HIP_vector_typeIjLj3EEjjjjjjjjj.kd
    .uniform_work_group_size: 1
    .uses_dynamic_stack: false
    .vgpr_count:     38
    .vgpr_spill_count: 0
    .wavefront_size: 64
  - .args:
      - .address_space:  global
        .offset:         0
        .size:           8
        .value_kind:     global_buffer
      - .address_space:  global
        .offset:         8
        .size:           8
        .value_kind:     global_buffer
      - .address_space:  global
        .offset:         16
        .size:           8
        .value_kind:     global_buffer
      - .offset:         24
        .size:           32
        .value_kind:     by_value
      - .address_space:  global
        .offset:         56
        .size:           8
        .value_kind:     global_buffer
      - .offset:         64
        .size:           4
        .value_kind:     by_value
      - .offset:         68
        .size:           12
        .value_kind:     by_value
      - .offset:         80
        .size:           4
        .value_kind:     by_value
      - .offset:         84
        .size:           4
        .value_kind:     by_value
      - .offset:         88
        .size:           4
        .value_kind:     by_value
      - .offset:         92
        .size:           12
        .value_kind:     by_value
      - .offset:         104
        .size:           4
        .value_kind:     by_value
      - .offset:         108
        .size:           4
        .value_kind:     by_value
      - .offset:         112
        .size:           4
        .value_kind:     by_value
      - .offset:         116
        .size:           12
        .value_kind:     by_value
      - .offset:         128
        .size:           4
        .value_kind:     by_value
      - .offset:         132
        .size:           4
        .value_kind:     by_value
      - .offset:         136
        .size:           4
        .value_kind:     by_value
      - .offset:         140
        .size:           4
        .value_kind:     by_value
    .group_segment_fixed_size: 1024
    .kernarg_segment_align: 8
    .kernarg_segment_size: 144
    .language:       OpenCL C
    .language_version:
      - 2
      - 0
    .max_flat_workgroup_size: 128
    .name:           _ZL13mul_mat_vec_qIL9ggml_type16ELi1ELb1ELb1EEvPKvS2_PKi31ggml_cuda_mm_fusion_args_devicePfj15HIP_vector_typeIjLj3EEjjjS8_jjjS8_jjjj
    .private_segment_fixed_size: 0
    .sgpr_count:     100
    .sgpr_spill_count: 4
    .symbol:         _ZL13mul_mat_vec_qIL9ggml_type16ELi1ELb1ELb1EEvPKvS2_PKi31ggml_cuda_mm_fusion_args_devicePfj15HIP_vector_typeIjLj3EEjjjS8_jjjS8_jjjj.kd
    .uniform_work_group_size: 1
    .uses_dynamic_stack: false
    .vgpr_count:     79
    .vgpr_spill_count: 0
    .wavefront_size: 64
  - .args:
      - .address_space:  global
        .offset:         0
        .size:           8
        .value_kind:     global_buffer
      - .address_space:  global
        .offset:         8
        .size:           8
        .value_kind:     global_buffer
      - .address_space:  global
        .offset:         16
        .size:           8
        .value_kind:     global_buffer
      - .offset:         24
        .size:           32
        .value_kind:     by_value
      - .address_space:  global
        .offset:         56
        .size:           8
        .value_kind:     global_buffer
      - .offset:         64
        .size:           4
        .value_kind:     by_value
      - .offset:         68
        .size:           12
        .value_kind:     by_value
      - .offset:         80
        .size:           4
        .value_kind:     by_value
      - .offset:         84
        .size:           4
        .value_kind:     by_value
      - .offset:         88
        .size:           4
        .value_kind:     by_value
      - .offset:         92
        .size:           12
        .value_kind:     by_value
      - .offset:         104
        .size:           4
        .value_kind:     by_value
      - .offset:         108
        .size:           4
        .value_kind:     by_value
      - .offset:         112
        .size:           4
        .value_kind:     by_value
      - .offset:         116
        .size:           12
        .value_kind:     by_value
      - .offset:         128
        .size:           4
        .value_kind:     by_value
      - .offset:         132
        .size:           4
        .value_kind:     by_value
      - .offset:         136
        .size:           4
        .value_kind:     by_value
      - .offset:         140
        .size:           4
        .value_kind:     by_value
    .group_segment_fixed_size: 512
    .kernarg_segment_align: 8
    .kernarg_segment_size: 144
    .language:       OpenCL C
    .language_version:
      - 2
      - 0
    .max_flat_workgroup_size: 128
    .name:           _ZL13mul_mat_vec_qIL9ggml_type16ELi1ELb0ELb1EEvPKvS2_PKi31ggml_cuda_mm_fusion_args_devicePfj15HIP_vector_typeIjLj3EEjjjS8_jjjS8_jjjj
    .private_segment_fixed_size: 0
    .sgpr_count:     28
    .sgpr_spill_count: 0
    .symbol:         _ZL13mul_mat_vec_qIL9ggml_type16ELi1ELb0ELb1EEvPKvS2_PKi31ggml_cuda_mm_fusion_args_devicePfj15HIP_vector_typeIjLj3EEjjjS8_jjjS8_jjjj.kd
    .uniform_work_group_size: 1
    .uses_dynamic_stack: false
    .vgpr_count:     36
    .vgpr_spill_count: 0
    .wavefront_size: 64
  - .args:
      - .address_space:  global
        .offset:         0
        .size:           8
        .value_kind:     global_buffer
      - .address_space:  global
        .offset:         8
        .size:           8
        .value_kind:     global_buffer
      - .address_space:  global
        .offset:         16
        .size:           8
        .value_kind:     global_buffer
      - .offset:         24
        .size:           32
        .value_kind:     by_value
      - .address_space:  global
        .offset:         56
        .size:           8
        .value_kind:     global_buffer
      - .offset:         64
        .size:           4
        .value_kind:     by_value
      - .offset:         68
        .size:           12
        .value_kind:     by_value
      - .offset:         80
        .size:           4
        .value_kind:     by_value
      - .offset:         84
        .size:           4
        .value_kind:     by_value
      - .offset:         88
        .size:           4
        .value_kind:     by_value
      - .offset:         92
        .size:           12
        .value_kind:     by_value
      - .offset:         104
        .size:           4
        .value_kind:     by_value
      - .offset:         108
        .size:           4
        .value_kind:     by_value
      - .offset:         112
        .size:           4
        .value_kind:     by_value
      - .offset:         116
        .size:           12
        .value_kind:     by_value
      - .offset:         128
        .size:           4
        .value_kind:     by_value
      - .offset:         132
        .size:           4
        .value_kind:     by_value
      - .offset:         136
        .size:           4
        .value_kind:     by_value
      - .offset:         140
        .size:           4
        .value_kind:     by_value
    .group_segment_fixed_size: 512
    .kernarg_segment_align: 8
    .kernarg_segment_size: 144
    .language:       OpenCL C
    .language_version:
      - 2
      - 0
    .max_flat_workgroup_size: 128
    .name:           _ZL13mul_mat_vec_qIL9ggml_type16ELi1ELb1ELb0EEvPKvS2_PKi31ggml_cuda_mm_fusion_args_devicePfj15HIP_vector_typeIjLj3EEjjjS8_jjjS8_jjjj
    .private_segment_fixed_size: 0
    .sgpr_count:     48
    .sgpr_spill_count: 0
    .symbol:         _ZL13mul_mat_vec_qIL9ggml_type16ELi1ELb1ELb0EEvPKvS2_PKi31ggml_cuda_mm_fusion_args_devicePfj15HIP_vector_typeIjLj3EEjjjS8_jjjS8_jjjj.kd
    .uniform_work_group_size: 1
    .uses_dynamic_stack: false
    .vgpr_count:     49
    .vgpr_spill_count: 0
    .wavefront_size: 64
  - .args:
      - .address_space:  global
        .offset:         0
        .size:           8
        .value_kind:     global_buffer
      - .address_space:  global
        .offset:         8
        .size:           8
        .value_kind:     global_buffer
      - .address_space:  global
        .offset:         16
        .size:           8
        .value_kind:     global_buffer
      - .offset:         24
        .size:           32
        .value_kind:     by_value
      - .address_space:  global
        .offset:         56
        .size:           8
        .value_kind:     global_buffer
      - .offset:         64
        .size:           4
        .value_kind:     by_value
      - .offset:         68
        .size:           12
        .value_kind:     by_value
      - .offset:         80
        .size:           4
        .value_kind:     by_value
      - .offset:         84
        .size:           4
        .value_kind:     by_value
      - .offset:         88
        .size:           4
        .value_kind:     by_value
      - .offset:         92
        .size:           12
        .value_kind:     by_value
      - .offset:         104
        .size:           4
        .value_kind:     by_value
      - .offset:         108
        .size:           4
        .value_kind:     by_value
      - .offset:         112
        .size:           4
        .value_kind:     by_value
      - .offset:         116
        .size:           12
        .value_kind:     by_value
      - .offset:         128
        .size:           4
        .value_kind:     by_value
      - .offset:         132
        .size:           4
        .value_kind:     by_value
      - .offset:         136
        .size:           4
        .value_kind:     by_value
      - .offset:         140
        .size:           4
        .value_kind:     by_value
    .group_segment_fixed_size: 256
    .kernarg_segment_align: 8
    .kernarg_segment_size: 144
    .language:       OpenCL C
    .language_version:
      - 2
      - 0
    .max_flat_workgroup_size: 128
    .name:           _ZL13mul_mat_vec_qIL9ggml_type16ELi1ELb0ELb0EEvPKvS2_PKi31ggml_cuda_mm_fusion_args_devicePfj15HIP_vector_typeIjLj3EEjjjS8_jjjS8_jjjj
    .private_segment_fixed_size: 0
    .sgpr_count:     32
    .sgpr_spill_count: 0
    .symbol:         _ZL13mul_mat_vec_qIL9ggml_type16ELi1ELb0ELb0EEvPKvS2_PKi31ggml_cuda_mm_fusion_args_devicePfj15HIP_vector_typeIjLj3EEjjjS8_jjjS8_jjjj.kd
    .uniform_work_group_size: 1
    .uses_dynamic_stack: false
    .vgpr_count:     33
    .vgpr_spill_count: 0
    .wavefront_size: 64
  - .args:
      - .address_space:  global
        .offset:         0
        .size:           8
        .value_kind:     global_buffer
      - .address_space:  global
        .offset:         8
        .size:           8
        .value_kind:     global_buffer
      - .address_space:  global
        .offset:         16
        .size:           8
        .value_kind:     global_buffer
      - .offset:         24
        .size:           32
        .value_kind:     by_value
      - .address_space:  global
        .offset:         56
        .size:           8
        .value_kind:     global_buffer
      - .offset:         64
        .size:           4
        .value_kind:     by_value
      - .offset:         68
        .size:           12
        .value_kind:     by_value
      - .offset:         80
        .size:           4
        .value_kind:     by_value
      - .offset:         84
        .size:           4
        .value_kind:     by_value
      - .offset:         88
        .size:           4
        .value_kind:     by_value
      - .offset:         92
        .size:           12
        .value_kind:     by_value
      - .offset:         104
        .size:           4
        .value_kind:     by_value
      - .offset:         108
        .size:           4
        .value_kind:     by_value
      - .offset:         112
        .size:           4
        .value_kind:     by_value
      - .offset:         116
        .size:           12
        .value_kind:     by_value
      - .offset:         128
        .size:           4
        .value_kind:     by_value
      - .offset:         132
        .size:           4
        .value_kind:     by_value
      - .offset:         136
        .size:           4
        .value_kind:     by_value
      - .offset:         140
        .size:           4
        .value_kind:     by_value
    .group_segment_fixed_size: 1024
    .kernarg_segment_align: 8
    .kernarg_segment_size: 144
    .language:       OpenCL C
    .language_version:
      - 2
      - 0
    .max_flat_workgroup_size: 128
    .name:           _ZL13mul_mat_vec_qIL9ggml_type16ELi2ELb0ELb0EEvPKvS2_PKi31ggml_cuda_mm_fusion_args_devicePfj15HIP_vector_typeIjLj3EEjjjS8_jjjS8_jjjj
    .private_segment_fixed_size: 0
    .sgpr_count:     30
    .sgpr_spill_count: 0
    .symbol:         _ZL13mul_mat_vec_qIL9ggml_type16ELi2ELb0ELb0EEvPKvS2_PKi31ggml_cuda_mm_fusion_args_devicePfj15HIP_vector_typeIjLj3EEjjjS8_jjjS8_jjjj.kd
    .uniform_work_group_size: 1
    .uses_dynamic_stack: false
    .vgpr_count:     51
    .vgpr_spill_count: 0
    .wavefront_size: 64
  - .args:
      - .address_space:  global
        .offset:         0
        .size:           8
        .value_kind:     global_buffer
      - .address_space:  global
        .offset:         8
        .size:           8
        .value_kind:     global_buffer
      - .address_space:  global
        .offset:         16
        .size:           8
        .value_kind:     global_buffer
      - .offset:         24
        .size:           32
        .value_kind:     by_value
      - .address_space:  global
        .offset:         56
        .size:           8
        .value_kind:     global_buffer
      - .offset:         64
        .size:           4
        .value_kind:     by_value
      - .offset:         68
        .size:           12
        .value_kind:     by_value
      - .offset:         80
        .size:           4
        .value_kind:     by_value
      - .offset:         84
        .size:           4
        .value_kind:     by_value
      - .offset:         88
        .size:           4
        .value_kind:     by_value
      - .offset:         92
        .size:           12
        .value_kind:     by_value
      - .offset:         104
        .size:           4
        .value_kind:     by_value
      - .offset:         108
        .size:           4
        .value_kind:     by_value
      - .offset:         112
        .size:           4
        .value_kind:     by_value
      - .offset:         116
        .size:           12
        .value_kind:     by_value
      - .offset:         128
        .size:           4
        .value_kind:     by_value
      - .offset:         132
        .size:           4
        .value_kind:     by_value
      - .offset:         136
        .size:           4
        .value_kind:     by_value
      - .offset:         140
        .size:           4
        .value_kind:     by_value
    .group_segment_fixed_size: 1536
    .kernarg_segment_align: 8
    .kernarg_segment_size: 144
    .language:       OpenCL C
    .language_version:
      - 2
      - 0
    .max_flat_workgroup_size: 128
    .name:           _ZL13mul_mat_vec_qIL9ggml_type16ELi3ELb0ELb0EEvPKvS2_PKi31ggml_cuda_mm_fusion_args_devicePfj15HIP_vector_typeIjLj3EEjjjS8_jjjS8_jjjj
    .private_segment_fixed_size: 0
    .sgpr_count:     30
    .sgpr_spill_count: 0
    .symbol:         _ZL13mul_mat_vec_qIL9ggml_type16ELi3ELb0ELb0EEvPKvS2_PKi31ggml_cuda_mm_fusion_args_devicePfj15HIP_vector_typeIjLj3EEjjjS8_jjjS8_jjjj.kd
    .uniform_work_group_size: 1
    .uses_dynamic_stack: false
    .vgpr_count:     54
    .vgpr_spill_count: 0
    .wavefront_size: 64
  - .args:
      - .address_space:  global
        .offset:         0
        .size:           8
        .value_kind:     global_buffer
      - .address_space:  global
        .offset:         8
        .size:           8
        .value_kind:     global_buffer
      - .address_space:  global
        .offset:         16
        .size:           8
        .value_kind:     global_buffer
      - .offset:         24
        .size:           32
        .value_kind:     by_value
      - .address_space:  global
        .offset:         56
        .size:           8
        .value_kind:     global_buffer
      - .offset:         64
        .size:           4
        .value_kind:     by_value
      - .offset:         68
        .size:           12
        .value_kind:     by_value
      - .offset:         80
        .size:           4
        .value_kind:     by_value
      - .offset:         84
        .size:           4
        .value_kind:     by_value
      - .offset:         88
        .size:           4
        .value_kind:     by_value
      - .offset:         92
        .size:           12
        .value_kind:     by_value
      - .offset:         104
        .size:           4
        .value_kind:     by_value
      - .offset:         108
        .size:           4
        .value_kind:     by_value
      - .offset:         112
        .size:           4
        .value_kind:     by_value
      - .offset:         116
        .size:           12
        .value_kind:     by_value
      - .offset:         128
        .size:           4
        .value_kind:     by_value
      - .offset:         132
        .size:           4
        .value_kind:     by_value
      - .offset:         136
        .size:           4
        .value_kind:     by_value
      - .offset:         140
        .size:           4
        .value_kind:     by_value
    .group_segment_fixed_size: 2048
    .kernarg_segment_align: 8
    .kernarg_segment_size: 144
    .language:       OpenCL C
    .language_version:
      - 2
      - 0
    .max_flat_workgroup_size: 128
    .name:           _ZL13mul_mat_vec_qIL9ggml_type16ELi4ELb0ELb0EEvPKvS2_PKi31ggml_cuda_mm_fusion_args_devicePfj15HIP_vector_typeIjLj3EEjjjS8_jjjS8_jjjj
    .private_segment_fixed_size: 0
    .sgpr_count:     30
    .sgpr_spill_count: 0
    .symbol:         _ZL13mul_mat_vec_qIL9ggml_type16ELi4ELb0ELb0EEvPKvS2_PKi31ggml_cuda_mm_fusion_args_devicePfj15HIP_vector_typeIjLj3EEjjjS8_jjjS8_jjjj.kd
    .uniform_work_group_size: 1
    .uses_dynamic_stack: false
    .vgpr_count:     57
    .vgpr_spill_count: 0
    .wavefront_size: 64
  - .args:
      - .address_space:  global
        .offset:         0
        .size:           8
        .value_kind:     global_buffer
      - .address_space:  global
        .offset:         8
        .size:           8
        .value_kind:     global_buffer
      - .address_space:  global
        .offset:         16
        .size:           8
        .value_kind:     global_buffer
      - .offset:         24
        .size:           32
        .value_kind:     by_value
      - .address_space:  global
        .offset:         56
        .size:           8
        .value_kind:     global_buffer
      - .offset:         64
        .size:           4
        .value_kind:     by_value
      - .offset:         68
        .size:           12
        .value_kind:     by_value
      - .offset:         80
        .size:           4
        .value_kind:     by_value
      - .offset:         84
        .size:           4
        .value_kind:     by_value
      - .offset:         88
        .size:           4
        .value_kind:     by_value
      - .offset:         92
        .size:           12
        .value_kind:     by_value
      - .offset:         104
        .size:           4
        .value_kind:     by_value
      - .offset:         108
        .size:           4
        .value_kind:     by_value
      - .offset:         112
        .size:           4
        .value_kind:     by_value
      - .offset:         116
        .size:           12
        .value_kind:     by_value
      - .offset:         128
        .size:           4
        .value_kind:     by_value
      - .offset:         132
        .size:           4
        .value_kind:     by_value
      - .offset:         136
        .size:           4
        .value_kind:     by_value
      - .offset:         140
        .size:           4
        .value_kind:     by_value
    .group_segment_fixed_size: 0
    .kernarg_segment_align: 8
    .kernarg_segment_size: 144
    .language:       OpenCL C
    .language_version:
      - 2
      - 0
    .max_flat_workgroup_size: 64
    .name:           _ZL13mul_mat_vec_qIL9ggml_type16ELi5ELb0ELb0EEvPKvS2_PKi31ggml_cuda_mm_fusion_args_devicePfj15HIP_vector_typeIjLj3EEjjjS8_jjjS8_jjjj
    .private_segment_fixed_size: 0
    .sgpr_count:     34
    .sgpr_spill_count: 0
    .symbol:         _ZL13mul_mat_vec_qIL9ggml_type16ELi5ELb0ELb0EEvPKvS2_PKi31ggml_cuda_mm_fusion_args_devicePfj15HIP_vector_typeIjLj3EEjjjS8_jjjS8_jjjj.kd
    .uniform_work_group_size: 1
    .uses_dynamic_stack: false
    .vgpr_count:     57
    .vgpr_spill_count: 0
    .wavefront_size: 64
  - .args:
      - .address_space:  global
        .offset:         0
        .size:           8
        .value_kind:     global_buffer
      - .address_space:  global
        .offset:         8
        .size:           8
        .value_kind:     global_buffer
      - .address_space:  global
        .offset:         16
        .size:           8
        .value_kind:     global_buffer
      - .offset:         24
        .size:           32
        .value_kind:     by_value
      - .address_space:  global
        .offset:         56
        .size:           8
        .value_kind:     global_buffer
      - .offset:         64
        .size:           4
        .value_kind:     by_value
      - .offset:         68
        .size:           12
        .value_kind:     by_value
      - .offset:         80
        .size:           4
        .value_kind:     by_value
      - .offset:         84
        .size:           4
        .value_kind:     by_value
      - .offset:         88
        .size:           4
        .value_kind:     by_value
      - .offset:         92
        .size:           12
        .value_kind:     by_value
      - .offset:         104
        .size:           4
        .value_kind:     by_value
      - .offset:         108
        .size:           4
        .value_kind:     by_value
      - .offset:         112
        .size:           4
        .value_kind:     by_value
      - .offset:         116
        .size:           12
        .value_kind:     by_value
      - .offset:         128
        .size:           4
        .value_kind:     by_value
      - .offset:         132
        .size:           4
        .value_kind:     by_value
      - .offset:         136
        .size:           4
        .value_kind:     by_value
      - .offset:         140
        .size:           4
        .value_kind:     by_value
    .group_segment_fixed_size: 0
    .kernarg_segment_align: 8
    .kernarg_segment_size: 144
    .language:       OpenCL C
    .language_version:
      - 2
      - 0
    .max_flat_workgroup_size: 64
    .name:           _ZL13mul_mat_vec_qIL9ggml_type16ELi6ELb0ELb0EEvPKvS2_PKi31ggml_cuda_mm_fusion_args_devicePfj15HIP_vector_typeIjLj3EEjjjS8_jjjS8_jjjj
    .private_segment_fixed_size: 0
    .sgpr_count:     34
    .sgpr_spill_count: 0
    .symbol:         _ZL13mul_mat_vec_qIL9ggml_type16ELi6ELb0ELb0EEvPKvS2_PKi31ggml_cuda_mm_fusion_args_devicePfj15HIP_vector_typeIjLj3EEjjjS8_jjjS8_jjjj.kd
    .uniform_work_group_size: 1
    .uses_dynamic_stack: false
    .vgpr_count:     59
    .vgpr_spill_count: 0
    .wavefront_size: 64
  - .args:
      - .address_space:  global
        .offset:         0
        .size:           8
        .value_kind:     global_buffer
      - .address_space:  global
        .offset:         8
        .size:           8
        .value_kind:     global_buffer
      - .address_space:  global
        .offset:         16
        .size:           8
        .value_kind:     global_buffer
      - .offset:         24
        .size:           32
        .value_kind:     by_value
      - .address_space:  global
        .offset:         56
        .size:           8
        .value_kind:     global_buffer
      - .offset:         64
        .size:           4
        .value_kind:     by_value
      - .offset:         68
        .size:           12
        .value_kind:     by_value
      - .offset:         80
        .size:           4
        .value_kind:     by_value
      - .offset:         84
        .size:           4
        .value_kind:     by_value
      - .offset:         88
        .size:           4
        .value_kind:     by_value
      - .offset:         92
        .size:           12
        .value_kind:     by_value
      - .offset:         104
        .size:           4
        .value_kind:     by_value
      - .offset:         108
        .size:           4
        .value_kind:     by_value
      - .offset:         112
        .size:           4
        .value_kind:     by_value
      - .offset:         116
        .size:           12
        .value_kind:     by_value
      - .offset:         128
        .size:           4
        .value_kind:     by_value
      - .offset:         132
        .size:           4
        .value_kind:     by_value
      - .offset:         136
        .size:           4
        .value_kind:     by_value
      - .offset:         140
        .size:           4
        .value_kind:     by_value
    .group_segment_fixed_size: 0
    .kernarg_segment_align: 8
    .kernarg_segment_size: 144
    .language:       OpenCL C
    .language_version:
      - 2
      - 0
    .max_flat_workgroup_size: 64
    .name:           _ZL13mul_mat_vec_qIL9ggml_type16ELi7ELb0ELb0EEvPKvS2_PKi31ggml_cuda_mm_fusion_args_devicePfj15HIP_vector_typeIjLj3EEjjjS8_jjjS8_jjjj
    .private_segment_fixed_size: 0
    .sgpr_count:     36
    .sgpr_spill_count: 0
    .symbol:         _ZL13mul_mat_vec_qIL9ggml_type16ELi7ELb0ELb0EEvPKvS2_PKi31ggml_cuda_mm_fusion_args_devicePfj15HIP_vector_typeIjLj3EEjjjS8_jjjS8_jjjj.kd
    .uniform_work_group_size: 1
    .uses_dynamic_stack: false
    .vgpr_count:     61
    .vgpr_spill_count: 0
    .wavefront_size: 64
  - .args:
      - .address_space:  global
        .offset:         0
        .size:           8
        .value_kind:     global_buffer
      - .address_space:  global
        .offset:         8
        .size:           8
        .value_kind:     global_buffer
      - .address_space:  global
        .offset:         16
        .size:           8
        .value_kind:     global_buffer
      - .offset:         24
        .size:           32
        .value_kind:     by_value
      - .address_space:  global
        .offset:         56
        .size:           8
        .value_kind:     global_buffer
      - .offset:         64
        .size:           4
        .value_kind:     by_value
      - .offset:         68
        .size:           12
        .value_kind:     by_value
      - .offset:         80
        .size:           4
        .value_kind:     by_value
      - .offset:         84
        .size:           4
        .value_kind:     by_value
      - .offset:         88
        .size:           4
        .value_kind:     by_value
      - .offset:         92
        .size:           12
        .value_kind:     by_value
      - .offset:         104
        .size:           4
        .value_kind:     by_value
      - .offset:         108
        .size:           4
        .value_kind:     by_value
      - .offset:         112
        .size:           4
        .value_kind:     by_value
      - .offset:         116
        .size:           12
        .value_kind:     by_value
      - .offset:         128
        .size:           4
        .value_kind:     by_value
      - .offset:         132
        .size:           4
        .value_kind:     by_value
      - .offset:         136
        .size:           4
        .value_kind:     by_value
      - .offset:         140
        .size:           4
        .value_kind:     by_value
    .group_segment_fixed_size: 0
    .kernarg_segment_align: 8
    .kernarg_segment_size: 144
    .language:       OpenCL C
    .language_version:
      - 2
      - 0
    .max_flat_workgroup_size: 64
    .name:           _ZL13mul_mat_vec_qIL9ggml_type16ELi8ELb0ELb0EEvPKvS2_PKi31ggml_cuda_mm_fusion_args_devicePfj15HIP_vector_typeIjLj3EEjjjS8_jjjS8_jjjj
    .private_segment_fixed_size: 0
    .sgpr_count:     36
    .sgpr_spill_count: 0
    .symbol:         _ZL13mul_mat_vec_qIL9ggml_type16ELi8ELb0ELb0EEvPKvS2_PKi31ggml_cuda_mm_fusion_args_devicePfj15HIP_vector_typeIjLj3EEjjjS8_jjjS8_jjjj.kd
    .uniform_work_group_size: 1
    .uses_dynamic_stack: false
    .vgpr_count:     63
    .vgpr_spill_count: 0
    .wavefront_size: 64
  - .args:
      - .address_space:  global
        .offset:         0
        .size:           8
        .value_kind:     global_buffer
      - .address_space:  global
        .offset:         8
        .size:           8
        .value_kind:     global_buffer
      - .address_space:  global
        .offset:         16
        .size:           8
        .value_kind:     global_buffer
      - .address_space:  global
        .offset:         24
        .size:           8
        .value_kind:     global_buffer
      - .offset:         32
        .size:           4
        .value_kind:     by_value
      - .offset:         36
        .size:           12
        .value_kind:     by_value
      - .offset:         48
        .size:           4
        .value_kind:     by_value
      - .offset:         52
        .size:           4
        .value_kind:     by_value
      - .offset:         56
        .size:           4
        .value_kind:     by_value
      - .offset:         60
        .size:           4
        .value_kind:     by_value
      - .offset:         64
        .size:           4
        .value_kind:     by_value
      - .offset:         68
        .size:           4
        .value_kind:     by_value
      - .offset:         72
        .size:           4
        .value_kind:     by_value
      - .offset:         76
        .size:           4
        .value_kind:     by_value
      - .offset:         80
        .size:           4
        .value_kind:     by_value
    .group_segment_fixed_size: 0
    .kernarg_segment_align: 8
    .kernarg_segment_size: 84
    .language:       OpenCL C
    .language_version:
      - 2
      - 0
    .max_flat_workgroup_size: 256
    .name:           _ZL17mul_mat_vec_q_moeIL9ggml_type17ELi2EEvPKvS2_PKiPfj15HIP_vector_typeIjLj3EEjjjjjjjjj
    .private_segment_fixed_size: 0
    .sgpr_count:     34
    .sgpr_spill_count: 0
    .symbol:         _ZL17mul_mat_vec_q_moeIL9ggml_type17ELi2EEvPKvS2_PKiPfj15HIP_vector_typeIjLj3EEjjjjjjjjj.kd
    .uniform_work_group_size: 1
    .uses_dynamic_stack: false
    .vgpr_count:     38
    .vgpr_spill_count: 0
    .wavefront_size: 64
  - .args:
      - .address_space:  global
        .offset:         0
        .size:           8
        .value_kind:     global_buffer
      - .address_space:  global
        .offset:         8
        .size:           8
        .value_kind:     global_buffer
      - .address_space:  global
        .offset:         16
        .size:           8
        .value_kind:     global_buffer
      - .offset:         24
        .size:           32
        .value_kind:     by_value
      - .address_space:  global
        .offset:         56
        .size:           8
        .value_kind:     global_buffer
      - .offset:         64
        .size:           4
        .value_kind:     by_value
      - .offset:         68
        .size:           12
        .value_kind:     by_value
      - .offset:         80
        .size:           4
        .value_kind:     by_value
      - .offset:         84
        .size:           4
        .value_kind:     by_value
      - .offset:         88
        .size:           4
        .value_kind:     by_value
      - .offset:         92
        .size:           12
        .value_kind:     by_value
      - .offset:         104
        .size:           4
        .value_kind:     by_value
      - .offset:         108
        .size:           4
        .value_kind:     by_value
      - .offset:         112
        .size:           4
        .value_kind:     by_value
      - .offset:         116
        .size:           12
        .value_kind:     by_value
      - .offset:         128
        .size:           4
        .value_kind:     by_value
      - .offset:         132
        .size:           4
        .value_kind:     by_value
      - .offset:         136
        .size:           4
        .value_kind:     by_value
      - .offset:         140
        .size:           4
        .value_kind:     by_value
    .group_segment_fixed_size: 1024
    .kernarg_segment_align: 8
    .kernarg_segment_size: 144
    .language:       OpenCL C
    .language_version:
      - 2
      - 0
    .max_flat_workgroup_size: 128
    .name:           _ZL13mul_mat_vec_qIL9ggml_type17ELi1ELb1ELb1EEvPKvS2_PKi31ggml_cuda_mm_fusion_args_devicePfj15HIP_vector_typeIjLj3EEjjjS8_jjjS8_jjjj
    .private_segment_fixed_size: 0
    .sgpr_count:     100
    .sgpr_spill_count: 4
    .symbol:         _ZL13mul_mat_vec_qIL9ggml_type17ELi1ELb1ELb1EEvPKvS2_PKi31ggml_cuda_mm_fusion_args_devicePfj15HIP_vector_typeIjLj3EEjjjS8_jjjS8_jjjj.kd
    .uniform_work_group_size: 1
    .uses_dynamic_stack: false
    .vgpr_count:     79
    .vgpr_spill_count: 0
    .wavefront_size: 64
  - .args:
      - .address_space:  global
        .offset:         0
        .size:           8
        .value_kind:     global_buffer
      - .address_space:  global
        .offset:         8
        .size:           8
        .value_kind:     global_buffer
      - .address_space:  global
        .offset:         16
        .size:           8
        .value_kind:     global_buffer
      - .offset:         24
        .size:           32
        .value_kind:     by_value
      - .address_space:  global
        .offset:         56
        .size:           8
        .value_kind:     global_buffer
      - .offset:         64
        .size:           4
        .value_kind:     by_value
      - .offset:         68
        .size:           12
        .value_kind:     by_value
      - .offset:         80
        .size:           4
        .value_kind:     by_value
      - .offset:         84
        .size:           4
        .value_kind:     by_value
      - .offset:         88
        .size:           4
        .value_kind:     by_value
      - .offset:         92
        .size:           12
        .value_kind:     by_value
      - .offset:         104
        .size:           4
        .value_kind:     by_value
      - .offset:         108
        .size:           4
        .value_kind:     by_value
      - .offset:         112
        .size:           4
        .value_kind:     by_value
      - .offset:         116
        .size:           12
        .value_kind:     by_value
      - .offset:         128
        .size:           4
        .value_kind:     by_value
      - .offset:         132
        .size:           4
        .value_kind:     by_value
      - .offset:         136
        .size:           4
        .value_kind:     by_value
      - .offset:         140
        .size:           4
        .value_kind:     by_value
    .group_segment_fixed_size: 512
    .kernarg_segment_align: 8
    .kernarg_segment_size: 144
    .language:       OpenCL C
    .language_version:
      - 2
      - 0
    .max_flat_workgroup_size: 128
    .name:           _ZL13mul_mat_vec_qIL9ggml_type17ELi1ELb0ELb1EEvPKvS2_PKi31ggml_cuda_mm_fusion_args_devicePfj15HIP_vector_typeIjLj3EEjjjS8_jjjS8_jjjj
    .private_segment_fixed_size: 0
    .sgpr_count:     28
    .sgpr_spill_count: 0
    .symbol:         _ZL13mul_mat_vec_qIL9ggml_type17ELi1ELb0ELb1EEvPKvS2_PKi31ggml_cuda_mm_fusion_args_devicePfj15HIP_vector_typeIjLj3EEjjjS8_jjjS8_jjjj.kd
    .uniform_work_group_size: 1
    .uses_dynamic_stack: false
    .vgpr_count:     36
    .vgpr_spill_count: 0
    .wavefront_size: 64
  - .args:
      - .address_space:  global
        .offset:         0
        .size:           8
        .value_kind:     global_buffer
      - .address_space:  global
        .offset:         8
        .size:           8
        .value_kind:     global_buffer
      - .address_space:  global
        .offset:         16
        .size:           8
        .value_kind:     global_buffer
      - .offset:         24
        .size:           32
        .value_kind:     by_value
      - .address_space:  global
        .offset:         56
        .size:           8
        .value_kind:     global_buffer
      - .offset:         64
        .size:           4
        .value_kind:     by_value
      - .offset:         68
        .size:           12
        .value_kind:     by_value
      - .offset:         80
        .size:           4
        .value_kind:     by_value
      - .offset:         84
        .size:           4
        .value_kind:     by_value
      - .offset:         88
        .size:           4
        .value_kind:     by_value
      - .offset:         92
        .size:           12
        .value_kind:     by_value
      - .offset:         104
        .size:           4
        .value_kind:     by_value
      - .offset:         108
        .size:           4
        .value_kind:     by_value
      - .offset:         112
        .size:           4
        .value_kind:     by_value
      - .offset:         116
        .size:           12
        .value_kind:     by_value
      - .offset:         128
        .size:           4
        .value_kind:     by_value
      - .offset:         132
        .size:           4
        .value_kind:     by_value
      - .offset:         136
        .size:           4
        .value_kind:     by_value
      - .offset:         140
        .size:           4
        .value_kind:     by_value
    .group_segment_fixed_size: 512
    .kernarg_segment_align: 8
    .kernarg_segment_size: 144
    .language:       OpenCL C
    .language_version:
      - 2
      - 0
    .max_flat_workgroup_size: 128
    .name:           _ZL13mul_mat_vec_qIL9ggml_type17ELi1ELb1ELb0EEvPKvS2_PKi31ggml_cuda_mm_fusion_args_devicePfj15HIP_vector_typeIjLj3EEjjjS8_jjjS8_jjjj
    .private_segment_fixed_size: 0
    .sgpr_count:     46
    .sgpr_spill_count: 0
    .symbol:         _ZL13mul_mat_vec_qIL9ggml_type17ELi1ELb1ELb0EEvPKvS2_PKi31ggml_cuda_mm_fusion_args_devicePfj15HIP_vector_typeIjLj3EEjjjS8_jjjS8_jjjj.kd
    .uniform_work_group_size: 1
    .uses_dynamic_stack: false
    .vgpr_count:     52
    .vgpr_spill_count: 0
    .wavefront_size: 64
  - .args:
      - .address_space:  global
        .offset:         0
        .size:           8
        .value_kind:     global_buffer
      - .address_space:  global
        .offset:         8
        .size:           8
        .value_kind:     global_buffer
      - .address_space:  global
        .offset:         16
        .size:           8
        .value_kind:     global_buffer
      - .offset:         24
        .size:           32
        .value_kind:     by_value
      - .address_space:  global
        .offset:         56
        .size:           8
        .value_kind:     global_buffer
      - .offset:         64
        .size:           4
        .value_kind:     by_value
      - .offset:         68
        .size:           12
        .value_kind:     by_value
      - .offset:         80
        .size:           4
        .value_kind:     by_value
      - .offset:         84
        .size:           4
        .value_kind:     by_value
      - .offset:         88
        .size:           4
        .value_kind:     by_value
      - .offset:         92
        .size:           12
        .value_kind:     by_value
      - .offset:         104
        .size:           4
        .value_kind:     by_value
      - .offset:         108
        .size:           4
        .value_kind:     by_value
      - .offset:         112
        .size:           4
        .value_kind:     by_value
      - .offset:         116
        .size:           12
        .value_kind:     by_value
      - .offset:         128
        .size:           4
        .value_kind:     by_value
      - .offset:         132
        .size:           4
        .value_kind:     by_value
      - .offset:         136
        .size:           4
        .value_kind:     by_value
      - .offset:         140
        .size:           4
        .value_kind:     by_value
    .group_segment_fixed_size: 256
    .kernarg_segment_align: 8
    .kernarg_segment_size: 144
    .language:       OpenCL C
    .language_version:
      - 2
      - 0
    .max_flat_workgroup_size: 128
    .name:           _ZL13mul_mat_vec_qIL9ggml_type17ELi1ELb0ELb0EEvPKvS2_PKi31ggml_cuda_mm_fusion_args_devicePfj15HIP_vector_typeIjLj3EEjjjS8_jjjS8_jjjj
    .private_segment_fixed_size: 0
    .sgpr_count:     32
    .sgpr_spill_count: 0
    .symbol:         _ZL13mul_mat_vec_qIL9ggml_type17ELi1ELb0ELb0EEvPKvS2_PKi31ggml_cuda_mm_fusion_args_devicePfj15HIP_vector_typeIjLj3EEjjjS8_jjjS8_jjjj.kd
    .uniform_work_group_size: 1
    .uses_dynamic_stack: false
    .vgpr_count:     34
    .vgpr_spill_count: 0
    .wavefront_size: 64
  - .args:
      - .address_space:  global
        .offset:         0
        .size:           8
        .value_kind:     global_buffer
      - .address_space:  global
        .offset:         8
        .size:           8
        .value_kind:     global_buffer
      - .address_space:  global
        .offset:         16
        .size:           8
        .value_kind:     global_buffer
      - .offset:         24
        .size:           32
        .value_kind:     by_value
      - .address_space:  global
        .offset:         56
        .size:           8
        .value_kind:     global_buffer
      - .offset:         64
        .size:           4
        .value_kind:     by_value
      - .offset:         68
        .size:           12
        .value_kind:     by_value
      - .offset:         80
        .size:           4
        .value_kind:     by_value
      - .offset:         84
        .size:           4
        .value_kind:     by_value
      - .offset:         88
        .size:           4
        .value_kind:     by_value
      - .offset:         92
        .size:           12
        .value_kind:     by_value
      - .offset:         104
        .size:           4
        .value_kind:     by_value
      - .offset:         108
        .size:           4
        .value_kind:     by_value
      - .offset:         112
        .size:           4
        .value_kind:     by_value
      - .offset:         116
        .size:           12
        .value_kind:     by_value
      - .offset:         128
        .size:           4
        .value_kind:     by_value
      - .offset:         132
        .size:           4
        .value_kind:     by_value
      - .offset:         136
        .size:           4
        .value_kind:     by_value
      - .offset:         140
        .size:           4
        .value_kind:     by_value
    .group_segment_fixed_size: 1024
    .kernarg_segment_align: 8
    .kernarg_segment_size: 144
    .language:       OpenCL C
    .language_version:
      - 2
      - 0
    .max_flat_workgroup_size: 128
    .name:           _ZL13mul_mat_vec_qIL9ggml_type17ELi2ELb0ELb0EEvPKvS2_PKi31ggml_cuda_mm_fusion_args_devicePfj15HIP_vector_typeIjLj3EEjjjS8_jjjS8_jjjj
    .private_segment_fixed_size: 0
    .sgpr_count:     30
    .sgpr_spill_count: 0
    .symbol:         _ZL13mul_mat_vec_qIL9ggml_type17ELi2ELb0ELb0EEvPKvS2_PKi31ggml_cuda_mm_fusion_args_devicePfj15HIP_vector_typeIjLj3EEjjjS8_jjjS8_jjjj.kd
    .uniform_work_group_size: 1
    .uses_dynamic_stack: false
    .vgpr_count:     52
    .vgpr_spill_count: 0
    .wavefront_size: 64
  - .args:
      - .address_space:  global
        .offset:         0
        .size:           8
        .value_kind:     global_buffer
      - .address_space:  global
        .offset:         8
        .size:           8
        .value_kind:     global_buffer
      - .address_space:  global
        .offset:         16
        .size:           8
        .value_kind:     global_buffer
      - .offset:         24
        .size:           32
        .value_kind:     by_value
      - .address_space:  global
        .offset:         56
        .size:           8
        .value_kind:     global_buffer
      - .offset:         64
        .size:           4
        .value_kind:     by_value
      - .offset:         68
        .size:           12
        .value_kind:     by_value
      - .offset:         80
        .size:           4
        .value_kind:     by_value
      - .offset:         84
        .size:           4
        .value_kind:     by_value
      - .offset:         88
        .size:           4
        .value_kind:     by_value
      - .offset:         92
        .size:           12
        .value_kind:     by_value
      - .offset:         104
        .size:           4
        .value_kind:     by_value
      - .offset:         108
        .size:           4
        .value_kind:     by_value
      - .offset:         112
        .size:           4
        .value_kind:     by_value
      - .offset:         116
        .size:           12
        .value_kind:     by_value
      - .offset:         128
        .size:           4
        .value_kind:     by_value
      - .offset:         132
        .size:           4
        .value_kind:     by_value
      - .offset:         136
        .size:           4
        .value_kind:     by_value
      - .offset:         140
        .size:           4
        .value_kind:     by_value
    .group_segment_fixed_size: 1536
    .kernarg_segment_align: 8
    .kernarg_segment_size: 144
    .language:       OpenCL C
    .language_version:
      - 2
      - 0
    .max_flat_workgroup_size: 128
    .name:           _ZL13mul_mat_vec_qIL9ggml_type17ELi3ELb0ELb0EEvPKvS2_PKi31ggml_cuda_mm_fusion_args_devicePfj15HIP_vector_typeIjLj3EEjjjS8_jjjS8_jjjj
    .private_segment_fixed_size: 0
    .sgpr_count:     30
    .sgpr_spill_count: 0
    .symbol:         _ZL13mul_mat_vec_qIL9ggml_type17ELi3ELb0ELb0EEvPKvS2_PKi31ggml_cuda_mm_fusion_args_devicePfj15HIP_vector_typeIjLj3EEjjjS8_jjjS8_jjjj.kd
    .uniform_work_group_size: 1
    .uses_dynamic_stack: false
    .vgpr_count:     56
    .vgpr_spill_count: 0
    .wavefront_size: 64
  - .args:
      - .address_space:  global
        .offset:         0
        .size:           8
        .value_kind:     global_buffer
      - .address_space:  global
        .offset:         8
        .size:           8
        .value_kind:     global_buffer
      - .address_space:  global
        .offset:         16
        .size:           8
        .value_kind:     global_buffer
      - .offset:         24
        .size:           32
        .value_kind:     by_value
      - .address_space:  global
        .offset:         56
        .size:           8
        .value_kind:     global_buffer
      - .offset:         64
        .size:           4
        .value_kind:     by_value
      - .offset:         68
        .size:           12
        .value_kind:     by_value
      - .offset:         80
        .size:           4
        .value_kind:     by_value
      - .offset:         84
        .size:           4
        .value_kind:     by_value
      - .offset:         88
        .size:           4
        .value_kind:     by_value
      - .offset:         92
        .size:           12
        .value_kind:     by_value
      - .offset:         104
        .size:           4
        .value_kind:     by_value
      - .offset:         108
        .size:           4
        .value_kind:     by_value
      - .offset:         112
        .size:           4
        .value_kind:     by_value
      - .offset:         116
        .size:           12
        .value_kind:     by_value
      - .offset:         128
        .size:           4
        .value_kind:     by_value
      - .offset:         132
        .size:           4
        .value_kind:     by_value
      - .offset:         136
        .size:           4
        .value_kind:     by_value
      - .offset:         140
        .size:           4
        .value_kind:     by_value
    .group_segment_fixed_size: 2048
    .kernarg_segment_align: 8
    .kernarg_segment_size: 144
    .language:       OpenCL C
    .language_version:
      - 2
      - 0
    .max_flat_workgroup_size: 128
    .name:           _ZL13mul_mat_vec_qIL9ggml_type17ELi4ELb0ELb0EEvPKvS2_PKi31ggml_cuda_mm_fusion_args_devicePfj15HIP_vector_typeIjLj3EEjjjS8_jjjS8_jjjj
    .private_segment_fixed_size: 0
    .sgpr_count:     30
    .sgpr_spill_count: 0
    .symbol:         _ZL13mul_mat_vec_qIL9ggml_type17ELi4ELb0ELb0EEvPKvS2_PKi31ggml_cuda_mm_fusion_args_devicePfj15HIP_vector_typeIjLj3EEjjjS8_jjjS8_jjjj.kd
    .uniform_work_group_size: 1
    .uses_dynamic_stack: false
    .vgpr_count:     59
    .vgpr_spill_count: 0
    .wavefront_size: 64
  - .args:
      - .address_space:  global
        .offset:         0
        .size:           8
        .value_kind:     global_buffer
      - .address_space:  global
        .offset:         8
        .size:           8
        .value_kind:     global_buffer
      - .address_space:  global
        .offset:         16
        .size:           8
        .value_kind:     global_buffer
      - .offset:         24
        .size:           32
        .value_kind:     by_value
      - .address_space:  global
        .offset:         56
        .size:           8
        .value_kind:     global_buffer
      - .offset:         64
        .size:           4
        .value_kind:     by_value
      - .offset:         68
        .size:           12
        .value_kind:     by_value
      - .offset:         80
        .size:           4
        .value_kind:     by_value
      - .offset:         84
        .size:           4
        .value_kind:     by_value
      - .offset:         88
        .size:           4
        .value_kind:     by_value
      - .offset:         92
        .size:           12
        .value_kind:     by_value
      - .offset:         104
        .size:           4
        .value_kind:     by_value
      - .offset:         108
        .size:           4
        .value_kind:     by_value
      - .offset:         112
        .size:           4
        .value_kind:     by_value
      - .offset:         116
        .size:           12
        .value_kind:     by_value
      - .offset:         128
        .size:           4
        .value_kind:     by_value
      - .offset:         132
        .size:           4
        .value_kind:     by_value
      - .offset:         136
        .size:           4
        .value_kind:     by_value
      - .offset:         140
        .size:           4
        .value_kind:     by_value
    .group_segment_fixed_size: 0
    .kernarg_segment_align: 8
    .kernarg_segment_size: 144
    .language:       OpenCL C
    .language_version:
      - 2
      - 0
    .max_flat_workgroup_size: 64
    .name:           _ZL13mul_mat_vec_qIL9ggml_type17ELi5ELb0ELb0EEvPKvS2_PKi31ggml_cuda_mm_fusion_args_devicePfj15HIP_vector_typeIjLj3EEjjjS8_jjjS8_jjjj
    .private_segment_fixed_size: 0
    .sgpr_count:     34
    .sgpr_spill_count: 0
    .symbol:         _ZL13mul_mat_vec_qIL9ggml_type17ELi5ELb0ELb0EEvPKvS2_PKi31ggml_cuda_mm_fusion_args_devicePfj15HIP_vector_typeIjLj3EEjjjS8_jjjS8_jjjj.kd
    .uniform_work_group_size: 1
    .uses_dynamic_stack: false
    .vgpr_count:     59
    .vgpr_spill_count: 0
    .wavefront_size: 64
  - .args:
      - .address_space:  global
        .offset:         0
        .size:           8
        .value_kind:     global_buffer
      - .address_space:  global
        .offset:         8
        .size:           8
        .value_kind:     global_buffer
      - .address_space:  global
        .offset:         16
        .size:           8
        .value_kind:     global_buffer
      - .offset:         24
        .size:           32
        .value_kind:     by_value
      - .address_space:  global
        .offset:         56
        .size:           8
        .value_kind:     global_buffer
      - .offset:         64
        .size:           4
        .value_kind:     by_value
      - .offset:         68
        .size:           12
        .value_kind:     by_value
      - .offset:         80
        .size:           4
        .value_kind:     by_value
      - .offset:         84
        .size:           4
        .value_kind:     by_value
      - .offset:         88
        .size:           4
        .value_kind:     by_value
      - .offset:         92
        .size:           12
        .value_kind:     by_value
      - .offset:         104
        .size:           4
        .value_kind:     by_value
      - .offset:         108
        .size:           4
        .value_kind:     by_value
      - .offset:         112
        .size:           4
        .value_kind:     by_value
      - .offset:         116
        .size:           12
        .value_kind:     by_value
      - .offset:         128
        .size:           4
        .value_kind:     by_value
      - .offset:         132
        .size:           4
        .value_kind:     by_value
      - .offset:         136
        .size:           4
        .value_kind:     by_value
      - .offset:         140
        .size:           4
        .value_kind:     by_value
    .group_segment_fixed_size: 0
    .kernarg_segment_align: 8
    .kernarg_segment_size: 144
    .language:       OpenCL C
    .language_version:
      - 2
      - 0
    .max_flat_workgroup_size: 64
    .name:           _ZL13mul_mat_vec_qIL9ggml_type17ELi6ELb0ELb0EEvPKvS2_PKi31ggml_cuda_mm_fusion_args_devicePfj15HIP_vector_typeIjLj3EEjjjS8_jjjS8_jjjj
    .private_segment_fixed_size: 0
    .sgpr_count:     34
    .sgpr_spill_count: 0
    .symbol:         _ZL13mul_mat_vec_qIL9ggml_type17ELi6ELb0ELb0EEvPKvS2_PKi31ggml_cuda_mm_fusion_args_devicePfj15HIP_vector_typeIjLj3EEjjjS8_jjjS8_jjjj.kd
    .uniform_work_group_size: 1
    .uses_dynamic_stack: false
    .vgpr_count:     61
    .vgpr_spill_count: 0
    .wavefront_size: 64
  - .args:
      - .address_space:  global
        .offset:         0
        .size:           8
        .value_kind:     global_buffer
      - .address_space:  global
        .offset:         8
        .size:           8
        .value_kind:     global_buffer
      - .address_space:  global
        .offset:         16
        .size:           8
        .value_kind:     global_buffer
      - .offset:         24
        .size:           32
        .value_kind:     by_value
      - .address_space:  global
        .offset:         56
        .size:           8
        .value_kind:     global_buffer
      - .offset:         64
        .size:           4
        .value_kind:     by_value
      - .offset:         68
        .size:           12
        .value_kind:     by_value
      - .offset:         80
        .size:           4
        .value_kind:     by_value
      - .offset:         84
        .size:           4
        .value_kind:     by_value
      - .offset:         88
        .size:           4
        .value_kind:     by_value
      - .offset:         92
        .size:           12
        .value_kind:     by_value
      - .offset:         104
        .size:           4
        .value_kind:     by_value
      - .offset:         108
        .size:           4
        .value_kind:     by_value
      - .offset:         112
        .size:           4
        .value_kind:     by_value
      - .offset:         116
        .size:           12
        .value_kind:     by_value
      - .offset:         128
        .size:           4
        .value_kind:     by_value
      - .offset:         132
        .size:           4
        .value_kind:     by_value
      - .offset:         136
        .size:           4
        .value_kind:     by_value
      - .offset:         140
        .size:           4
        .value_kind:     by_value
    .group_segment_fixed_size: 0
    .kernarg_segment_align: 8
    .kernarg_segment_size: 144
    .language:       OpenCL C
    .language_version:
      - 2
      - 0
    .max_flat_workgroup_size: 64
    .name:           _ZL13mul_mat_vec_qIL9ggml_type17ELi7ELb0ELb0EEvPKvS2_PKi31ggml_cuda_mm_fusion_args_devicePfj15HIP_vector_typeIjLj3EEjjjS8_jjjS8_jjjj
    .private_segment_fixed_size: 0
    .sgpr_count:     36
    .sgpr_spill_count: 0
    .symbol:         _ZL13mul_mat_vec_qIL9ggml_type17ELi7ELb0ELb0EEvPKvS2_PKi31ggml_cuda_mm_fusion_args_devicePfj15HIP_vector_typeIjLj3EEjjjS8_jjjS8_jjjj.kd
    .uniform_work_group_size: 1
    .uses_dynamic_stack: false
    .vgpr_count:     63
    .vgpr_spill_count: 0
    .wavefront_size: 64
  - .args:
      - .address_space:  global
        .offset:         0
        .size:           8
        .value_kind:     global_buffer
      - .address_space:  global
        .offset:         8
        .size:           8
        .value_kind:     global_buffer
      - .address_space:  global
        .offset:         16
        .size:           8
        .value_kind:     global_buffer
      - .offset:         24
        .size:           32
        .value_kind:     by_value
      - .address_space:  global
        .offset:         56
        .size:           8
        .value_kind:     global_buffer
      - .offset:         64
        .size:           4
        .value_kind:     by_value
      - .offset:         68
        .size:           12
        .value_kind:     by_value
      - .offset:         80
        .size:           4
        .value_kind:     by_value
      - .offset:         84
        .size:           4
        .value_kind:     by_value
      - .offset:         88
        .size:           4
        .value_kind:     by_value
      - .offset:         92
        .size:           12
        .value_kind:     by_value
      - .offset:         104
        .size:           4
        .value_kind:     by_value
      - .offset:         108
        .size:           4
        .value_kind:     by_value
      - .offset:         112
        .size:           4
        .value_kind:     by_value
      - .offset:         116
        .size:           12
        .value_kind:     by_value
      - .offset:         128
        .size:           4
        .value_kind:     by_value
      - .offset:         132
        .size:           4
        .value_kind:     by_value
      - .offset:         136
        .size:           4
        .value_kind:     by_value
      - .offset:         140
        .size:           4
        .value_kind:     by_value
    .group_segment_fixed_size: 0
    .kernarg_segment_align: 8
    .kernarg_segment_size: 144
    .language:       OpenCL C
    .language_version:
      - 2
      - 0
    .max_flat_workgroup_size: 64
    .name:           _ZL13mul_mat_vec_qIL9ggml_type17ELi8ELb0ELb0EEvPKvS2_PKi31ggml_cuda_mm_fusion_args_devicePfj15HIP_vector_typeIjLj3EEjjjS8_jjjS8_jjjj
    .private_segment_fixed_size: 0
    .sgpr_count:     36
    .sgpr_spill_count: 0
    .symbol:         _ZL13mul_mat_vec_qIL9ggml_type17ELi8ELb0ELb0EEvPKvS2_PKi31ggml_cuda_mm_fusion_args_devicePfj15HIP_vector_typeIjLj3EEjjjS8_jjjS8_jjjj.kd
    .uniform_work_group_size: 1
    .uses_dynamic_stack: false
    .vgpr_count:     65
    .vgpr_spill_count: 0
    .wavefront_size: 64
  - .args:
      - .address_space:  global
        .offset:         0
        .size:           8
        .value_kind:     global_buffer
      - .address_space:  global
        .offset:         8
        .size:           8
        .value_kind:     global_buffer
      - .address_space:  global
        .offset:         16
        .size:           8
        .value_kind:     global_buffer
      - .address_space:  global
        .offset:         24
        .size:           8
        .value_kind:     global_buffer
      - .offset:         32
        .size:           4
        .value_kind:     by_value
      - .offset:         36
        .size:           12
        .value_kind:     by_value
      - .offset:         48
        .size:           4
        .value_kind:     by_value
      - .offset:         52
        .size:           4
        .value_kind:     by_value
      - .offset:         56
        .size:           4
        .value_kind:     by_value
      - .offset:         60
        .size:           4
        .value_kind:     by_value
      - .offset:         64
        .size:           4
        .value_kind:     by_value
      - .offset:         68
        .size:           4
        .value_kind:     by_value
      - .offset:         72
        .size:           4
        .value_kind:     by_value
      - .offset:         76
        .size:           4
        .value_kind:     by_value
      - .offset:         80
        .size:           4
        .value_kind:     by_value
    .group_segment_fixed_size: 0
    .kernarg_segment_align: 8
    .kernarg_segment_size: 84
    .language:       OpenCL C
    .language_version:
      - 2
      - 0
    .max_flat_workgroup_size: 256
    .name:           _ZL17mul_mat_vec_q_moeIL9ggml_type22ELi2EEvPKvS2_PKiPfj15HIP_vector_typeIjLj3EEjjjjjjjjj
    .private_segment_fixed_size: 0
    .sgpr_count:     34
    .sgpr_spill_count: 0
    .symbol:         _ZL17mul_mat_vec_q_moeIL9ggml_type22ELi2EEvPKvS2_PKiPfj15HIP_vector_typeIjLj3EEjjjjjjjjj.kd
    .uniform_work_group_size: 1
    .uses_dynamic_stack: false
    .vgpr_count:     45
    .vgpr_spill_count: 0
    .wavefront_size: 64
  - .args:
      - .address_space:  global
        .offset:         0
        .size:           8
        .value_kind:     global_buffer
      - .address_space:  global
        .offset:         8
        .size:           8
        .value_kind:     global_buffer
      - .address_space:  global
        .offset:         16
        .size:           8
        .value_kind:     global_buffer
      - .offset:         24
        .size:           32
        .value_kind:     by_value
      - .address_space:  global
        .offset:         56
        .size:           8
        .value_kind:     global_buffer
      - .offset:         64
        .size:           4
        .value_kind:     by_value
      - .offset:         68
        .size:           12
        .value_kind:     by_value
      - .offset:         80
        .size:           4
        .value_kind:     by_value
      - .offset:         84
        .size:           4
        .value_kind:     by_value
      - .offset:         88
        .size:           4
        .value_kind:     by_value
      - .offset:         92
        .size:           12
        .value_kind:     by_value
      - .offset:         104
        .size:           4
        .value_kind:     by_value
      - .offset:         108
        .size:           4
        .value_kind:     by_value
      - .offset:         112
        .size:           4
        .value_kind:     by_value
      - .offset:         116
        .size:           12
        .value_kind:     by_value
      - .offset:         128
        .size:           4
        .value_kind:     by_value
      - .offset:         132
        .size:           4
        .value_kind:     by_value
      - .offset:         136
        .size:           4
        .value_kind:     by_value
      - .offset:         140
        .size:           4
        .value_kind:     by_value
    .group_segment_fixed_size: 1024
    .kernarg_segment_align: 8
    .kernarg_segment_size: 144
    .language:       OpenCL C
    .language_version:
      - 2
      - 0
    .max_flat_workgroup_size: 128
    .name:           _ZL13mul_mat_vec_qIL9ggml_type22ELi1ELb1ELb1EEvPKvS2_PKi31ggml_cuda_mm_fusion_args_devicePfj15HIP_vector_typeIjLj3EEjjjS8_jjjS8_jjjj
    .private_segment_fixed_size: 0
    .sgpr_count:     100
    .sgpr_spill_count: 2
    .symbol:         _ZL13mul_mat_vec_qIL9ggml_type22ELi1ELb1ELb1EEvPKvS2_PKi31ggml_cuda_mm_fusion_args_devicePfj15HIP_vector_typeIjLj3EEjjjS8_jjjS8_jjjj.kd
    .uniform_work_group_size: 1
    .uses_dynamic_stack: false
    .vgpr_count:     111
    .vgpr_spill_count: 0
    .wavefront_size: 64
  - .args:
      - .address_space:  global
        .offset:         0
        .size:           8
        .value_kind:     global_buffer
      - .address_space:  global
        .offset:         8
        .size:           8
        .value_kind:     global_buffer
      - .address_space:  global
        .offset:         16
        .size:           8
        .value_kind:     global_buffer
      - .offset:         24
        .size:           32
        .value_kind:     by_value
      - .address_space:  global
        .offset:         56
        .size:           8
        .value_kind:     global_buffer
      - .offset:         64
        .size:           4
        .value_kind:     by_value
      - .offset:         68
        .size:           12
        .value_kind:     by_value
      - .offset:         80
        .size:           4
        .value_kind:     by_value
      - .offset:         84
        .size:           4
        .value_kind:     by_value
      - .offset:         88
        .size:           4
        .value_kind:     by_value
      - .offset:         92
        .size:           12
        .value_kind:     by_value
      - .offset:         104
        .size:           4
        .value_kind:     by_value
      - .offset:         108
        .size:           4
        .value_kind:     by_value
      - .offset:         112
        .size:           4
        .value_kind:     by_value
      - .offset:         116
        .size:           12
        .value_kind:     by_value
      - .offset:         128
        .size:           4
        .value_kind:     by_value
      - .offset:         132
        .size:           4
        .value_kind:     by_value
      - .offset:         136
        .size:           4
        .value_kind:     by_value
      - .offset:         140
        .size:           4
        .value_kind:     by_value
    .group_segment_fixed_size: 512
    .kernarg_segment_align: 8
    .kernarg_segment_size: 144
    .language:       OpenCL C
    .language_version:
      - 2
      - 0
    .max_flat_workgroup_size: 128
    .name:           _ZL13mul_mat_vec_qIL9ggml_type22ELi1ELb0ELb1EEvPKvS2_PKi31ggml_cuda_mm_fusion_args_devicePfj15HIP_vector_typeIjLj3EEjjjS8_jjjS8_jjjj
    .private_segment_fixed_size: 0
    .sgpr_count:     28
    .sgpr_spill_count: 0
    .symbol:         _ZL13mul_mat_vec_qIL9ggml_type22ELi1ELb0ELb1EEvPKvS2_PKi31ggml_cuda_mm_fusion_args_devicePfj15HIP_vector_typeIjLj3EEjjjS8_jjjS8_jjjj.kd
    .uniform_work_group_size: 1
    .uses_dynamic_stack: false
    .vgpr_count:     43
    .vgpr_spill_count: 0
    .wavefront_size: 64
  - .args:
      - .address_space:  global
        .offset:         0
        .size:           8
        .value_kind:     global_buffer
      - .address_space:  global
        .offset:         8
        .size:           8
        .value_kind:     global_buffer
      - .address_space:  global
        .offset:         16
        .size:           8
        .value_kind:     global_buffer
      - .offset:         24
        .size:           32
        .value_kind:     by_value
      - .address_space:  global
        .offset:         56
        .size:           8
        .value_kind:     global_buffer
      - .offset:         64
        .size:           4
        .value_kind:     by_value
      - .offset:         68
        .size:           12
        .value_kind:     by_value
      - .offset:         80
        .size:           4
        .value_kind:     by_value
      - .offset:         84
        .size:           4
        .value_kind:     by_value
      - .offset:         88
        .size:           4
        .value_kind:     by_value
      - .offset:         92
        .size:           12
        .value_kind:     by_value
      - .offset:         104
        .size:           4
        .value_kind:     by_value
      - .offset:         108
        .size:           4
        .value_kind:     by_value
      - .offset:         112
        .size:           4
        .value_kind:     by_value
      - .offset:         116
        .size:           12
        .value_kind:     by_value
      - .offset:         128
        .size:           4
        .value_kind:     by_value
      - .offset:         132
        .size:           4
        .value_kind:     by_value
      - .offset:         136
        .size:           4
        .value_kind:     by_value
      - .offset:         140
        .size:           4
        .value_kind:     by_value
    .group_segment_fixed_size: 512
    .kernarg_segment_align: 8
    .kernarg_segment_size: 144
    .language:       OpenCL C
    .language_version:
      - 2
      - 0
    .max_flat_workgroup_size: 128
    .name:           _ZL13mul_mat_vec_qIL9ggml_type22ELi1ELb1ELb0EEvPKvS2_PKi31ggml_cuda_mm_fusion_args_devicePfj15HIP_vector_typeIjLj3EEjjjS8_jjjS8_jjjj
    .private_segment_fixed_size: 0
    .sgpr_count:     46
    .sgpr_spill_count: 0
    .symbol:         _ZL13mul_mat_vec_qIL9ggml_type22ELi1ELb1ELb0EEvPKvS2_PKi31ggml_cuda_mm_fusion_args_devicePfj15HIP_vector_typeIjLj3EEjjjS8_jjjS8_jjjj.kd
    .uniform_work_group_size: 1
    .uses_dynamic_stack: false
    .vgpr_count:     58
    .vgpr_spill_count: 0
    .wavefront_size: 64
  - .args:
      - .address_space:  global
        .offset:         0
        .size:           8
        .value_kind:     global_buffer
      - .address_space:  global
        .offset:         8
        .size:           8
        .value_kind:     global_buffer
      - .address_space:  global
        .offset:         16
        .size:           8
        .value_kind:     global_buffer
      - .offset:         24
        .size:           32
        .value_kind:     by_value
      - .address_space:  global
        .offset:         56
        .size:           8
        .value_kind:     global_buffer
      - .offset:         64
        .size:           4
        .value_kind:     by_value
      - .offset:         68
        .size:           12
        .value_kind:     by_value
      - .offset:         80
        .size:           4
        .value_kind:     by_value
      - .offset:         84
        .size:           4
        .value_kind:     by_value
      - .offset:         88
        .size:           4
        .value_kind:     by_value
      - .offset:         92
        .size:           12
        .value_kind:     by_value
      - .offset:         104
        .size:           4
        .value_kind:     by_value
      - .offset:         108
        .size:           4
        .value_kind:     by_value
      - .offset:         112
        .size:           4
        .value_kind:     by_value
      - .offset:         116
        .size:           12
        .value_kind:     by_value
      - .offset:         128
        .size:           4
        .value_kind:     by_value
      - .offset:         132
        .size:           4
        .value_kind:     by_value
      - .offset:         136
        .size:           4
        .value_kind:     by_value
      - .offset:         140
        .size:           4
        .value_kind:     by_value
    .group_segment_fixed_size: 256
    .kernarg_segment_align: 8
    .kernarg_segment_size: 144
    .language:       OpenCL C
    .language_version:
      - 2
      - 0
    .max_flat_workgroup_size: 128
    .name:           _ZL13mul_mat_vec_qIL9ggml_type22ELi1ELb0ELb0EEvPKvS2_PKi31ggml_cuda_mm_fusion_args_devicePfj15HIP_vector_typeIjLj3EEjjjS8_jjjS8_jjjj
    .private_segment_fixed_size: 0
    .sgpr_count:     32
    .sgpr_spill_count: 0
    .symbol:         _ZL13mul_mat_vec_qIL9ggml_type22ELi1ELb0ELb0EEvPKvS2_PKi31ggml_cuda_mm_fusion_args_devicePfj15HIP_vector_typeIjLj3EEjjjS8_jjjS8_jjjj.kd
    .uniform_work_group_size: 1
    .uses_dynamic_stack: false
    .vgpr_count:     40
    .vgpr_spill_count: 0
    .wavefront_size: 64
  - .args:
      - .address_space:  global
        .offset:         0
        .size:           8
        .value_kind:     global_buffer
      - .address_space:  global
        .offset:         8
        .size:           8
        .value_kind:     global_buffer
      - .address_space:  global
        .offset:         16
        .size:           8
        .value_kind:     global_buffer
      - .offset:         24
        .size:           32
        .value_kind:     by_value
      - .address_space:  global
        .offset:         56
        .size:           8
        .value_kind:     global_buffer
      - .offset:         64
        .size:           4
        .value_kind:     by_value
      - .offset:         68
        .size:           12
        .value_kind:     by_value
      - .offset:         80
        .size:           4
        .value_kind:     by_value
      - .offset:         84
        .size:           4
        .value_kind:     by_value
      - .offset:         88
        .size:           4
        .value_kind:     by_value
      - .offset:         92
        .size:           12
        .value_kind:     by_value
      - .offset:         104
        .size:           4
        .value_kind:     by_value
      - .offset:         108
        .size:           4
        .value_kind:     by_value
      - .offset:         112
        .size:           4
        .value_kind:     by_value
      - .offset:         116
        .size:           12
        .value_kind:     by_value
      - .offset:         128
        .size:           4
        .value_kind:     by_value
      - .offset:         132
        .size:           4
        .value_kind:     by_value
      - .offset:         136
        .size:           4
        .value_kind:     by_value
      - .offset:         140
        .size:           4
        .value_kind:     by_value
    .group_segment_fixed_size: 1024
    .kernarg_segment_align: 8
    .kernarg_segment_size: 144
    .language:       OpenCL C
    .language_version:
      - 2
      - 0
    .max_flat_workgroup_size: 128
    .name:           _ZL13mul_mat_vec_qIL9ggml_type22ELi2ELb0ELb0EEvPKvS2_PKi31ggml_cuda_mm_fusion_args_devicePfj15HIP_vector_typeIjLj3EEjjjS8_jjjS8_jjjj
    .private_segment_fixed_size: 0
    .sgpr_count:     30
    .sgpr_spill_count: 0
    .symbol:         _ZL13mul_mat_vec_qIL9ggml_type22ELi2ELb0ELb0EEvPKvS2_PKi31ggml_cuda_mm_fusion_args_devicePfj15HIP_vector_typeIjLj3EEjjjS8_jjjS8_jjjj.kd
    .uniform_work_group_size: 1
    .uses_dynamic_stack: false
    .vgpr_count:     59
    .vgpr_spill_count: 0
    .wavefront_size: 64
  - .args:
      - .address_space:  global
        .offset:         0
        .size:           8
        .value_kind:     global_buffer
      - .address_space:  global
        .offset:         8
        .size:           8
        .value_kind:     global_buffer
      - .address_space:  global
        .offset:         16
        .size:           8
        .value_kind:     global_buffer
      - .offset:         24
        .size:           32
        .value_kind:     by_value
      - .address_space:  global
        .offset:         56
        .size:           8
        .value_kind:     global_buffer
      - .offset:         64
        .size:           4
        .value_kind:     by_value
      - .offset:         68
        .size:           12
        .value_kind:     by_value
      - .offset:         80
        .size:           4
        .value_kind:     by_value
      - .offset:         84
        .size:           4
        .value_kind:     by_value
      - .offset:         88
        .size:           4
        .value_kind:     by_value
      - .offset:         92
        .size:           12
        .value_kind:     by_value
      - .offset:         104
        .size:           4
        .value_kind:     by_value
      - .offset:         108
        .size:           4
        .value_kind:     by_value
      - .offset:         112
        .size:           4
        .value_kind:     by_value
      - .offset:         116
        .size:           12
        .value_kind:     by_value
      - .offset:         128
        .size:           4
        .value_kind:     by_value
      - .offset:         132
        .size:           4
        .value_kind:     by_value
      - .offset:         136
        .size:           4
        .value_kind:     by_value
      - .offset:         140
        .size:           4
        .value_kind:     by_value
    .group_segment_fixed_size: 1536
    .kernarg_segment_align: 8
    .kernarg_segment_size: 144
    .language:       OpenCL C
    .language_version:
      - 2
      - 0
    .max_flat_workgroup_size: 128
    .name:           _ZL13mul_mat_vec_qIL9ggml_type22ELi3ELb0ELb0EEvPKvS2_PKi31ggml_cuda_mm_fusion_args_devicePfj15HIP_vector_typeIjLj3EEjjjS8_jjjS8_jjjj
    .private_segment_fixed_size: 0
    .sgpr_count:     30
    .sgpr_spill_count: 0
    .symbol:         _ZL13mul_mat_vec_qIL9ggml_type22ELi3ELb0ELb0EEvPKvS2_PKi31ggml_cuda_mm_fusion_args_devicePfj15HIP_vector_typeIjLj3EEjjjS8_jjjS8_jjjj.kd
    .uniform_work_group_size: 1
    .uses_dynamic_stack: false
    .vgpr_count:     62
    .vgpr_spill_count: 0
    .wavefront_size: 64
  - .args:
      - .address_space:  global
        .offset:         0
        .size:           8
        .value_kind:     global_buffer
      - .address_space:  global
        .offset:         8
        .size:           8
        .value_kind:     global_buffer
      - .address_space:  global
        .offset:         16
        .size:           8
        .value_kind:     global_buffer
      - .offset:         24
        .size:           32
        .value_kind:     by_value
      - .address_space:  global
        .offset:         56
        .size:           8
        .value_kind:     global_buffer
      - .offset:         64
        .size:           4
        .value_kind:     by_value
      - .offset:         68
        .size:           12
        .value_kind:     by_value
      - .offset:         80
        .size:           4
        .value_kind:     by_value
      - .offset:         84
        .size:           4
        .value_kind:     by_value
      - .offset:         88
        .size:           4
        .value_kind:     by_value
      - .offset:         92
        .size:           12
        .value_kind:     by_value
      - .offset:         104
        .size:           4
        .value_kind:     by_value
      - .offset:         108
        .size:           4
        .value_kind:     by_value
      - .offset:         112
        .size:           4
        .value_kind:     by_value
      - .offset:         116
        .size:           12
        .value_kind:     by_value
      - .offset:         128
        .size:           4
        .value_kind:     by_value
      - .offset:         132
        .size:           4
        .value_kind:     by_value
      - .offset:         136
        .size:           4
        .value_kind:     by_value
      - .offset:         140
        .size:           4
        .value_kind:     by_value
    .group_segment_fixed_size: 2048
    .kernarg_segment_align: 8
    .kernarg_segment_size: 144
    .language:       OpenCL C
    .language_version:
      - 2
      - 0
    .max_flat_workgroup_size: 128
    .name:           _ZL13mul_mat_vec_qIL9ggml_type22ELi4ELb0ELb0EEvPKvS2_PKi31ggml_cuda_mm_fusion_args_devicePfj15HIP_vector_typeIjLj3EEjjjS8_jjjS8_jjjj
    .private_segment_fixed_size: 0
    .sgpr_count:     30
    .sgpr_spill_count: 0
    .symbol:         _ZL13mul_mat_vec_qIL9ggml_type22ELi4ELb0ELb0EEvPKvS2_PKi31ggml_cuda_mm_fusion_args_devicePfj15HIP_vector_typeIjLj3EEjjjS8_jjjS8_jjjj.kd
    .uniform_work_group_size: 1
    .uses_dynamic_stack: false
    .vgpr_count:     65
    .vgpr_spill_count: 0
    .wavefront_size: 64
  - .args:
      - .address_space:  global
        .offset:         0
        .size:           8
        .value_kind:     global_buffer
      - .address_space:  global
        .offset:         8
        .size:           8
        .value_kind:     global_buffer
      - .address_space:  global
        .offset:         16
        .size:           8
        .value_kind:     global_buffer
      - .offset:         24
        .size:           32
        .value_kind:     by_value
      - .address_space:  global
        .offset:         56
        .size:           8
        .value_kind:     global_buffer
      - .offset:         64
        .size:           4
        .value_kind:     by_value
      - .offset:         68
        .size:           12
        .value_kind:     by_value
      - .offset:         80
        .size:           4
        .value_kind:     by_value
      - .offset:         84
        .size:           4
        .value_kind:     by_value
      - .offset:         88
        .size:           4
        .value_kind:     by_value
      - .offset:         92
        .size:           12
        .value_kind:     by_value
      - .offset:         104
        .size:           4
        .value_kind:     by_value
      - .offset:         108
        .size:           4
        .value_kind:     by_value
      - .offset:         112
        .size:           4
        .value_kind:     by_value
      - .offset:         116
        .size:           12
        .value_kind:     by_value
      - .offset:         128
        .size:           4
        .value_kind:     by_value
      - .offset:         132
        .size:           4
        .value_kind:     by_value
      - .offset:         136
        .size:           4
        .value_kind:     by_value
      - .offset:         140
        .size:           4
        .value_kind:     by_value
    .group_segment_fixed_size: 0
    .kernarg_segment_align: 8
    .kernarg_segment_size: 144
    .language:       OpenCL C
    .language_version:
      - 2
      - 0
    .max_flat_workgroup_size: 64
    .name:           _ZL13mul_mat_vec_qIL9ggml_type22ELi5ELb0ELb0EEvPKvS2_PKi31ggml_cuda_mm_fusion_args_devicePfj15HIP_vector_typeIjLj3EEjjjS8_jjjS8_jjjj
    .private_segment_fixed_size: 0
    .sgpr_count:     31
    .sgpr_spill_count: 0
    .symbol:         _ZL13mul_mat_vec_qIL9ggml_type22ELi5ELb0ELb0EEvPKvS2_PKi31ggml_cuda_mm_fusion_args_devicePfj15HIP_vector_typeIjLj3EEjjjS8_jjjS8_jjjj.kd
    .uniform_work_group_size: 1
    .uses_dynamic_stack: false
    .vgpr_count:     65
    .vgpr_spill_count: 0
    .wavefront_size: 64
  - .args:
      - .address_space:  global
        .offset:         0
        .size:           8
        .value_kind:     global_buffer
      - .address_space:  global
        .offset:         8
        .size:           8
        .value_kind:     global_buffer
      - .address_space:  global
        .offset:         16
        .size:           8
        .value_kind:     global_buffer
      - .offset:         24
        .size:           32
        .value_kind:     by_value
      - .address_space:  global
        .offset:         56
        .size:           8
        .value_kind:     global_buffer
      - .offset:         64
        .size:           4
        .value_kind:     by_value
      - .offset:         68
        .size:           12
        .value_kind:     by_value
      - .offset:         80
        .size:           4
        .value_kind:     by_value
      - .offset:         84
        .size:           4
        .value_kind:     by_value
      - .offset:         88
        .size:           4
        .value_kind:     by_value
      - .offset:         92
        .size:           12
        .value_kind:     by_value
      - .offset:         104
        .size:           4
        .value_kind:     by_value
      - .offset:         108
        .size:           4
        .value_kind:     by_value
      - .offset:         112
        .size:           4
        .value_kind:     by_value
      - .offset:         116
        .size:           12
        .value_kind:     by_value
      - .offset:         128
        .size:           4
        .value_kind:     by_value
      - .offset:         132
        .size:           4
        .value_kind:     by_value
      - .offset:         136
        .size:           4
        .value_kind:     by_value
      - .offset:         140
        .size:           4
        .value_kind:     by_value
    .group_segment_fixed_size: 0
    .kernarg_segment_align: 8
    .kernarg_segment_size: 144
    .language:       OpenCL C
    .language_version:
      - 2
      - 0
    .max_flat_workgroup_size: 64
    .name:           _ZL13mul_mat_vec_qIL9ggml_type22ELi6ELb0ELb0EEvPKvS2_PKi31ggml_cuda_mm_fusion_args_devicePfj15HIP_vector_typeIjLj3EEjjjS8_jjjS8_jjjj
    .private_segment_fixed_size: 0
    .sgpr_count:     32
    .sgpr_spill_count: 0
    .symbol:         _ZL13mul_mat_vec_qIL9ggml_type22ELi6ELb0ELb0EEvPKvS2_PKi31ggml_cuda_mm_fusion_args_devicePfj15HIP_vector_typeIjLj3EEjjjS8_jjjS8_jjjj.kd
    .uniform_work_group_size: 1
    .uses_dynamic_stack: false
    .vgpr_count:     67
    .vgpr_spill_count: 0
    .wavefront_size: 64
  - .args:
      - .address_space:  global
        .offset:         0
        .size:           8
        .value_kind:     global_buffer
      - .address_space:  global
        .offset:         8
        .size:           8
        .value_kind:     global_buffer
      - .address_space:  global
        .offset:         16
        .size:           8
        .value_kind:     global_buffer
      - .offset:         24
        .size:           32
        .value_kind:     by_value
      - .address_space:  global
        .offset:         56
        .size:           8
        .value_kind:     global_buffer
      - .offset:         64
        .size:           4
        .value_kind:     by_value
      - .offset:         68
        .size:           12
        .value_kind:     by_value
      - .offset:         80
        .size:           4
        .value_kind:     by_value
      - .offset:         84
        .size:           4
        .value_kind:     by_value
      - .offset:         88
        .size:           4
        .value_kind:     by_value
      - .offset:         92
        .size:           12
        .value_kind:     by_value
      - .offset:         104
        .size:           4
        .value_kind:     by_value
      - .offset:         108
        .size:           4
        .value_kind:     by_value
      - .offset:         112
        .size:           4
        .value_kind:     by_value
      - .offset:         116
        .size:           12
        .value_kind:     by_value
      - .offset:         128
        .size:           4
        .value_kind:     by_value
      - .offset:         132
        .size:           4
        .value_kind:     by_value
      - .offset:         136
        .size:           4
        .value_kind:     by_value
      - .offset:         140
        .size:           4
        .value_kind:     by_value
    .group_segment_fixed_size: 0
    .kernarg_segment_align: 8
    .kernarg_segment_size: 144
    .language:       OpenCL C
    .language_version:
      - 2
      - 0
    .max_flat_workgroup_size: 64
    .name:           _ZL13mul_mat_vec_qIL9ggml_type22ELi7ELb0ELb0EEvPKvS2_PKi31ggml_cuda_mm_fusion_args_devicePfj15HIP_vector_typeIjLj3EEjjjS8_jjjS8_jjjj
    .private_segment_fixed_size: 0
    .sgpr_count:     33
    .sgpr_spill_count: 0
    .symbol:         _ZL13mul_mat_vec_qIL9ggml_type22ELi7ELb0ELb0EEvPKvS2_PKi31ggml_cuda_mm_fusion_args_devicePfj15HIP_vector_typeIjLj3EEjjjS8_jjjS8_jjjj.kd
    .uniform_work_group_size: 1
    .uses_dynamic_stack: false
    .vgpr_count:     69
    .vgpr_spill_count: 0
    .wavefront_size: 64
  - .args:
      - .address_space:  global
        .offset:         0
        .size:           8
        .value_kind:     global_buffer
      - .address_space:  global
        .offset:         8
        .size:           8
        .value_kind:     global_buffer
      - .address_space:  global
        .offset:         16
        .size:           8
        .value_kind:     global_buffer
      - .offset:         24
        .size:           32
        .value_kind:     by_value
      - .address_space:  global
        .offset:         56
        .size:           8
        .value_kind:     global_buffer
      - .offset:         64
        .size:           4
        .value_kind:     by_value
      - .offset:         68
        .size:           12
        .value_kind:     by_value
      - .offset:         80
        .size:           4
        .value_kind:     by_value
      - .offset:         84
        .size:           4
        .value_kind:     by_value
      - .offset:         88
        .size:           4
        .value_kind:     by_value
      - .offset:         92
        .size:           12
        .value_kind:     by_value
      - .offset:         104
        .size:           4
        .value_kind:     by_value
      - .offset:         108
        .size:           4
        .value_kind:     by_value
      - .offset:         112
        .size:           4
        .value_kind:     by_value
      - .offset:         116
        .size:           12
        .value_kind:     by_value
      - .offset:         128
        .size:           4
        .value_kind:     by_value
      - .offset:         132
        .size:           4
        .value_kind:     by_value
      - .offset:         136
        .size:           4
        .value_kind:     by_value
      - .offset:         140
        .size:           4
        .value_kind:     by_value
    .group_segment_fixed_size: 0
    .kernarg_segment_align: 8
    .kernarg_segment_size: 144
    .language:       OpenCL C
    .language_version:
      - 2
      - 0
    .max_flat_workgroup_size: 64
    .name:           _ZL13mul_mat_vec_qIL9ggml_type22ELi8ELb0ELb0EEvPKvS2_PKi31ggml_cuda_mm_fusion_args_devicePfj15HIP_vector_typeIjLj3EEjjjS8_jjjS8_jjjj
    .private_segment_fixed_size: 0
    .sgpr_count:     34
    .sgpr_spill_count: 0
    .symbol:         _ZL13mul_mat_vec_qIL9ggml_type22ELi8ELb0ELb0EEvPKvS2_PKi31ggml_cuda_mm_fusion_args_devicePfj15HIP_vector_typeIjLj3EEjjjS8_jjjS8_jjjj.kd
    .uniform_work_group_size: 1
    .uses_dynamic_stack: false
    .vgpr_count:     71
    .vgpr_spill_count: 0
    .wavefront_size: 64
  - .args:
      - .address_space:  global
        .offset:         0
        .size:           8
        .value_kind:     global_buffer
      - .address_space:  global
        .offset:         8
        .size:           8
        .value_kind:     global_buffer
      - .address_space:  global
        .offset:         16
        .size:           8
        .value_kind:     global_buffer
      - .address_space:  global
        .offset:         24
        .size:           8
        .value_kind:     global_buffer
      - .offset:         32
        .size:           4
        .value_kind:     by_value
      - .offset:         36
        .size:           12
        .value_kind:     by_value
      - .offset:         48
        .size:           4
        .value_kind:     by_value
      - .offset:         52
        .size:           4
        .value_kind:     by_value
      - .offset:         56
        .size:           4
        .value_kind:     by_value
      - .offset:         60
        .size:           4
        .value_kind:     by_value
      - .offset:         64
        .size:           4
        .value_kind:     by_value
      - .offset:         68
        .size:           4
        .value_kind:     by_value
      - .offset:         72
        .size:           4
        .value_kind:     by_value
      - .offset:         76
        .size:           4
        .value_kind:     by_value
      - .offset:         80
        .size:           4
        .value_kind:     by_value
    .group_segment_fixed_size: 0
    .kernarg_segment_align: 8
    .kernarg_segment_size: 84
    .language:       OpenCL C
    .language_version:
      - 2
      - 0
    .max_flat_workgroup_size: 256
    .name:           _ZL17mul_mat_vec_q_moeIL9ggml_type18ELi2EEvPKvS2_PKiPfj15HIP_vector_typeIjLj3EEjjjjjjjjj
    .private_segment_fixed_size: 0
    .sgpr_count:     32
    .sgpr_spill_count: 0
    .symbol:         _ZL17mul_mat_vec_q_moeIL9ggml_type18ELi2EEvPKvS2_PKiPfj15HIP_vector_typeIjLj3EEjjjjjjjjj.kd
    .uniform_work_group_size: 1
    .uses_dynamic_stack: false
    .vgpr_count:     39
    .vgpr_spill_count: 0
    .wavefront_size: 64
  - .args:
      - .address_space:  global
        .offset:         0
        .size:           8
        .value_kind:     global_buffer
      - .address_space:  global
        .offset:         8
        .size:           8
        .value_kind:     global_buffer
      - .address_space:  global
        .offset:         16
        .size:           8
        .value_kind:     global_buffer
      - .offset:         24
        .size:           32
        .value_kind:     by_value
      - .address_space:  global
        .offset:         56
        .size:           8
        .value_kind:     global_buffer
      - .offset:         64
        .size:           4
        .value_kind:     by_value
      - .offset:         68
        .size:           12
        .value_kind:     by_value
      - .offset:         80
        .size:           4
        .value_kind:     by_value
      - .offset:         84
        .size:           4
        .value_kind:     by_value
      - .offset:         88
        .size:           4
        .value_kind:     by_value
      - .offset:         92
        .size:           12
        .value_kind:     by_value
      - .offset:         104
        .size:           4
        .value_kind:     by_value
      - .offset:         108
        .size:           4
        .value_kind:     by_value
      - .offset:         112
        .size:           4
        .value_kind:     by_value
      - .offset:         116
        .size:           12
        .value_kind:     by_value
      - .offset:         128
        .size:           4
        .value_kind:     by_value
      - .offset:         132
        .size:           4
        .value_kind:     by_value
      - .offset:         136
        .size:           4
        .value_kind:     by_value
      - .offset:         140
        .size:           4
        .value_kind:     by_value
    .group_segment_fixed_size: 1024
    .kernarg_segment_align: 8
    .kernarg_segment_size: 144
    .language:       OpenCL C
    .language_version:
      - 2
      - 0
    .max_flat_workgroup_size: 128
    .name:           _ZL13mul_mat_vec_qIL9ggml_type18ELi1ELb1ELb1EEvPKvS2_PKi31ggml_cuda_mm_fusion_args_devicePfj15HIP_vector_typeIjLj3EEjjjS8_jjjS8_jjjj
    .private_segment_fixed_size: 0
    .sgpr_count:     100
    .sgpr_spill_count: 4
    .symbol:         _ZL13mul_mat_vec_qIL9ggml_type18ELi1ELb1ELb1EEvPKvS2_PKi31ggml_cuda_mm_fusion_args_devicePfj15HIP_vector_typeIjLj3EEjjjS8_jjjS8_jjjj.kd
    .uniform_work_group_size: 1
    .uses_dynamic_stack: false
    .vgpr_count:     83
    .vgpr_spill_count: 0
    .wavefront_size: 64
  - .args:
      - .address_space:  global
        .offset:         0
        .size:           8
        .value_kind:     global_buffer
      - .address_space:  global
        .offset:         8
        .size:           8
        .value_kind:     global_buffer
      - .address_space:  global
        .offset:         16
        .size:           8
        .value_kind:     global_buffer
      - .offset:         24
        .size:           32
        .value_kind:     by_value
      - .address_space:  global
        .offset:         56
        .size:           8
        .value_kind:     global_buffer
      - .offset:         64
        .size:           4
        .value_kind:     by_value
      - .offset:         68
        .size:           12
        .value_kind:     by_value
      - .offset:         80
        .size:           4
        .value_kind:     by_value
      - .offset:         84
        .size:           4
        .value_kind:     by_value
      - .offset:         88
        .size:           4
        .value_kind:     by_value
      - .offset:         92
        .size:           12
        .value_kind:     by_value
      - .offset:         104
        .size:           4
        .value_kind:     by_value
      - .offset:         108
        .size:           4
        .value_kind:     by_value
      - .offset:         112
        .size:           4
        .value_kind:     by_value
      - .offset:         116
        .size:           12
        .value_kind:     by_value
      - .offset:         128
        .size:           4
        .value_kind:     by_value
      - .offset:         132
        .size:           4
        .value_kind:     by_value
      - .offset:         136
        .size:           4
        .value_kind:     by_value
      - .offset:         140
        .size:           4
        .value_kind:     by_value
    .group_segment_fixed_size: 512
    .kernarg_segment_align: 8
    .kernarg_segment_size: 144
    .language:       OpenCL C
    .language_version:
      - 2
      - 0
    .max_flat_workgroup_size: 128
    .name:           _ZL13mul_mat_vec_qIL9ggml_type18ELi1ELb0ELb1EEvPKvS2_PKi31ggml_cuda_mm_fusion_args_devicePfj15HIP_vector_typeIjLj3EEjjjS8_jjjS8_jjjj
    .private_segment_fixed_size: 0
    .sgpr_count:     28
    .sgpr_spill_count: 0
    .symbol:         _ZL13mul_mat_vec_qIL9ggml_type18ELi1ELb0ELb1EEvPKvS2_PKi31ggml_cuda_mm_fusion_args_devicePfj15HIP_vector_typeIjLj3EEjjjS8_jjjS8_jjjj.kd
    .uniform_work_group_size: 1
    .uses_dynamic_stack: false
    .vgpr_count:     37
    .vgpr_spill_count: 0
    .wavefront_size: 64
  - .args:
      - .address_space:  global
        .offset:         0
        .size:           8
        .value_kind:     global_buffer
      - .address_space:  global
        .offset:         8
        .size:           8
        .value_kind:     global_buffer
      - .address_space:  global
        .offset:         16
        .size:           8
        .value_kind:     global_buffer
      - .offset:         24
        .size:           32
        .value_kind:     by_value
      - .address_space:  global
        .offset:         56
        .size:           8
        .value_kind:     global_buffer
      - .offset:         64
        .size:           4
        .value_kind:     by_value
      - .offset:         68
        .size:           12
        .value_kind:     by_value
      - .offset:         80
        .size:           4
        .value_kind:     by_value
      - .offset:         84
        .size:           4
        .value_kind:     by_value
      - .offset:         88
        .size:           4
        .value_kind:     by_value
      - .offset:         92
        .size:           12
        .value_kind:     by_value
      - .offset:         104
        .size:           4
        .value_kind:     by_value
      - .offset:         108
        .size:           4
        .value_kind:     by_value
      - .offset:         112
        .size:           4
        .value_kind:     by_value
      - .offset:         116
        .size:           12
        .value_kind:     by_value
      - .offset:         128
        .size:           4
        .value_kind:     by_value
      - .offset:         132
        .size:           4
        .value_kind:     by_value
      - .offset:         136
        .size:           4
        .value_kind:     by_value
      - .offset:         140
        .size:           4
        .value_kind:     by_value
    .group_segment_fixed_size: 512
    .kernarg_segment_align: 8
    .kernarg_segment_size: 144
    .language:       OpenCL C
    .language_version:
      - 2
      - 0
    .max_flat_workgroup_size: 128
    .name:           _ZL13mul_mat_vec_qIL9ggml_type18ELi1ELb1ELb0EEvPKvS2_PKi31ggml_cuda_mm_fusion_args_devicePfj15HIP_vector_typeIjLj3EEjjjS8_jjjS8_jjjj
    .private_segment_fixed_size: 0
    .sgpr_count:     46
    .sgpr_spill_count: 0
    .symbol:         _ZL13mul_mat_vec_qIL9ggml_type18ELi1ELb1ELb0EEvPKvS2_PKi31ggml_cuda_mm_fusion_args_devicePfj15HIP_vector_typeIjLj3EEjjjS8_jjjS8_jjjj.kd
    .uniform_work_group_size: 1
    .uses_dynamic_stack: false
    .vgpr_count:     51
    .vgpr_spill_count: 0
    .wavefront_size: 64
  - .args:
      - .address_space:  global
        .offset:         0
        .size:           8
        .value_kind:     global_buffer
      - .address_space:  global
        .offset:         8
        .size:           8
        .value_kind:     global_buffer
      - .address_space:  global
        .offset:         16
        .size:           8
        .value_kind:     global_buffer
      - .offset:         24
        .size:           32
        .value_kind:     by_value
      - .address_space:  global
        .offset:         56
        .size:           8
        .value_kind:     global_buffer
      - .offset:         64
        .size:           4
        .value_kind:     by_value
      - .offset:         68
        .size:           12
        .value_kind:     by_value
      - .offset:         80
        .size:           4
        .value_kind:     by_value
      - .offset:         84
        .size:           4
        .value_kind:     by_value
      - .offset:         88
        .size:           4
        .value_kind:     by_value
      - .offset:         92
        .size:           12
        .value_kind:     by_value
      - .offset:         104
        .size:           4
        .value_kind:     by_value
      - .offset:         108
        .size:           4
        .value_kind:     by_value
      - .offset:         112
        .size:           4
        .value_kind:     by_value
      - .offset:         116
        .size:           12
        .value_kind:     by_value
      - .offset:         128
        .size:           4
        .value_kind:     by_value
      - .offset:         132
        .size:           4
        .value_kind:     by_value
      - .offset:         136
        .size:           4
        .value_kind:     by_value
      - .offset:         140
        .size:           4
        .value_kind:     by_value
    .group_segment_fixed_size: 256
    .kernarg_segment_align: 8
    .kernarg_segment_size: 144
    .language:       OpenCL C
    .language_version:
      - 2
      - 0
    .max_flat_workgroup_size: 128
    .name:           _ZL13mul_mat_vec_qIL9ggml_type18ELi1ELb0ELb0EEvPKvS2_PKi31ggml_cuda_mm_fusion_args_devicePfj15HIP_vector_typeIjLj3EEjjjS8_jjjS8_jjjj
    .private_segment_fixed_size: 0
    .sgpr_count:     32
    .sgpr_spill_count: 0
    .symbol:         _ZL13mul_mat_vec_qIL9ggml_type18ELi1ELb0ELb0EEvPKvS2_PKi31ggml_cuda_mm_fusion_args_devicePfj15HIP_vector_typeIjLj3EEjjjS8_jjjS8_jjjj.kd
    .uniform_work_group_size: 1
    .uses_dynamic_stack: false
    .vgpr_count:     35
    .vgpr_spill_count: 0
    .wavefront_size: 64
  - .args:
      - .address_space:  global
        .offset:         0
        .size:           8
        .value_kind:     global_buffer
      - .address_space:  global
        .offset:         8
        .size:           8
        .value_kind:     global_buffer
      - .address_space:  global
        .offset:         16
        .size:           8
        .value_kind:     global_buffer
      - .offset:         24
        .size:           32
        .value_kind:     by_value
      - .address_space:  global
        .offset:         56
        .size:           8
        .value_kind:     global_buffer
      - .offset:         64
        .size:           4
        .value_kind:     by_value
      - .offset:         68
        .size:           12
        .value_kind:     by_value
      - .offset:         80
        .size:           4
        .value_kind:     by_value
      - .offset:         84
        .size:           4
        .value_kind:     by_value
      - .offset:         88
        .size:           4
        .value_kind:     by_value
      - .offset:         92
        .size:           12
        .value_kind:     by_value
      - .offset:         104
        .size:           4
        .value_kind:     by_value
      - .offset:         108
        .size:           4
        .value_kind:     by_value
      - .offset:         112
        .size:           4
        .value_kind:     by_value
      - .offset:         116
        .size:           12
        .value_kind:     by_value
      - .offset:         128
        .size:           4
        .value_kind:     by_value
      - .offset:         132
        .size:           4
        .value_kind:     by_value
      - .offset:         136
        .size:           4
        .value_kind:     by_value
      - .offset:         140
        .size:           4
        .value_kind:     by_value
    .group_segment_fixed_size: 1024
    .kernarg_segment_align: 8
    .kernarg_segment_size: 144
    .language:       OpenCL C
    .language_version:
      - 2
      - 0
    .max_flat_workgroup_size: 128
    .name:           _ZL13mul_mat_vec_qIL9ggml_type18ELi2ELb0ELb0EEvPKvS2_PKi31ggml_cuda_mm_fusion_args_devicePfj15HIP_vector_typeIjLj3EEjjjS8_jjjS8_jjjj
    .private_segment_fixed_size: 0
    .sgpr_count:     30
    .sgpr_spill_count: 0
    .symbol:         _ZL13mul_mat_vec_qIL9ggml_type18ELi2ELb0ELb0EEvPKvS2_PKi31ggml_cuda_mm_fusion_args_devicePfj15HIP_vector_typeIjLj3EEjjjS8_jjjS8_jjjj.kd
    .uniform_work_group_size: 1
    .uses_dynamic_stack: false
    .vgpr_count:     52
    .vgpr_spill_count: 0
    .wavefront_size: 64
  - .args:
      - .address_space:  global
        .offset:         0
        .size:           8
        .value_kind:     global_buffer
      - .address_space:  global
        .offset:         8
        .size:           8
        .value_kind:     global_buffer
      - .address_space:  global
        .offset:         16
        .size:           8
        .value_kind:     global_buffer
      - .offset:         24
        .size:           32
        .value_kind:     by_value
      - .address_space:  global
        .offset:         56
        .size:           8
        .value_kind:     global_buffer
      - .offset:         64
        .size:           4
        .value_kind:     by_value
      - .offset:         68
        .size:           12
        .value_kind:     by_value
      - .offset:         80
        .size:           4
        .value_kind:     by_value
      - .offset:         84
        .size:           4
        .value_kind:     by_value
      - .offset:         88
        .size:           4
        .value_kind:     by_value
      - .offset:         92
        .size:           12
        .value_kind:     by_value
      - .offset:         104
        .size:           4
        .value_kind:     by_value
      - .offset:         108
        .size:           4
        .value_kind:     by_value
      - .offset:         112
        .size:           4
        .value_kind:     by_value
      - .offset:         116
        .size:           12
        .value_kind:     by_value
      - .offset:         128
        .size:           4
        .value_kind:     by_value
      - .offset:         132
        .size:           4
        .value_kind:     by_value
      - .offset:         136
        .size:           4
        .value_kind:     by_value
      - .offset:         140
        .size:           4
        .value_kind:     by_value
    .group_segment_fixed_size: 1536
    .kernarg_segment_align: 8
    .kernarg_segment_size: 144
    .language:       OpenCL C
    .language_version:
      - 2
      - 0
    .max_flat_workgroup_size: 128
    .name:           _ZL13mul_mat_vec_qIL9ggml_type18ELi3ELb0ELb0EEvPKvS2_PKi31ggml_cuda_mm_fusion_args_devicePfj15HIP_vector_typeIjLj3EEjjjS8_jjjS8_jjjj
    .private_segment_fixed_size: 0
    .sgpr_count:     30
    .sgpr_spill_count: 0
    .symbol:         _ZL13mul_mat_vec_qIL9ggml_type18ELi3ELb0ELb0EEvPKvS2_PKi31ggml_cuda_mm_fusion_args_devicePfj15HIP_vector_typeIjLj3EEjjjS8_jjjS8_jjjj.kd
    .uniform_work_group_size: 1
    .uses_dynamic_stack: false
    .vgpr_count:     55
    .vgpr_spill_count: 0
    .wavefront_size: 64
  - .args:
      - .address_space:  global
        .offset:         0
        .size:           8
        .value_kind:     global_buffer
      - .address_space:  global
        .offset:         8
        .size:           8
        .value_kind:     global_buffer
      - .address_space:  global
        .offset:         16
        .size:           8
        .value_kind:     global_buffer
      - .offset:         24
        .size:           32
        .value_kind:     by_value
      - .address_space:  global
        .offset:         56
        .size:           8
        .value_kind:     global_buffer
      - .offset:         64
        .size:           4
        .value_kind:     by_value
      - .offset:         68
        .size:           12
        .value_kind:     by_value
      - .offset:         80
        .size:           4
        .value_kind:     by_value
      - .offset:         84
        .size:           4
        .value_kind:     by_value
      - .offset:         88
        .size:           4
        .value_kind:     by_value
      - .offset:         92
        .size:           12
        .value_kind:     by_value
      - .offset:         104
        .size:           4
        .value_kind:     by_value
      - .offset:         108
        .size:           4
        .value_kind:     by_value
      - .offset:         112
        .size:           4
        .value_kind:     by_value
      - .offset:         116
        .size:           12
        .value_kind:     by_value
      - .offset:         128
        .size:           4
        .value_kind:     by_value
      - .offset:         132
        .size:           4
        .value_kind:     by_value
      - .offset:         136
        .size:           4
        .value_kind:     by_value
      - .offset:         140
        .size:           4
        .value_kind:     by_value
    .group_segment_fixed_size: 2048
    .kernarg_segment_align: 8
    .kernarg_segment_size: 144
    .language:       OpenCL C
    .language_version:
      - 2
      - 0
    .max_flat_workgroup_size: 128
    .name:           _ZL13mul_mat_vec_qIL9ggml_type18ELi4ELb0ELb0EEvPKvS2_PKi31ggml_cuda_mm_fusion_args_devicePfj15HIP_vector_typeIjLj3EEjjjS8_jjjS8_jjjj
    .private_segment_fixed_size: 0
    .sgpr_count:     30
    .sgpr_spill_count: 0
    .symbol:         _ZL13mul_mat_vec_qIL9ggml_type18ELi4ELb0ELb0EEvPKvS2_PKi31ggml_cuda_mm_fusion_args_devicePfj15HIP_vector_typeIjLj3EEjjjS8_jjjS8_jjjj.kd
    .uniform_work_group_size: 1
    .uses_dynamic_stack: false
    .vgpr_count:     58
    .vgpr_spill_count: 0
    .wavefront_size: 64
  - .args:
      - .address_space:  global
        .offset:         0
        .size:           8
        .value_kind:     global_buffer
      - .address_space:  global
        .offset:         8
        .size:           8
        .value_kind:     global_buffer
      - .address_space:  global
        .offset:         16
        .size:           8
        .value_kind:     global_buffer
      - .offset:         24
        .size:           32
        .value_kind:     by_value
      - .address_space:  global
        .offset:         56
        .size:           8
        .value_kind:     global_buffer
      - .offset:         64
        .size:           4
        .value_kind:     by_value
      - .offset:         68
        .size:           12
        .value_kind:     by_value
      - .offset:         80
        .size:           4
        .value_kind:     by_value
      - .offset:         84
        .size:           4
        .value_kind:     by_value
      - .offset:         88
        .size:           4
        .value_kind:     by_value
      - .offset:         92
        .size:           12
        .value_kind:     by_value
      - .offset:         104
        .size:           4
        .value_kind:     by_value
      - .offset:         108
        .size:           4
        .value_kind:     by_value
      - .offset:         112
        .size:           4
        .value_kind:     by_value
      - .offset:         116
        .size:           12
        .value_kind:     by_value
      - .offset:         128
        .size:           4
        .value_kind:     by_value
      - .offset:         132
        .size:           4
        .value_kind:     by_value
      - .offset:         136
        .size:           4
        .value_kind:     by_value
      - .offset:         140
        .size:           4
        .value_kind:     by_value
    .group_segment_fixed_size: 0
    .kernarg_segment_align: 8
    .kernarg_segment_size: 144
    .language:       OpenCL C
    .language_version:
      - 2
      - 0
    .max_flat_workgroup_size: 64
    .name:           _ZL13mul_mat_vec_qIL9ggml_type18ELi5ELb0ELb0EEvPKvS2_PKi31ggml_cuda_mm_fusion_args_devicePfj15HIP_vector_typeIjLj3EEjjjS8_jjjS8_jjjj
    .private_segment_fixed_size: 0
    .sgpr_count:     34
    .sgpr_spill_count: 0
    .symbol:         _ZL13mul_mat_vec_qIL9ggml_type18ELi5ELb0ELb0EEvPKvS2_PKi31ggml_cuda_mm_fusion_args_devicePfj15HIP_vector_typeIjLj3EEjjjS8_jjjS8_jjjj.kd
    .uniform_work_group_size: 1
    .uses_dynamic_stack: false
    .vgpr_count:     58
    .vgpr_spill_count: 0
    .wavefront_size: 64
  - .args:
      - .address_space:  global
        .offset:         0
        .size:           8
        .value_kind:     global_buffer
      - .address_space:  global
        .offset:         8
        .size:           8
        .value_kind:     global_buffer
      - .address_space:  global
        .offset:         16
        .size:           8
        .value_kind:     global_buffer
      - .offset:         24
        .size:           32
        .value_kind:     by_value
      - .address_space:  global
        .offset:         56
        .size:           8
        .value_kind:     global_buffer
      - .offset:         64
        .size:           4
        .value_kind:     by_value
      - .offset:         68
        .size:           12
        .value_kind:     by_value
      - .offset:         80
        .size:           4
        .value_kind:     by_value
      - .offset:         84
        .size:           4
        .value_kind:     by_value
      - .offset:         88
        .size:           4
        .value_kind:     by_value
      - .offset:         92
        .size:           12
        .value_kind:     by_value
      - .offset:         104
        .size:           4
        .value_kind:     by_value
      - .offset:         108
        .size:           4
        .value_kind:     by_value
      - .offset:         112
        .size:           4
        .value_kind:     by_value
      - .offset:         116
        .size:           12
        .value_kind:     by_value
      - .offset:         128
        .size:           4
        .value_kind:     by_value
      - .offset:         132
        .size:           4
        .value_kind:     by_value
      - .offset:         136
        .size:           4
        .value_kind:     by_value
      - .offset:         140
        .size:           4
        .value_kind:     by_value
    .group_segment_fixed_size: 0
    .kernarg_segment_align: 8
    .kernarg_segment_size: 144
    .language:       OpenCL C
    .language_version:
      - 2
      - 0
    .max_flat_workgroup_size: 64
    .name:           _ZL13mul_mat_vec_qIL9ggml_type18ELi6ELb0ELb0EEvPKvS2_PKi31ggml_cuda_mm_fusion_args_devicePfj15HIP_vector_typeIjLj3EEjjjS8_jjjS8_jjjj
    .private_segment_fixed_size: 0
    .sgpr_count:     34
    .sgpr_spill_count: 0
    .symbol:         _ZL13mul_mat_vec_qIL9ggml_type18ELi6ELb0ELb0EEvPKvS2_PKi31ggml_cuda_mm_fusion_args_devicePfj15HIP_vector_typeIjLj3EEjjjS8_jjjS8_jjjj.kd
    .uniform_work_group_size: 1
    .uses_dynamic_stack: false
    .vgpr_count:     60
    .vgpr_spill_count: 0
    .wavefront_size: 64
  - .args:
      - .address_space:  global
        .offset:         0
        .size:           8
        .value_kind:     global_buffer
      - .address_space:  global
        .offset:         8
        .size:           8
        .value_kind:     global_buffer
      - .address_space:  global
        .offset:         16
        .size:           8
        .value_kind:     global_buffer
      - .offset:         24
        .size:           32
        .value_kind:     by_value
      - .address_space:  global
        .offset:         56
        .size:           8
        .value_kind:     global_buffer
      - .offset:         64
        .size:           4
        .value_kind:     by_value
      - .offset:         68
        .size:           12
        .value_kind:     by_value
      - .offset:         80
        .size:           4
        .value_kind:     by_value
      - .offset:         84
        .size:           4
        .value_kind:     by_value
      - .offset:         88
        .size:           4
        .value_kind:     by_value
      - .offset:         92
        .size:           12
        .value_kind:     by_value
      - .offset:         104
        .size:           4
        .value_kind:     by_value
      - .offset:         108
        .size:           4
        .value_kind:     by_value
      - .offset:         112
        .size:           4
        .value_kind:     by_value
      - .offset:         116
        .size:           12
        .value_kind:     by_value
      - .offset:         128
        .size:           4
        .value_kind:     by_value
      - .offset:         132
        .size:           4
        .value_kind:     by_value
      - .offset:         136
        .size:           4
        .value_kind:     by_value
      - .offset:         140
        .size:           4
        .value_kind:     by_value
    .group_segment_fixed_size: 0
    .kernarg_segment_align: 8
    .kernarg_segment_size: 144
    .language:       OpenCL C
    .language_version:
      - 2
      - 0
    .max_flat_workgroup_size: 64
    .name:           _ZL13mul_mat_vec_qIL9ggml_type18ELi7ELb0ELb0EEvPKvS2_PKi31ggml_cuda_mm_fusion_args_devicePfj15HIP_vector_typeIjLj3EEjjjS8_jjjS8_jjjj
    .private_segment_fixed_size: 0
    .sgpr_count:     36
    .sgpr_spill_count: 0
    .symbol:         _ZL13mul_mat_vec_qIL9ggml_type18ELi7ELb0ELb0EEvPKvS2_PKi31ggml_cuda_mm_fusion_args_devicePfj15HIP_vector_typeIjLj3EEjjjS8_jjjS8_jjjj.kd
    .uniform_work_group_size: 1
    .uses_dynamic_stack: false
    .vgpr_count:     62
    .vgpr_spill_count: 0
    .wavefront_size: 64
  - .args:
      - .address_space:  global
        .offset:         0
        .size:           8
        .value_kind:     global_buffer
      - .address_space:  global
        .offset:         8
        .size:           8
        .value_kind:     global_buffer
      - .address_space:  global
        .offset:         16
        .size:           8
        .value_kind:     global_buffer
      - .offset:         24
        .size:           32
        .value_kind:     by_value
      - .address_space:  global
        .offset:         56
        .size:           8
        .value_kind:     global_buffer
      - .offset:         64
        .size:           4
        .value_kind:     by_value
      - .offset:         68
        .size:           12
        .value_kind:     by_value
      - .offset:         80
        .size:           4
        .value_kind:     by_value
      - .offset:         84
        .size:           4
        .value_kind:     by_value
      - .offset:         88
        .size:           4
        .value_kind:     by_value
      - .offset:         92
        .size:           12
        .value_kind:     by_value
      - .offset:         104
        .size:           4
        .value_kind:     by_value
      - .offset:         108
        .size:           4
        .value_kind:     by_value
      - .offset:         112
        .size:           4
        .value_kind:     by_value
      - .offset:         116
        .size:           12
        .value_kind:     by_value
      - .offset:         128
        .size:           4
        .value_kind:     by_value
      - .offset:         132
        .size:           4
        .value_kind:     by_value
      - .offset:         136
        .size:           4
        .value_kind:     by_value
      - .offset:         140
        .size:           4
        .value_kind:     by_value
    .group_segment_fixed_size: 0
    .kernarg_segment_align: 8
    .kernarg_segment_size: 144
    .language:       OpenCL C
    .language_version:
      - 2
      - 0
    .max_flat_workgroup_size: 64
    .name:           _ZL13mul_mat_vec_qIL9ggml_type18ELi8ELb0ELb0EEvPKvS2_PKi31ggml_cuda_mm_fusion_args_devicePfj15HIP_vector_typeIjLj3EEjjjS8_jjjS8_jjjj
    .private_segment_fixed_size: 0
    .sgpr_count:     36
    .sgpr_spill_count: 0
    .symbol:         _ZL13mul_mat_vec_qIL9ggml_type18ELi8ELb0ELb0EEvPKvS2_PKi31ggml_cuda_mm_fusion_args_devicePfj15HIP_vector_typeIjLj3EEjjjS8_jjjS8_jjjj.kd
    .uniform_work_group_size: 1
    .uses_dynamic_stack: false
    .vgpr_count:     64
    .vgpr_spill_count: 0
    .wavefront_size: 64
  - .args:
      - .address_space:  global
        .offset:         0
        .size:           8
        .value_kind:     global_buffer
      - .address_space:  global
        .offset:         8
        .size:           8
        .value_kind:     global_buffer
      - .address_space:  global
        .offset:         16
        .size:           8
        .value_kind:     global_buffer
      - .address_space:  global
        .offset:         24
        .size:           8
        .value_kind:     global_buffer
      - .offset:         32
        .size:           4
        .value_kind:     by_value
      - .offset:         36
        .size:           12
        .value_kind:     by_value
      - .offset:         48
        .size:           4
        .value_kind:     by_value
      - .offset:         52
        .size:           4
        .value_kind:     by_value
      - .offset:         56
        .size:           4
        .value_kind:     by_value
      - .offset:         60
        .size:           4
        .value_kind:     by_value
      - .offset:         64
        .size:           4
        .value_kind:     by_value
      - .offset:         68
        .size:           4
        .value_kind:     by_value
      - .offset:         72
        .size:           4
        .value_kind:     by_value
      - .offset:         76
        .size:           4
        .value_kind:     by_value
      - .offset:         80
        .size:           4
        .value_kind:     by_value
    .group_segment_fixed_size: 0
    .kernarg_segment_align: 8
    .kernarg_segment_size: 84
    .language:       OpenCL C
    .language_version:
      - 2
      - 0
    .max_flat_workgroup_size: 320
    .name:           _ZL17mul_mat_vec_q_moeIL9ggml_type19ELi2EEvPKvS2_PKiPfj15HIP_vector_typeIjLj3EEjjjjjjjjj
    .private_segment_fixed_size: 0
    .sgpr_count:     32
    .sgpr_spill_count: 0
    .symbol:         _ZL17mul_mat_vec_q_moeIL9ggml_type19ELi2EEvPKvS2_PKiPfj15HIP_vector_typeIjLj3EEjjjjjjjjj.kd
    .uniform_work_group_size: 1
    .uses_dynamic_stack: false
    .vgpr_count:     35
    .vgpr_spill_count: 0
    .wavefront_size: 64
  - .args:
      - .address_space:  global
        .offset:         0
        .size:           8
        .value_kind:     global_buffer
      - .address_space:  global
        .offset:         8
        .size:           8
        .value_kind:     global_buffer
      - .address_space:  global
        .offset:         16
        .size:           8
        .value_kind:     global_buffer
      - .offset:         24
        .size:           32
        .value_kind:     by_value
      - .address_space:  global
        .offset:         56
        .size:           8
        .value_kind:     global_buffer
      - .offset:         64
        .size:           4
        .value_kind:     by_value
      - .offset:         68
        .size:           12
        .value_kind:     by_value
      - .offset:         80
        .size:           4
        .value_kind:     by_value
      - .offset:         84
        .size:           4
        .value_kind:     by_value
      - .offset:         88
        .size:           4
        .value_kind:     by_value
      - .offset:         92
        .size:           12
        .value_kind:     by_value
      - .offset:         104
        .size:           4
        .value_kind:     by_value
      - .offset:         108
        .size:           4
        .value_kind:     by_value
      - .offset:         112
        .size:           4
        .value_kind:     by_value
      - .offset:         116
        .size:           12
        .value_kind:     by_value
      - .offset:         128
        .size:           4
        .value_kind:     by_value
      - .offset:         132
        .size:           4
        .value_kind:     by_value
      - .offset:         136
        .size:           4
        .value_kind:     by_value
      - .offset:         140
        .size:           4
        .value_kind:     by_value
    .group_segment_fixed_size: 1024
    .kernarg_segment_align: 8
    .kernarg_segment_size: 144
    .language:       OpenCL C
    .language_version:
      - 2
      - 0
    .max_flat_workgroup_size: 128
    .name:           _ZL13mul_mat_vec_qIL9ggml_type19ELi1ELb1ELb1EEvPKvS2_PKi31ggml_cuda_mm_fusion_args_devicePfj15HIP_vector_typeIjLj3EEjjjS8_jjjS8_jjjj
    .private_segment_fixed_size: 0
    .sgpr_count:     48
    .sgpr_spill_count: 0
    .symbol:         _ZL13mul_mat_vec_qIL9ggml_type19ELi1ELb1ELb1EEvPKvS2_PKi31ggml_cuda_mm_fusion_args_devicePfj15HIP_vector_typeIjLj3EEjjjS8_jjjS8_jjjj.kd
    .uniform_work_group_size: 1
    .uses_dynamic_stack: false
    .vgpr_count:     45
    .vgpr_spill_count: 0
    .wavefront_size: 64
  - .args:
      - .address_space:  global
        .offset:         0
        .size:           8
        .value_kind:     global_buffer
      - .address_space:  global
        .offset:         8
        .size:           8
        .value_kind:     global_buffer
      - .address_space:  global
        .offset:         16
        .size:           8
        .value_kind:     global_buffer
      - .offset:         24
        .size:           32
        .value_kind:     by_value
      - .address_space:  global
        .offset:         56
        .size:           8
        .value_kind:     global_buffer
      - .offset:         64
        .size:           4
        .value_kind:     by_value
      - .offset:         68
        .size:           12
        .value_kind:     by_value
      - .offset:         80
        .size:           4
        .value_kind:     by_value
      - .offset:         84
        .size:           4
        .value_kind:     by_value
      - .offset:         88
        .size:           4
        .value_kind:     by_value
      - .offset:         92
        .size:           12
        .value_kind:     by_value
      - .offset:         104
        .size:           4
        .value_kind:     by_value
      - .offset:         108
        .size:           4
        .value_kind:     by_value
      - .offset:         112
        .size:           4
        .value_kind:     by_value
      - .offset:         116
        .size:           12
        .value_kind:     by_value
      - .offset:         128
        .size:           4
        .value_kind:     by_value
      - .offset:         132
        .size:           4
        .value_kind:     by_value
      - .offset:         136
        .size:           4
        .value_kind:     by_value
      - .offset:         140
        .size:           4
        .value_kind:     by_value
    .group_segment_fixed_size: 512
    .kernarg_segment_align: 8
    .kernarg_segment_size: 144
    .language:       OpenCL C
    .language_version:
      - 2
      - 0
    .max_flat_workgroup_size: 128
    .name:           _ZL13mul_mat_vec_qIL9ggml_type19ELi1ELb0ELb1EEvPKvS2_PKi31ggml_cuda_mm_fusion_args_devicePfj15HIP_vector_typeIjLj3EEjjjS8_jjjS8_jjjj
    .private_segment_fixed_size: 0
    .sgpr_count:     28
    .sgpr_spill_count: 0
    .symbol:         _ZL13mul_mat_vec_qIL9ggml_type19ELi1ELb0ELb1EEvPKvS2_PKi31ggml_cuda_mm_fusion_args_devicePfj15HIP_vector_typeIjLj3EEjjjS8_jjjS8_jjjj.kd
    .uniform_work_group_size: 1
    .uses_dynamic_stack: false
    .vgpr_count:     28
    .vgpr_spill_count: 0
    .wavefront_size: 64
  - .args:
      - .address_space:  global
        .offset:         0
        .size:           8
        .value_kind:     global_buffer
      - .address_space:  global
        .offset:         8
        .size:           8
        .value_kind:     global_buffer
      - .address_space:  global
        .offset:         16
        .size:           8
        .value_kind:     global_buffer
      - .offset:         24
        .size:           32
        .value_kind:     by_value
      - .address_space:  global
        .offset:         56
        .size:           8
        .value_kind:     global_buffer
      - .offset:         64
        .size:           4
        .value_kind:     by_value
      - .offset:         68
        .size:           12
        .value_kind:     by_value
      - .offset:         80
        .size:           4
        .value_kind:     by_value
      - .offset:         84
        .size:           4
        .value_kind:     by_value
      - .offset:         88
        .size:           4
        .value_kind:     by_value
      - .offset:         92
        .size:           12
        .value_kind:     by_value
      - .offset:         104
        .size:           4
        .value_kind:     by_value
      - .offset:         108
        .size:           4
        .value_kind:     by_value
      - .offset:         112
        .size:           4
        .value_kind:     by_value
      - .offset:         116
        .size:           12
        .value_kind:     by_value
      - .offset:         128
        .size:           4
        .value_kind:     by_value
      - .offset:         132
        .size:           4
        .value_kind:     by_value
      - .offset:         136
        .size:           4
        .value_kind:     by_value
      - .offset:         140
        .size:           4
        .value_kind:     by_value
    .group_segment_fixed_size: 512
    .kernarg_segment_align: 8
    .kernarg_segment_size: 144
    .language:       OpenCL C
    .language_version:
      - 2
      - 0
    .max_flat_workgroup_size: 128
    .name:           _ZL13mul_mat_vec_qIL9ggml_type19ELi1ELb1ELb0EEvPKvS2_PKi31ggml_cuda_mm_fusion_args_devicePfj15HIP_vector_typeIjLj3EEjjjS8_jjjS8_jjjj
    .private_segment_fixed_size: 0
    .sgpr_count:     46
    .sgpr_spill_count: 0
    .symbol:         _ZL13mul_mat_vec_qIL9ggml_type19ELi1ELb1ELb0EEvPKvS2_PKi31ggml_cuda_mm_fusion_args_devicePfj15HIP_vector_typeIjLj3EEjjjS8_jjjS8_jjjj.kd
    .uniform_work_group_size: 1
    .uses_dynamic_stack: false
    .vgpr_count:     37
    .vgpr_spill_count: 0
    .wavefront_size: 64
  - .args:
      - .address_space:  global
        .offset:         0
        .size:           8
        .value_kind:     global_buffer
      - .address_space:  global
        .offset:         8
        .size:           8
        .value_kind:     global_buffer
      - .address_space:  global
        .offset:         16
        .size:           8
        .value_kind:     global_buffer
      - .offset:         24
        .size:           32
        .value_kind:     by_value
      - .address_space:  global
        .offset:         56
        .size:           8
        .value_kind:     global_buffer
      - .offset:         64
        .size:           4
        .value_kind:     by_value
      - .offset:         68
        .size:           12
        .value_kind:     by_value
      - .offset:         80
        .size:           4
        .value_kind:     by_value
      - .offset:         84
        .size:           4
        .value_kind:     by_value
      - .offset:         88
        .size:           4
        .value_kind:     by_value
      - .offset:         92
        .size:           12
        .value_kind:     by_value
      - .offset:         104
        .size:           4
        .value_kind:     by_value
      - .offset:         108
        .size:           4
        .value_kind:     by_value
      - .offset:         112
        .size:           4
        .value_kind:     by_value
      - .offset:         116
        .size:           12
        .value_kind:     by_value
      - .offset:         128
        .size:           4
        .value_kind:     by_value
      - .offset:         132
        .size:           4
        .value_kind:     by_value
      - .offset:         136
        .size:           4
        .value_kind:     by_value
      - .offset:         140
        .size:           4
        .value_kind:     by_value
    .group_segment_fixed_size: 256
    .kernarg_segment_align: 8
    .kernarg_segment_size: 144
    .language:       OpenCL C
    .language_version:
      - 2
      - 0
    .max_flat_workgroup_size: 128
    .name:           _ZL13mul_mat_vec_qIL9ggml_type19ELi1ELb0ELb0EEvPKvS2_PKi31ggml_cuda_mm_fusion_args_devicePfj15HIP_vector_typeIjLj3EEjjjS8_jjjS8_jjjj
    .private_segment_fixed_size: 0
    .sgpr_count:     28
    .sgpr_spill_count: 0
    .symbol:         _ZL13mul_mat_vec_qIL9ggml_type19ELi1ELb0ELb0EEvPKvS2_PKi31ggml_cuda_mm_fusion_args_devicePfj15HIP_vector_typeIjLj3EEjjjS8_jjjS8_jjjj.kd
    .uniform_work_group_size: 1
    .uses_dynamic_stack: false
    .vgpr_count:     23
    .vgpr_spill_count: 0
    .wavefront_size: 64
  - .args:
      - .address_space:  global
        .offset:         0
        .size:           8
        .value_kind:     global_buffer
      - .address_space:  global
        .offset:         8
        .size:           8
        .value_kind:     global_buffer
      - .address_space:  global
        .offset:         16
        .size:           8
        .value_kind:     global_buffer
      - .offset:         24
        .size:           32
        .value_kind:     by_value
      - .address_space:  global
        .offset:         56
        .size:           8
        .value_kind:     global_buffer
      - .offset:         64
        .size:           4
        .value_kind:     by_value
      - .offset:         68
        .size:           12
        .value_kind:     by_value
      - .offset:         80
        .size:           4
        .value_kind:     by_value
      - .offset:         84
        .size:           4
        .value_kind:     by_value
      - .offset:         88
        .size:           4
        .value_kind:     by_value
      - .offset:         92
        .size:           12
        .value_kind:     by_value
      - .offset:         104
        .size:           4
        .value_kind:     by_value
      - .offset:         108
        .size:           4
        .value_kind:     by_value
      - .offset:         112
        .size:           4
        .value_kind:     by_value
      - .offset:         116
        .size:           12
        .value_kind:     by_value
      - .offset:         128
        .size:           4
        .value_kind:     by_value
      - .offset:         132
        .size:           4
        .value_kind:     by_value
      - .offset:         136
        .size:           4
        .value_kind:     by_value
      - .offset:         140
        .size:           4
        .value_kind:     by_value
    .group_segment_fixed_size: 1024
    .kernarg_segment_align: 8
    .kernarg_segment_size: 144
    .language:       OpenCL C
    .language_version:
      - 2
      - 0
    .max_flat_workgroup_size: 128
    .name:           _ZL13mul_mat_vec_qIL9ggml_type19ELi2ELb0ELb0EEvPKvS2_PKi31ggml_cuda_mm_fusion_args_devicePfj15HIP_vector_typeIjLj3EEjjjS8_jjjS8_jjjj
    .private_segment_fixed_size: 0
    .sgpr_count:     30
    .sgpr_spill_count: 0
    .symbol:         _ZL13mul_mat_vec_qIL9ggml_type19ELi2ELb0ELb0EEvPKvS2_PKi31ggml_cuda_mm_fusion_args_devicePfj15HIP_vector_typeIjLj3EEjjjS8_jjjS8_jjjj.kd
    .uniform_work_group_size: 1
    .uses_dynamic_stack: false
    .vgpr_count:     48
    .vgpr_spill_count: 0
    .wavefront_size: 64
  - .args:
      - .address_space:  global
        .offset:         0
        .size:           8
        .value_kind:     global_buffer
      - .address_space:  global
        .offset:         8
        .size:           8
        .value_kind:     global_buffer
      - .address_space:  global
        .offset:         16
        .size:           8
        .value_kind:     global_buffer
      - .offset:         24
        .size:           32
        .value_kind:     by_value
      - .address_space:  global
        .offset:         56
        .size:           8
        .value_kind:     global_buffer
      - .offset:         64
        .size:           4
        .value_kind:     by_value
      - .offset:         68
        .size:           12
        .value_kind:     by_value
      - .offset:         80
        .size:           4
        .value_kind:     by_value
      - .offset:         84
        .size:           4
        .value_kind:     by_value
      - .offset:         88
        .size:           4
        .value_kind:     by_value
      - .offset:         92
        .size:           12
        .value_kind:     by_value
      - .offset:         104
        .size:           4
        .value_kind:     by_value
      - .offset:         108
        .size:           4
        .value_kind:     by_value
      - .offset:         112
        .size:           4
        .value_kind:     by_value
      - .offset:         116
        .size:           12
        .value_kind:     by_value
      - .offset:         128
        .size:           4
        .value_kind:     by_value
      - .offset:         132
        .size:           4
        .value_kind:     by_value
      - .offset:         136
        .size:           4
        .value_kind:     by_value
      - .offset:         140
        .size:           4
        .value_kind:     by_value
    .group_segment_fixed_size: 1536
    .kernarg_segment_align: 8
    .kernarg_segment_size: 144
    .language:       OpenCL C
    .language_version:
      - 2
      - 0
    .max_flat_workgroup_size: 128
    .name:           _ZL13mul_mat_vec_qIL9ggml_type19ELi3ELb0ELb0EEvPKvS2_PKi31ggml_cuda_mm_fusion_args_devicePfj15HIP_vector_typeIjLj3EEjjjS8_jjjS8_jjjj
    .private_segment_fixed_size: 0
    .sgpr_count:     30
    .sgpr_spill_count: 0
    .symbol:         _ZL13mul_mat_vec_qIL9ggml_type19ELi3ELb0ELb0EEvPKvS2_PKi31ggml_cuda_mm_fusion_args_devicePfj15HIP_vector_typeIjLj3EEjjjS8_jjjS8_jjjj.kd
    .uniform_work_group_size: 1
    .uses_dynamic_stack: false
    .vgpr_count:     64
    .vgpr_spill_count: 0
    .wavefront_size: 64
  - .args:
      - .address_space:  global
        .offset:         0
        .size:           8
        .value_kind:     global_buffer
      - .address_space:  global
        .offset:         8
        .size:           8
        .value_kind:     global_buffer
      - .address_space:  global
        .offset:         16
        .size:           8
        .value_kind:     global_buffer
      - .offset:         24
        .size:           32
        .value_kind:     by_value
      - .address_space:  global
        .offset:         56
        .size:           8
        .value_kind:     global_buffer
      - .offset:         64
        .size:           4
        .value_kind:     by_value
      - .offset:         68
        .size:           12
        .value_kind:     by_value
      - .offset:         80
        .size:           4
        .value_kind:     by_value
      - .offset:         84
        .size:           4
        .value_kind:     by_value
      - .offset:         88
        .size:           4
        .value_kind:     by_value
      - .offset:         92
        .size:           12
        .value_kind:     by_value
      - .offset:         104
        .size:           4
        .value_kind:     by_value
      - .offset:         108
        .size:           4
        .value_kind:     by_value
      - .offset:         112
        .size:           4
        .value_kind:     by_value
      - .offset:         116
        .size:           12
        .value_kind:     by_value
      - .offset:         128
        .size:           4
        .value_kind:     by_value
      - .offset:         132
        .size:           4
        .value_kind:     by_value
      - .offset:         136
        .size:           4
        .value_kind:     by_value
      - .offset:         140
        .size:           4
        .value_kind:     by_value
    .group_segment_fixed_size: 2048
    .kernarg_segment_align: 8
    .kernarg_segment_size: 144
    .language:       OpenCL C
    .language_version:
      - 2
      - 0
    .max_flat_workgroup_size: 128
    .name:           _ZL13mul_mat_vec_qIL9ggml_type19ELi4ELb0ELb0EEvPKvS2_PKi31ggml_cuda_mm_fusion_args_devicePfj15HIP_vector_typeIjLj3EEjjjS8_jjjS8_jjjj
    .private_segment_fixed_size: 0
    .sgpr_count:     30
    .sgpr_spill_count: 0
    .symbol:         _ZL13mul_mat_vec_qIL9ggml_type19ELi4ELb0ELb0EEvPKvS2_PKi31ggml_cuda_mm_fusion_args_devicePfj15HIP_vector_typeIjLj3EEjjjS8_jjjS8_jjjj.kd
    .uniform_work_group_size: 1
    .uses_dynamic_stack: false
    .vgpr_count:     62
    .vgpr_spill_count: 0
    .wavefront_size: 64
  - .args:
      - .address_space:  global
        .offset:         0
        .size:           8
        .value_kind:     global_buffer
      - .address_space:  global
        .offset:         8
        .size:           8
        .value_kind:     global_buffer
      - .address_space:  global
        .offset:         16
        .size:           8
        .value_kind:     global_buffer
      - .offset:         24
        .size:           32
        .value_kind:     by_value
      - .address_space:  global
        .offset:         56
        .size:           8
        .value_kind:     global_buffer
      - .offset:         64
        .size:           4
        .value_kind:     by_value
      - .offset:         68
        .size:           12
        .value_kind:     by_value
      - .offset:         80
        .size:           4
        .value_kind:     by_value
      - .offset:         84
        .size:           4
        .value_kind:     by_value
      - .offset:         88
        .size:           4
        .value_kind:     by_value
      - .offset:         92
        .size:           12
        .value_kind:     by_value
      - .offset:         104
        .size:           4
        .value_kind:     by_value
      - .offset:         108
        .size:           4
        .value_kind:     by_value
      - .offset:         112
        .size:           4
        .value_kind:     by_value
      - .offset:         116
        .size:           12
        .value_kind:     by_value
      - .offset:         128
        .size:           4
        .value_kind:     by_value
      - .offset:         132
        .size:           4
        .value_kind:     by_value
      - .offset:         136
        .size:           4
        .value_kind:     by_value
      - .offset:         140
        .size:           4
        .value_kind:     by_value
    .group_segment_fixed_size: 0
    .kernarg_segment_align: 8
    .kernarg_segment_size: 144
    .language:       OpenCL C
    .language_version:
      - 2
      - 0
    .max_flat_workgroup_size: 64
    .name:           _ZL13mul_mat_vec_qIL9ggml_type19ELi5ELb0ELb0EEvPKvS2_PKi31ggml_cuda_mm_fusion_args_devicePfj15HIP_vector_typeIjLj3EEjjjS8_jjjS8_jjjj
    .private_segment_fixed_size: 0
    .sgpr_count:     32
    .sgpr_spill_count: 0
    .symbol:         _ZL13mul_mat_vec_qIL9ggml_type19ELi5ELb0ELb0EEvPKvS2_PKi31ggml_cuda_mm_fusion_args_devicePfj15HIP_vector_typeIjLj3EEjjjS8_jjjS8_jjjj.kd
    .uniform_work_group_size: 1
    .uses_dynamic_stack: false
    .vgpr_count:     52
    .vgpr_spill_count: 0
    .wavefront_size: 64
  - .args:
      - .address_space:  global
        .offset:         0
        .size:           8
        .value_kind:     global_buffer
      - .address_space:  global
        .offset:         8
        .size:           8
        .value_kind:     global_buffer
      - .address_space:  global
        .offset:         16
        .size:           8
        .value_kind:     global_buffer
      - .offset:         24
        .size:           32
        .value_kind:     by_value
      - .address_space:  global
        .offset:         56
        .size:           8
        .value_kind:     global_buffer
      - .offset:         64
        .size:           4
        .value_kind:     by_value
      - .offset:         68
        .size:           12
        .value_kind:     by_value
      - .offset:         80
        .size:           4
        .value_kind:     by_value
      - .offset:         84
        .size:           4
        .value_kind:     by_value
      - .offset:         88
        .size:           4
        .value_kind:     by_value
      - .offset:         92
        .size:           12
        .value_kind:     by_value
      - .offset:         104
        .size:           4
        .value_kind:     by_value
      - .offset:         108
        .size:           4
        .value_kind:     by_value
      - .offset:         112
        .size:           4
        .value_kind:     by_value
      - .offset:         116
        .size:           12
        .value_kind:     by_value
      - .offset:         128
        .size:           4
        .value_kind:     by_value
      - .offset:         132
        .size:           4
        .value_kind:     by_value
      - .offset:         136
        .size:           4
        .value_kind:     by_value
      - .offset:         140
        .size:           4
        .value_kind:     by_value
    .group_segment_fixed_size: 0
    .kernarg_segment_align: 8
    .kernarg_segment_size: 144
    .language:       OpenCL C
    .language_version:
      - 2
      - 0
    .max_flat_workgroup_size: 64
    .name:           _ZL13mul_mat_vec_qIL9ggml_type19ELi6ELb0ELb0EEvPKvS2_PKi31ggml_cuda_mm_fusion_args_devicePfj15HIP_vector_typeIjLj3EEjjjS8_jjjS8_jjjj
    .private_segment_fixed_size: 0
    .sgpr_count:     32
    .sgpr_spill_count: 0
    .symbol:         _ZL13mul_mat_vec_qIL9ggml_type19ELi6ELb0ELb0EEvPKvS2_PKi31ggml_cuda_mm_fusion_args_devicePfj15HIP_vector_typeIjLj3EEjjjS8_jjjS8_jjjj.kd
    .uniform_work_group_size: 1
    .uses_dynamic_stack: false
    .vgpr_count:     54
    .vgpr_spill_count: 0
    .wavefront_size: 64
  - .args:
      - .address_space:  global
        .offset:         0
        .size:           8
        .value_kind:     global_buffer
      - .address_space:  global
        .offset:         8
        .size:           8
        .value_kind:     global_buffer
      - .address_space:  global
        .offset:         16
        .size:           8
        .value_kind:     global_buffer
      - .offset:         24
        .size:           32
        .value_kind:     by_value
      - .address_space:  global
        .offset:         56
        .size:           8
        .value_kind:     global_buffer
      - .offset:         64
        .size:           4
        .value_kind:     by_value
      - .offset:         68
        .size:           12
        .value_kind:     by_value
      - .offset:         80
        .size:           4
        .value_kind:     by_value
      - .offset:         84
        .size:           4
        .value_kind:     by_value
      - .offset:         88
        .size:           4
        .value_kind:     by_value
      - .offset:         92
        .size:           12
        .value_kind:     by_value
      - .offset:         104
        .size:           4
        .value_kind:     by_value
      - .offset:         108
        .size:           4
        .value_kind:     by_value
      - .offset:         112
        .size:           4
        .value_kind:     by_value
      - .offset:         116
        .size:           12
        .value_kind:     by_value
      - .offset:         128
        .size:           4
        .value_kind:     by_value
      - .offset:         132
        .size:           4
        .value_kind:     by_value
      - .offset:         136
        .size:           4
        .value_kind:     by_value
      - .offset:         140
        .size:           4
        .value_kind:     by_value
    .group_segment_fixed_size: 0
    .kernarg_segment_align: 8
    .kernarg_segment_size: 144
    .language:       OpenCL C
    .language_version:
      - 2
      - 0
    .max_flat_workgroup_size: 64
    .name:           _ZL13mul_mat_vec_qIL9ggml_type19ELi7ELb0ELb0EEvPKvS2_PKi31ggml_cuda_mm_fusion_args_devicePfj15HIP_vector_typeIjLj3EEjjjS8_jjjS8_jjjj
    .private_segment_fixed_size: 0
    .sgpr_count:     34
    .sgpr_spill_count: 0
    .symbol:         _ZL13mul_mat_vec_qIL9ggml_type19ELi7ELb0ELb0EEvPKvS2_PKi31ggml_cuda_mm_fusion_args_devicePfj15HIP_vector_typeIjLj3EEjjjS8_jjjS8_jjjj.kd
    .uniform_work_group_size: 1
    .uses_dynamic_stack: false
    .vgpr_count:     56
    .vgpr_spill_count: 0
    .wavefront_size: 64
  - .args:
      - .address_space:  global
        .offset:         0
        .size:           8
        .value_kind:     global_buffer
      - .address_space:  global
        .offset:         8
        .size:           8
        .value_kind:     global_buffer
      - .address_space:  global
        .offset:         16
        .size:           8
        .value_kind:     global_buffer
      - .offset:         24
        .size:           32
        .value_kind:     by_value
      - .address_space:  global
        .offset:         56
        .size:           8
        .value_kind:     global_buffer
      - .offset:         64
        .size:           4
        .value_kind:     by_value
      - .offset:         68
        .size:           12
        .value_kind:     by_value
      - .offset:         80
        .size:           4
        .value_kind:     by_value
      - .offset:         84
        .size:           4
        .value_kind:     by_value
      - .offset:         88
        .size:           4
        .value_kind:     by_value
      - .offset:         92
        .size:           12
        .value_kind:     by_value
      - .offset:         104
        .size:           4
        .value_kind:     by_value
      - .offset:         108
        .size:           4
        .value_kind:     by_value
      - .offset:         112
        .size:           4
        .value_kind:     by_value
      - .offset:         116
        .size:           12
        .value_kind:     by_value
      - .offset:         128
        .size:           4
        .value_kind:     by_value
      - .offset:         132
        .size:           4
        .value_kind:     by_value
      - .offset:         136
        .size:           4
        .value_kind:     by_value
      - .offset:         140
        .size:           4
        .value_kind:     by_value
    .group_segment_fixed_size: 0
    .kernarg_segment_align: 8
    .kernarg_segment_size: 144
    .language:       OpenCL C
    .language_version:
      - 2
      - 0
    .max_flat_workgroup_size: 64
    .name:           _ZL13mul_mat_vec_qIL9ggml_type19ELi8ELb0ELb0EEvPKvS2_PKi31ggml_cuda_mm_fusion_args_devicePfj15HIP_vector_typeIjLj3EEjjjS8_jjjS8_jjjj
    .private_segment_fixed_size: 0
    .sgpr_count:     34
    .sgpr_spill_count: 0
    .symbol:         _ZL13mul_mat_vec_qIL9ggml_type19ELi8ELb0ELb0EEvPKvS2_PKi31ggml_cuda_mm_fusion_args_devicePfj15HIP_vector_typeIjLj3EEjjjS8_jjjS8_jjjj.kd
    .uniform_work_group_size: 1
    .uses_dynamic_stack: false
    .vgpr_count:     58
    .vgpr_spill_count: 0
    .wavefront_size: 64
  - .args:
      - .address_space:  global
        .offset:         0
        .size:           8
        .value_kind:     global_buffer
      - .address_space:  global
        .offset:         8
        .size:           8
        .value_kind:     global_buffer
      - .address_space:  global
        .offset:         16
        .size:           8
        .value_kind:     global_buffer
      - .address_space:  global
        .offset:         24
        .size:           8
        .value_kind:     global_buffer
      - .offset:         32
        .size:           4
        .value_kind:     by_value
      - .offset:         36
        .size:           12
        .value_kind:     by_value
      - .offset:         48
        .size:           4
        .value_kind:     by_value
      - .offset:         52
        .size:           4
        .value_kind:     by_value
      - .offset:         56
        .size:           4
        .value_kind:     by_value
      - .offset:         60
        .size:           4
        .value_kind:     by_value
      - .offset:         64
        .size:           4
        .value_kind:     by_value
      - .offset:         68
        .size:           4
        .value_kind:     by_value
      - .offset:         72
        .size:           4
        .value_kind:     by_value
      - .offset:         76
        .size:           4
        .value_kind:     by_value
      - .offset:         80
        .size:           4
        .value_kind:     by_value
    .group_segment_fixed_size: 0
    .kernarg_segment_align: 8
    .kernarg_segment_size: 84
    .language:       OpenCL C
    .language_version:
      - 2
      - 0
    .max_flat_workgroup_size: 320
    .name:           _ZL17mul_mat_vec_q_moeIL9ggml_type29ELi2EEvPKvS2_PKiPfj15HIP_vector_typeIjLj3EEjjjjjjjjj
    .private_segment_fixed_size: 0
    .sgpr_count:     38
    .sgpr_spill_count: 0
    .symbol:         _ZL17mul_mat_vec_q_moeIL9ggml_type29ELi2EEvPKvS2_PKiPfj15HIP_vector_typeIjLj3EEjjjjjjjjj.kd
    .uniform_work_group_size: 1
    .uses_dynamic_stack: false
    .vgpr_count:     52
    .vgpr_spill_count: 0
    .wavefront_size: 64
  - .args:
      - .address_space:  global
        .offset:         0
        .size:           8
        .value_kind:     global_buffer
      - .address_space:  global
        .offset:         8
        .size:           8
        .value_kind:     global_buffer
      - .address_space:  global
        .offset:         16
        .size:           8
        .value_kind:     global_buffer
      - .offset:         24
        .size:           32
        .value_kind:     by_value
      - .address_space:  global
        .offset:         56
        .size:           8
        .value_kind:     global_buffer
      - .offset:         64
        .size:           4
        .value_kind:     by_value
      - .offset:         68
        .size:           12
        .value_kind:     by_value
      - .offset:         80
        .size:           4
        .value_kind:     by_value
      - .offset:         84
        .size:           4
        .value_kind:     by_value
      - .offset:         88
        .size:           4
        .value_kind:     by_value
      - .offset:         92
        .size:           12
        .value_kind:     by_value
      - .offset:         104
        .size:           4
        .value_kind:     by_value
      - .offset:         108
        .size:           4
        .value_kind:     by_value
      - .offset:         112
        .size:           4
        .value_kind:     by_value
      - .offset:         116
        .size:           12
        .value_kind:     by_value
      - .offset:         128
        .size:           4
        .value_kind:     by_value
      - .offset:         132
        .size:           4
        .value_kind:     by_value
      - .offset:         136
        .size:           4
        .value_kind:     by_value
      - .offset:         140
        .size:           4
        .value_kind:     by_value
    .group_segment_fixed_size: 1024
    .kernarg_segment_align: 8
    .kernarg_segment_size: 144
    .language:       OpenCL C
    .language_version:
      - 2
      - 0
    .max_flat_workgroup_size: 128
    .name:           _ZL13mul_mat_vec_qIL9ggml_type29ELi1ELb1ELb1EEvPKvS2_PKi31ggml_cuda_mm_fusion_args_devicePfj15HIP_vector_typeIjLj3EEjjjS8_jjjS8_jjjj
    .private_segment_fixed_size: 0
    .sgpr_count:     48
    .sgpr_spill_count: 0
    .symbol:         _ZL13mul_mat_vec_qIL9ggml_type29ELi1ELb1ELb1EEvPKvS2_PKi31ggml_cuda_mm_fusion_args_devicePfj15HIP_vector_typeIjLj3EEjjjS8_jjjS8_jjjj.kd
    .uniform_work_group_size: 1
    .uses_dynamic_stack: false
    .vgpr_count:     60
    .vgpr_spill_count: 0
    .wavefront_size: 64
  - .args:
      - .address_space:  global
        .offset:         0
        .size:           8
        .value_kind:     global_buffer
      - .address_space:  global
        .offset:         8
        .size:           8
        .value_kind:     global_buffer
      - .address_space:  global
        .offset:         16
        .size:           8
        .value_kind:     global_buffer
      - .offset:         24
        .size:           32
        .value_kind:     by_value
      - .address_space:  global
        .offset:         56
        .size:           8
        .value_kind:     global_buffer
      - .offset:         64
        .size:           4
        .value_kind:     by_value
      - .offset:         68
        .size:           12
        .value_kind:     by_value
      - .offset:         80
        .size:           4
        .value_kind:     by_value
      - .offset:         84
        .size:           4
        .value_kind:     by_value
      - .offset:         88
        .size:           4
        .value_kind:     by_value
      - .offset:         92
        .size:           12
        .value_kind:     by_value
      - .offset:         104
        .size:           4
        .value_kind:     by_value
      - .offset:         108
        .size:           4
        .value_kind:     by_value
      - .offset:         112
        .size:           4
        .value_kind:     by_value
      - .offset:         116
        .size:           12
        .value_kind:     by_value
      - .offset:         128
        .size:           4
        .value_kind:     by_value
      - .offset:         132
        .size:           4
        .value_kind:     by_value
      - .offset:         136
        .size:           4
        .value_kind:     by_value
      - .offset:         140
        .size:           4
        .value_kind:     by_value
    .group_segment_fixed_size: 512
    .kernarg_segment_align: 8
    .kernarg_segment_size: 144
    .language:       OpenCL C
    .language_version:
      - 2
      - 0
    .max_flat_workgroup_size: 128
    .name:           _ZL13mul_mat_vec_qIL9ggml_type29ELi1ELb0ELb1EEvPKvS2_PKi31ggml_cuda_mm_fusion_args_devicePfj15HIP_vector_typeIjLj3EEjjjS8_jjjS8_jjjj
    .private_segment_fixed_size: 0
    .sgpr_count:     32
    .sgpr_spill_count: 0
    .symbol:         _ZL13mul_mat_vec_qIL9ggml_type29ELi1ELb0ELb1EEvPKvS2_PKi31ggml_cuda_mm_fusion_args_devicePfj15HIP_vector_typeIjLj3EEjjjS8_jjjS8_jjjj.kd
    .uniform_work_group_size: 1
    .uses_dynamic_stack: false
    .vgpr_count:     40
    .vgpr_spill_count: 0
    .wavefront_size: 64
  - .args:
      - .address_space:  global
        .offset:         0
        .size:           8
        .value_kind:     global_buffer
      - .address_space:  global
        .offset:         8
        .size:           8
        .value_kind:     global_buffer
      - .address_space:  global
        .offset:         16
        .size:           8
        .value_kind:     global_buffer
      - .offset:         24
        .size:           32
        .value_kind:     by_value
      - .address_space:  global
        .offset:         56
        .size:           8
        .value_kind:     global_buffer
      - .offset:         64
        .size:           4
        .value_kind:     by_value
      - .offset:         68
        .size:           12
        .value_kind:     by_value
      - .offset:         80
        .size:           4
        .value_kind:     by_value
      - .offset:         84
        .size:           4
        .value_kind:     by_value
      - .offset:         88
        .size:           4
        .value_kind:     by_value
      - .offset:         92
        .size:           12
        .value_kind:     by_value
      - .offset:         104
        .size:           4
        .value_kind:     by_value
      - .offset:         108
        .size:           4
        .value_kind:     by_value
      - .offset:         112
        .size:           4
        .value_kind:     by_value
      - .offset:         116
        .size:           12
        .value_kind:     by_value
      - .offset:         128
        .size:           4
        .value_kind:     by_value
      - .offset:         132
        .size:           4
        .value_kind:     by_value
      - .offset:         136
        .size:           4
        .value_kind:     by_value
      - .offset:         140
        .size:           4
        .value_kind:     by_value
    .group_segment_fixed_size: 512
    .kernarg_segment_align: 8
    .kernarg_segment_size: 144
    .language:       OpenCL C
    .language_version:
      - 2
      - 0
    .max_flat_workgroup_size: 128
    .name:           _ZL13mul_mat_vec_qIL9ggml_type29ELi1ELb1ELb0EEvPKvS2_PKi31ggml_cuda_mm_fusion_args_devicePfj15HIP_vector_typeIjLj3EEjjjS8_jjjS8_jjjj
    .private_segment_fixed_size: 0
    .sgpr_count:     46
    .sgpr_spill_count: 0
    .symbol:         _ZL13mul_mat_vec_qIL9ggml_type29ELi1ELb1ELb0EEvPKvS2_PKi31ggml_cuda_mm_fusion_args_devicePfj15HIP_vector_typeIjLj3EEjjjS8_jjjS8_jjjj.kd
    .uniform_work_group_size: 1
    .uses_dynamic_stack: false
    .vgpr_count:     55
    .vgpr_spill_count: 0
    .wavefront_size: 64
  - .args:
      - .address_space:  global
        .offset:         0
        .size:           8
        .value_kind:     global_buffer
      - .address_space:  global
        .offset:         8
        .size:           8
        .value_kind:     global_buffer
      - .address_space:  global
        .offset:         16
        .size:           8
        .value_kind:     global_buffer
      - .offset:         24
        .size:           32
        .value_kind:     by_value
      - .address_space:  global
        .offset:         56
        .size:           8
        .value_kind:     global_buffer
      - .offset:         64
        .size:           4
        .value_kind:     by_value
      - .offset:         68
        .size:           12
        .value_kind:     by_value
      - .offset:         80
        .size:           4
        .value_kind:     by_value
      - .offset:         84
        .size:           4
        .value_kind:     by_value
      - .offset:         88
        .size:           4
        .value_kind:     by_value
      - .offset:         92
        .size:           12
        .value_kind:     by_value
      - .offset:         104
        .size:           4
        .value_kind:     by_value
      - .offset:         108
        .size:           4
        .value_kind:     by_value
      - .offset:         112
        .size:           4
        .value_kind:     by_value
      - .offset:         116
        .size:           12
        .value_kind:     by_value
      - .offset:         128
        .size:           4
        .value_kind:     by_value
      - .offset:         132
        .size:           4
        .value_kind:     by_value
      - .offset:         136
        .size:           4
        .value_kind:     by_value
      - .offset:         140
        .size:           4
        .value_kind:     by_value
    .group_segment_fixed_size: 256
    .kernarg_segment_align: 8
    .kernarg_segment_size: 144
    .language:       OpenCL C
    .language_version:
      - 2
      - 0
    .max_flat_workgroup_size: 128
    .name:           _ZL13mul_mat_vec_qIL9ggml_type29ELi1ELb0ELb0EEvPKvS2_PKi31ggml_cuda_mm_fusion_args_devicePfj15HIP_vector_typeIjLj3EEjjjS8_jjjS8_jjjj
    .private_segment_fixed_size: 0
    .sgpr_count:     28
    .sgpr_spill_count: 0
    .symbol:         _ZL13mul_mat_vec_qIL9ggml_type29ELi1ELb0ELb0EEvPKvS2_PKi31ggml_cuda_mm_fusion_args_devicePfj15HIP_vector_typeIjLj3EEjjjS8_jjjS8_jjjj.kd
    .uniform_work_group_size: 1
    .uses_dynamic_stack: false
    .vgpr_count:     31
    .vgpr_spill_count: 0
    .wavefront_size: 64
  - .args:
      - .address_space:  global
        .offset:         0
        .size:           8
        .value_kind:     global_buffer
      - .address_space:  global
        .offset:         8
        .size:           8
        .value_kind:     global_buffer
      - .address_space:  global
        .offset:         16
        .size:           8
        .value_kind:     global_buffer
      - .offset:         24
        .size:           32
        .value_kind:     by_value
      - .address_space:  global
        .offset:         56
        .size:           8
        .value_kind:     global_buffer
      - .offset:         64
        .size:           4
        .value_kind:     by_value
      - .offset:         68
        .size:           12
        .value_kind:     by_value
      - .offset:         80
        .size:           4
        .value_kind:     by_value
      - .offset:         84
        .size:           4
        .value_kind:     by_value
      - .offset:         88
        .size:           4
        .value_kind:     by_value
      - .offset:         92
        .size:           12
        .value_kind:     by_value
      - .offset:         104
        .size:           4
        .value_kind:     by_value
      - .offset:         108
        .size:           4
        .value_kind:     by_value
      - .offset:         112
        .size:           4
        .value_kind:     by_value
      - .offset:         116
        .size:           12
        .value_kind:     by_value
      - .offset:         128
        .size:           4
        .value_kind:     by_value
      - .offset:         132
        .size:           4
        .value_kind:     by_value
      - .offset:         136
        .size:           4
        .value_kind:     by_value
      - .offset:         140
        .size:           4
        .value_kind:     by_value
    .group_segment_fixed_size: 1024
    .kernarg_segment_align: 8
    .kernarg_segment_size: 144
    .language:       OpenCL C
    .language_version:
      - 2
      - 0
    .max_flat_workgroup_size: 128
    .name:           _ZL13mul_mat_vec_qIL9ggml_type29ELi2ELb0ELb0EEvPKvS2_PKi31ggml_cuda_mm_fusion_args_devicePfj15HIP_vector_typeIjLj3EEjjjS8_jjjS8_jjjj
    .private_segment_fixed_size: 0
    .sgpr_count:     30
    .sgpr_spill_count: 0
    .symbol:         _ZL13mul_mat_vec_qIL9ggml_type29ELi2ELb0ELb0EEvPKvS2_PKi31ggml_cuda_mm_fusion_args_devicePfj15HIP_vector_typeIjLj3EEjjjS8_jjjS8_jjjj.kd
    .uniform_work_group_size: 1
    .uses_dynamic_stack: false
    .vgpr_count:     64
    .vgpr_spill_count: 0
    .wavefront_size: 64
  - .args:
      - .address_space:  global
        .offset:         0
        .size:           8
        .value_kind:     global_buffer
      - .address_space:  global
        .offset:         8
        .size:           8
        .value_kind:     global_buffer
      - .address_space:  global
        .offset:         16
        .size:           8
        .value_kind:     global_buffer
      - .offset:         24
        .size:           32
        .value_kind:     by_value
      - .address_space:  global
        .offset:         56
        .size:           8
        .value_kind:     global_buffer
      - .offset:         64
        .size:           4
        .value_kind:     by_value
      - .offset:         68
        .size:           12
        .value_kind:     by_value
      - .offset:         80
        .size:           4
        .value_kind:     by_value
      - .offset:         84
        .size:           4
        .value_kind:     by_value
      - .offset:         88
        .size:           4
        .value_kind:     by_value
      - .offset:         92
        .size:           12
        .value_kind:     by_value
      - .offset:         104
        .size:           4
        .value_kind:     by_value
      - .offset:         108
        .size:           4
        .value_kind:     by_value
      - .offset:         112
        .size:           4
        .value_kind:     by_value
      - .offset:         116
        .size:           12
        .value_kind:     by_value
      - .offset:         128
        .size:           4
        .value_kind:     by_value
      - .offset:         132
        .size:           4
        .value_kind:     by_value
      - .offset:         136
        .size:           4
        .value_kind:     by_value
      - .offset:         140
        .size:           4
        .value_kind:     by_value
    .group_segment_fixed_size: 1536
    .kernarg_segment_align: 8
    .kernarg_segment_size: 144
    .language:       OpenCL C
    .language_version:
      - 2
      - 0
    .max_flat_workgroup_size: 128
    .name:           _ZL13mul_mat_vec_qIL9ggml_type29ELi3ELb0ELb0EEvPKvS2_PKi31ggml_cuda_mm_fusion_args_devicePfj15HIP_vector_typeIjLj3EEjjjS8_jjjS8_jjjj
    .private_segment_fixed_size: 0
    .sgpr_count:     30
    .sgpr_spill_count: 0
    .symbol:         _ZL13mul_mat_vec_qIL9ggml_type29ELi3ELb0ELb0EEvPKvS2_PKi31ggml_cuda_mm_fusion_args_devicePfj15HIP_vector_typeIjLj3EEjjjS8_jjjS8_jjjj.kd
    .uniform_work_group_size: 1
    .uses_dynamic_stack: false
    .vgpr_count:     84
    .vgpr_spill_count: 0
    .wavefront_size: 64
  - .args:
      - .address_space:  global
        .offset:         0
        .size:           8
        .value_kind:     global_buffer
      - .address_space:  global
        .offset:         8
        .size:           8
        .value_kind:     global_buffer
      - .address_space:  global
        .offset:         16
        .size:           8
        .value_kind:     global_buffer
      - .offset:         24
        .size:           32
        .value_kind:     by_value
      - .address_space:  global
        .offset:         56
        .size:           8
        .value_kind:     global_buffer
      - .offset:         64
        .size:           4
        .value_kind:     by_value
      - .offset:         68
        .size:           12
        .value_kind:     by_value
      - .offset:         80
        .size:           4
        .value_kind:     by_value
      - .offset:         84
        .size:           4
        .value_kind:     by_value
      - .offset:         88
        .size:           4
        .value_kind:     by_value
      - .offset:         92
        .size:           12
        .value_kind:     by_value
      - .offset:         104
        .size:           4
        .value_kind:     by_value
      - .offset:         108
        .size:           4
        .value_kind:     by_value
      - .offset:         112
        .size:           4
        .value_kind:     by_value
      - .offset:         116
        .size:           12
        .value_kind:     by_value
      - .offset:         128
        .size:           4
        .value_kind:     by_value
      - .offset:         132
        .size:           4
        .value_kind:     by_value
      - .offset:         136
        .size:           4
        .value_kind:     by_value
      - .offset:         140
        .size:           4
        .value_kind:     by_value
    .group_segment_fixed_size: 2048
    .kernarg_segment_align: 8
    .kernarg_segment_size: 144
    .language:       OpenCL C
    .language_version:
      - 2
      - 0
    .max_flat_workgroup_size: 128
    .name:           _ZL13mul_mat_vec_qIL9ggml_type29ELi4ELb0ELb0EEvPKvS2_PKi31ggml_cuda_mm_fusion_args_devicePfj15HIP_vector_typeIjLj3EEjjjS8_jjjS8_jjjj
    .private_segment_fixed_size: 0
    .sgpr_count:     30
    .sgpr_spill_count: 0
    .symbol:         _ZL13mul_mat_vec_qIL9ggml_type29ELi4ELb0ELb0EEvPKvS2_PKi31ggml_cuda_mm_fusion_args_devicePfj15HIP_vector_typeIjLj3EEjjjS8_jjjS8_jjjj.kd
    .uniform_work_group_size: 1
    .uses_dynamic_stack: false
    .vgpr_count:     72
    .vgpr_spill_count: 0
    .wavefront_size: 64
  - .args:
      - .address_space:  global
        .offset:         0
        .size:           8
        .value_kind:     global_buffer
      - .address_space:  global
        .offset:         8
        .size:           8
        .value_kind:     global_buffer
      - .address_space:  global
        .offset:         16
        .size:           8
        .value_kind:     global_buffer
      - .offset:         24
        .size:           32
        .value_kind:     by_value
      - .address_space:  global
        .offset:         56
        .size:           8
        .value_kind:     global_buffer
      - .offset:         64
        .size:           4
        .value_kind:     by_value
      - .offset:         68
        .size:           12
        .value_kind:     by_value
      - .offset:         80
        .size:           4
        .value_kind:     by_value
      - .offset:         84
        .size:           4
        .value_kind:     by_value
      - .offset:         88
        .size:           4
        .value_kind:     by_value
      - .offset:         92
        .size:           12
        .value_kind:     by_value
      - .offset:         104
        .size:           4
        .value_kind:     by_value
      - .offset:         108
        .size:           4
        .value_kind:     by_value
      - .offset:         112
        .size:           4
        .value_kind:     by_value
      - .offset:         116
        .size:           12
        .value_kind:     by_value
      - .offset:         128
        .size:           4
        .value_kind:     by_value
      - .offset:         132
        .size:           4
        .value_kind:     by_value
      - .offset:         136
        .size:           4
        .value_kind:     by_value
      - .offset:         140
        .size:           4
        .value_kind:     by_value
    .group_segment_fixed_size: 0
    .kernarg_segment_align: 8
    .kernarg_segment_size: 144
    .language:       OpenCL C
    .language_version:
      - 2
      - 0
    .max_flat_workgroup_size: 64
    .name:           _ZL13mul_mat_vec_qIL9ggml_type29ELi5ELb0ELb0EEvPKvS2_PKi31ggml_cuda_mm_fusion_args_devicePfj15HIP_vector_typeIjLj3EEjjjS8_jjjS8_jjjj
    .private_segment_fixed_size: 0
    .sgpr_count:     34
    .sgpr_spill_count: 0
    .symbol:         _ZL13mul_mat_vec_qIL9ggml_type29ELi5ELb0ELb0EEvPKvS2_PKi31ggml_cuda_mm_fusion_args_devicePfj15HIP_vector_typeIjLj3EEjjjS8_jjjS8_jjjj.kd
    .uniform_work_group_size: 1
    .uses_dynamic_stack: false
    .vgpr_count:     72
    .vgpr_spill_count: 0
    .wavefront_size: 64
  - .args:
      - .address_space:  global
        .offset:         0
        .size:           8
        .value_kind:     global_buffer
      - .address_space:  global
        .offset:         8
        .size:           8
        .value_kind:     global_buffer
      - .address_space:  global
        .offset:         16
        .size:           8
        .value_kind:     global_buffer
      - .offset:         24
        .size:           32
        .value_kind:     by_value
      - .address_space:  global
        .offset:         56
        .size:           8
        .value_kind:     global_buffer
      - .offset:         64
        .size:           4
        .value_kind:     by_value
      - .offset:         68
        .size:           12
        .value_kind:     by_value
      - .offset:         80
        .size:           4
        .value_kind:     by_value
      - .offset:         84
        .size:           4
        .value_kind:     by_value
      - .offset:         88
        .size:           4
        .value_kind:     by_value
      - .offset:         92
        .size:           12
        .value_kind:     by_value
      - .offset:         104
        .size:           4
        .value_kind:     by_value
      - .offset:         108
        .size:           4
        .value_kind:     by_value
      - .offset:         112
        .size:           4
        .value_kind:     by_value
      - .offset:         116
        .size:           12
        .value_kind:     by_value
      - .offset:         128
        .size:           4
        .value_kind:     by_value
      - .offset:         132
        .size:           4
        .value_kind:     by_value
      - .offset:         136
        .size:           4
        .value_kind:     by_value
      - .offset:         140
        .size:           4
        .value_kind:     by_value
    .group_segment_fixed_size: 0
    .kernarg_segment_align: 8
    .kernarg_segment_size: 144
    .language:       OpenCL C
    .language_version:
      - 2
      - 0
    .max_flat_workgroup_size: 64
    .name:           _ZL13mul_mat_vec_qIL9ggml_type29ELi6ELb0ELb0EEvPKvS2_PKi31ggml_cuda_mm_fusion_args_devicePfj15HIP_vector_typeIjLj3EEjjjS8_jjjS8_jjjj
    .private_segment_fixed_size: 0
    .sgpr_count:     36
    .sgpr_spill_count: 0
    .symbol:         _ZL13mul_mat_vec_qIL9ggml_type29ELi6ELb0ELb0EEvPKvS2_PKi31ggml_cuda_mm_fusion_args_devicePfj15HIP_vector_typeIjLj3EEjjjS8_jjjS8_jjjj.kd
    .uniform_work_group_size: 1
    .uses_dynamic_stack: false
    .vgpr_count:     74
    .vgpr_spill_count: 0
    .wavefront_size: 64
  - .args:
      - .address_space:  global
        .offset:         0
        .size:           8
        .value_kind:     global_buffer
      - .address_space:  global
        .offset:         8
        .size:           8
        .value_kind:     global_buffer
      - .address_space:  global
        .offset:         16
        .size:           8
        .value_kind:     global_buffer
      - .offset:         24
        .size:           32
        .value_kind:     by_value
      - .address_space:  global
        .offset:         56
        .size:           8
        .value_kind:     global_buffer
      - .offset:         64
        .size:           4
        .value_kind:     by_value
      - .offset:         68
        .size:           12
        .value_kind:     by_value
      - .offset:         80
        .size:           4
        .value_kind:     by_value
      - .offset:         84
        .size:           4
        .value_kind:     by_value
      - .offset:         88
        .size:           4
        .value_kind:     by_value
      - .offset:         92
        .size:           12
        .value_kind:     by_value
      - .offset:         104
        .size:           4
        .value_kind:     by_value
      - .offset:         108
        .size:           4
        .value_kind:     by_value
      - .offset:         112
        .size:           4
        .value_kind:     by_value
      - .offset:         116
        .size:           12
        .value_kind:     by_value
      - .offset:         128
        .size:           4
        .value_kind:     by_value
      - .offset:         132
        .size:           4
        .value_kind:     by_value
      - .offset:         136
        .size:           4
        .value_kind:     by_value
      - .offset:         140
        .size:           4
        .value_kind:     by_value
    .group_segment_fixed_size: 0
    .kernarg_segment_align: 8
    .kernarg_segment_size: 144
    .language:       OpenCL C
    .language_version:
      - 2
      - 0
    .max_flat_workgroup_size: 64
    .name:           _ZL13mul_mat_vec_qIL9ggml_type29ELi7ELb0ELb0EEvPKvS2_PKi31ggml_cuda_mm_fusion_args_devicePfj15HIP_vector_typeIjLj3EEjjjS8_jjjS8_jjjj
    .private_segment_fixed_size: 0
    .sgpr_count:     36
    .sgpr_spill_count: 0
    .symbol:         _ZL13mul_mat_vec_qIL9ggml_type29ELi7ELb0ELb0EEvPKvS2_PKi31ggml_cuda_mm_fusion_args_devicePfj15HIP_vector_typeIjLj3EEjjjS8_jjjS8_jjjj.kd
    .uniform_work_group_size: 1
    .uses_dynamic_stack: false
    .vgpr_count:     76
    .vgpr_spill_count: 0
    .wavefront_size: 64
  - .args:
      - .address_space:  global
        .offset:         0
        .size:           8
        .value_kind:     global_buffer
      - .address_space:  global
        .offset:         8
        .size:           8
        .value_kind:     global_buffer
      - .address_space:  global
        .offset:         16
        .size:           8
        .value_kind:     global_buffer
      - .offset:         24
        .size:           32
        .value_kind:     by_value
      - .address_space:  global
        .offset:         56
        .size:           8
        .value_kind:     global_buffer
      - .offset:         64
        .size:           4
        .value_kind:     by_value
      - .offset:         68
        .size:           12
        .value_kind:     by_value
      - .offset:         80
        .size:           4
        .value_kind:     by_value
      - .offset:         84
        .size:           4
        .value_kind:     by_value
      - .offset:         88
        .size:           4
        .value_kind:     by_value
      - .offset:         92
        .size:           12
        .value_kind:     by_value
      - .offset:         104
        .size:           4
        .value_kind:     by_value
      - .offset:         108
        .size:           4
        .value_kind:     by_value
      - .offset:         112
        .size:           4
        .value_kind:     by_value
      - .offset:         116
        .size:           12
        .value_kind:     by_value
      - .offset:         128
        .size:           4
        .value_kind:     by_value
      - .offset:         132
        .size:           4
        .value_kind:     by_value
      - .offset:         136
        .size:           4
        .value_kind:     by_value
      - .offset:         140
        .size:           4
        .value_kind:     by_value
    .group_segment_fixed_size: 0
    .kernarg_segment_align: 8
    .kernarg_segment_size: 144
    .language:       OpenCL C
    .language_version:
      - 2
      - 0
    .max_flat_workgroup_size: 64
    .name:           _ZL13mul_mat_vec_qIL9ggml_type29ELi8ELb0ELb0EEvPKvS2_PKi31ggml_cuda_mm_fusion_args_devicePfj15HIP_vector_typeIjLj3EEjjjS8_jjjS8_jjjj
    .private_segment_fixed_size: 0
    .sgpr_count:     36
    .sgpr_spill_count: 0
    .symbol:         _ZL13mul_mat_vec_qIL9ggml_type29ELi8ELb0ELb0EEvPKvS2_PKi31ggml_cuda_mm_fusion_args_devicePfj15HIP_vector_typeIjLj3EEjjjS8_jjjS8_jjjj.kd
    .uniform_work_group_size: 1
    .uses_dynamic_stack: false
    .vgpr_count:     78
    .vgpr_spill_count: 0
    .wavefront_size: 64
  - .args:
      - .address_space:  global
        .offset:         0
        .size:           8
        .value_kind:     global_buffer
      - .address_space:  global
        .offset:         8
        .size:           8
        .value_kind:     global_buffer
      - .address_space:  global
        .offset:         16
        .size:           8
        .value_kind:     global_buffer
      - .address_space:  global
        .offset:         24
        .size:           8
        .value_kind:     global_buffer
      - .offset:         32
        .size:           4
        .value_kind:     by_value
      - .offset:         36
        .size:           12
        .value_kind:     by_value
      - .offset:         48
        .size:           4
        .value_kind:     by_value
      - .offset:         52
        .size:           4
        .value_kind:     by_value
      - .offset:         56
        .size:           4
        .value_kind:     by_value
      - .offset:         60
        .size:           4
        .value_kind:     by_value
      - .offset:         64
        .size:           4
        .value_kind:     by_value
      - .offset:         68
        .size:           4
        .value_kind:     by_value
      - .offset:         72
        .size:           4
        .value_kind:     by_value
      - .offset:         76
        .size:           4
        .value_kind:     by_value
      - .offset:         80
        .size:           4
        .value_kind:     by_value
    .group_segment_fixed_size: 0
    .kernarg_segment_align: 8
    .kernarg_segment_size: 84
    .language:       OpenCL C
    .language_version:
      - 2
      - 0
    .max_flat_workgroup_size: 384
    .name:           _ZL17mul_mat_vec_q_moeIL9ggml_type20ELi2EEvPKvS2_PKiPfj15HIP_vector_typeIjLj3EEjjjjjjjjj
    .private_segment_fixed_size: 0
    .sgpr_count:     31
    .sgpr_spill_count: 0
    .symbol:         _ZL17mul_mat_vec_q_moeIL9ggml_type20ELi2EEvPKvS2_PKiPfj15HIP_vector_typeIjLj3EEjjjjjjjjj.kd
    .uniform_work_group_size: 1
    .uses_dynamic_stack: false
    .vgpr_count:     31
    .vgpr_spill_count: 0
    .wavefront_size: 64
  - .args:
      - .address_space:  global
        .offset:         0
        .size:           8
        .value_kind:     global_buffer
      - .address_space:  global
        .offset:         8
        .size:           8
        .value_kind:     global_buffer
      - .address_space:  global
        .offset:         16
        .size:           8
        .value_kind:     global_buffer
      - .offset:         24
        .size:           32
        .value_kind:     by_value
      - .address_space:  global
        .offset:         56
        .size:           8
        .value_kind:     global_buffer
      - .offset:         64
        .size:           4
        .value_kind:     by_value
      - .offset:         68
        .size:           12
        .value_kind:     by_value
      - .offset:         80
        .size:           4
        .value_kind:     by_value
      - .offset:         84
        .size:           4
        .value_kind:     by_value
      - .offset:         88
        .size:           4
        .value_kind:     by_value
      - .offset:         92
        .size:           12
        .value_kind:     by_value
      - .offset:         104
        .size:           4
        .value_kind:     by_value
      - .offset:         108
        .size:           4
        .value_kind:     by_value
      - .offset:         112
        .size:           4
        .value_kind:     by_value
      - .offset:         116
        .size:           12
        .value_kind:     by_value
      - .offset:         128
        .size:           4
        .value_kind:     by_value
      - .offset:         132
        .size:           4
        .value_kind:     by_value
      - .offset:         136
        .size:           4
        .value_kind:     by_value
      - .offset:         140
        .size:           4
        .value_kind:     by_value
    .group_segment_fixed_size: 1024
    .kernarg_segment_align: 8
    .kernarg_segment_size: 144
    .language:       OpenCL C
    .language_version:
      - 2
      - 0
    .max_flat_workgroup_size: 128
    .name:           _ZL13mul_mat_vec_qIL9ggml_type20ELi1ELb1ELb1EEvPKvS2_PKi31ggml_cuda_mm_fusion_args_devicePfj15HIP_vector_typeIjLj3EEjjjS8_jjjS8_jjjj
    .private_segment_fixed_size: 0
    .sgpr_count:     48
    .sgpr_spill_count: 0
    .symbol:         _ZL13mul_mat_vec_qIL9ggml_type20ELi1ELb1ELb1EEvPKvS2_PKi31ggml_cuda_mm_fusion_args_devicePfj15HIP_vector_typeIjLj3EEjjjS8_jjjS8_jjjj.kd
    .uniform_work_group_size: 1
    .uses_dynamic_stack: false
    .vgpr_count:     37
    .vgpr_spill_count: 0
    .wavefront_size: 64
  - .args:
      - .address_space:  global
        .offset:         0
        .size:           8
        .value_kind:     global_buffer
      - .address_space:  global
        .offset:         8
        .size:           8
        .value_kind:     global_buffer
      - .address_space:  global
        .offset:         16
        .size:           8
        .value_kind:     global_buffer
      - .offset:         24
        .size:           32
        .value_kind:     by_value
      - .address_space:  global
        .offset:         56
        .size:           8
        .value_kind:     global_buffer
      - .offset:         64
        .size:           4
        .value_kind:     by_value
      - .offset:         68
        .size:           12
        .value_kind:     by_value
      - .offset:         80
        .size:           4
        .value_kind:     by_value
      - .offset:         84
        .size:           4
        .value_kind:     by_value
      - .offset:         88
        .size:           4
        .value_kind:     by_value
      - .offset:         92
        .size:           12
        .value_kind:     by_value
      - .offset:         104
        .size:           4
        .value_kind:     by_value
      - .offset:         108
        .size:           4
        .value_kind:     by_value
      - .offset:         112
        .size:           4
        .value_kind:     by_value
      - .offset:         116
        .size:           12
        .value_kind:     by_value
      - .offset:         128
        .size:           4
        .value_kind:     by_value
      - .offset:         132
        .size:           4
        .value_kind:     by_value
      - .offset:         136
        .size:           4
        .value_kind:     by_value
      - .offset:         140
        .size:           4
        .value_kind:     by_value
    .group_segment_fixed_size: 512
    .kernarg_segment_align: 8
    .kernarg_segment_size: 144
    .language:       OpenCL C
    .language_version:
      - 2
      - 0
    .max_flat_workgroup_size: 128
    .name:           _ZL13mul_mat_vec_qIL9ggml_type20ELi1ELb0ELb1EEvPKvS2_PKi31ggml_cuda_mm_fusion_args_devicePfj15HIP_vector_typeIjLj3EEjjjS8_jjjS8_jjjj
    .private_segment_fixed_size: 0
    .sgpr_count:     28
    .sgpr_spill_count: 0
    .symbol:         _ZL13mul_mat_vec_qIL9ggml_type20ELi1ELb0ELb1EEvPKvS2_PKi31ggml_cuda_mm_fusion_args_devicePfj15HIP_vector_typeIjLj3EEjjjS8_jjjS8_jjjj.kd
    .uniform_work_group_size: 1
    .uses_dynamic_stack: false
    .vgpr_count:     28
    .vgpr_spill_count: 0
    .wavefront_size: 64
  - .args:
      - .address_space:  global
        .offset:         0
        .size:           8
        .value_kind:     global_buffer
      - .address_space:  global
        .offset:         8
        .size:           8
        .value_kind:     global_buffer
      - .address_space:  global
        .offset:         16
        .size:           8
        .value_kind:     global_buffer
      - .offset:         24
        .size:           32
        .value_kind:     by_value
      - .address_space:  global
        .offset:         56
        .size:           8
        .value_kind:     global_buffer
      - .offset:         64
        .size:           4
        .value_kind:     by_value
      - .offset:         68
        .size:           12
        .value_kind:     by_value
      - .offset:         80
        .size:           4
        .value_kind:     by_value
      - .offset:         84
        .size:           4
        .value_kind:     by_value
      - .offset:         88
        .size:           4
        .value_kind:     by_value
      - .offset:         92
        .size:           12
        .value_kind:     by_value
      - .offset:         104
        .size:           4
        .value_kind:     by_value
      - .offset:         108
        .size:           4
        .value_kind:     by_value
      - .offset:         112
        .size:           4
        .value_kind:     by_value
      - .offset:         116
        .size:           12
        .value_kind:     by_value
      - .offset:         128
        .size:           4
        .value_kind:     by_value
      - .offset:         132
        .size:           4
        .value_kind:     by_value
      - .offset:         136
        .size:           4
        .value_kind:     by_value
      - .offset:         140
        .size:           4
        .value_kind:     by_value
    .group_segment_fixed_size: 512
    .kernarg_segment_align: 8
    .kernarg_segment_size: 144
    .language:       OpenCL C
    .language_version:
      - 2
      - 0
    .max_flat_workgroup_size: 128
    .name:           _ZL13mul_mat_vec_qIL9ggml_type20ELi1ELb1ELb0EEvPKvS2_PKi31ggml_cuda_mm_fusion_args_devicePfj15HIP_vector_typeIjLj3EEjjjS8_jjjS8_jjjj
    .private_segment_fixed_size: 0
    .sgpr_count:     48
    .sgpr_spill_count: 0
    .symbol:         _ZL13mul_mat_vec_qIL9ggml_type20ELi1ELb1ELb0EEvPKvS2_PKi31ggml_cuda_mm_fusion_args_devicePfj15HIP_vector_typeIjLj3EEjjjS8_jjjS8_jjjj.kd
    .uniform_work_group_size: 1
    .uses_dynamic_stack: false
    .vgpr_count:     31
    .vgpr_spill_count: 0
    .wavefront_size: 64
  - .args:
      - .address_space:  global
        .offset:         0
        .size:           8
        .value_kind:     global_buffer
      - .address_space:  global
        .offset:         8
        .size:           8
        .value_kind:     global_buffer
      - .address_space:  global
        .offset:         16
        .size:           8
        .value_kind:     global_buffer
      - .offset:         24
        .size:           32
        .value_kind:     by_value
      - .address_space:  global
        .offset:         56
        .size:           8
        .value_kind:     global_buffer
      - .offset:         64
        .size:           4
        .value_kind:     by_value
      - .offset:         68
        .size:           12
        .value_kind:     by_value
      - .offset:         80
        .size:           4
        .value_kind:     by_value
      - .offset:         84
        .size:           4
        .value_kind:     by_value
      - .offset:         88
        .size:           4
        .value_kind:     by_value
      - .offset:         92
        .size:           12
        .value_kind:     by_value
      - .offset:         104
        .size:           4
        .value_kind:     by_value
      - .offset:         108
        .size:           4
        .value_kind:     by_value
      - .offset:         112
        .size:           4
        .value_kind:     by_value
      - .offset:         116
        .size:           12
        .value_kind:     by_value
      - .offset:         128
        .size:           4
        .value_kind:     by_value
      - .offset:         132
        .size:           4
        .value_kind:     by_value
      - .offset:         136
        .size:           4
        .value_kind:     by_value
      - .offset:         140
        .size:           4
        .value_kind:     by_value
    .group_segment_fixed_size: 256
    .kernarg_segment_align: 8
    .kernarg_segment_size: 144
    .language:       OpenCL C
    .language_version:
      - 2
      - 0
    .max_flat_workgroup_size: 128
    .name:           _ZL13mul_mat_vec_qIL9ggml_type20ELi1ELb0ELb0EEvPKvS2_PKi31ggml_cuda_mm_fusion_args_devicePfj15HIP_vector_typeIjLj3EEjjjS8_jjjS8_jjjj
    .private_segment_fixed_size: 0
    .sgpr_count:     28
    .sgpr_spill_count: 0
    .symbol:         _ZL13mul_mat_vec_qIL9ggml_type20ELi1ELb0ELb0EEvPKvS2_PKi31ggml_cuda_mm_fusion_args_devicePfj15HIP_vector_typeIjLj3EEjjjS8_jjjS8_jjjj.kd
    .uniform_work_group_size: 1
    .uses_dynamic_stack: false
    .vgpr_count:     23
    .vgpr_spill_count: 0
    .wavefront_size: 64
  - .args:
      - .address_space:  global
        .offset:         0
        .size:           8
        .value_kind:     global_buffer
      - .address_space:  global
        .offset:         8
        .size:           8
        .value_kind:     global_buffer
      - .address_space:  global
        .offset:         16
        .size:           8
        .value_kind:     global_buffer
      - .offset:         24
        .size:           32
        .value_kind:     by_value
      - .address_space:  global
        .offset:         56
        .size:           8
        .value_kind:     global_buffer
      - .offset:         64
        .size:           4
        .value_kind:     by_value
      - .offset:         68
        .size:           12
        .value_kind:     by_value
      - .offset:         80
        .size:           4
        .value_kind:     by_value
      - .offset:         84
        .size:           4
        .value_kind:     by_value
      - .offset:         88
        .size:           4
        .value_kind:     by_value
      - .offset:         92
        .size:           12
        .value_kind:     by_value
      - .offset:         104
        .size:           4
        .value_kind:     by_value
      - .offset:         108
        .size:           4
        .value_kind:     by_value
      - .offset:         112
        .size:           4
        .value_kind:     by_value
      - .offset:         116
        .size:           12
        .value_kind:     by_value
      - .offset:         128
        .size:           4
        .value_kind:     by_value
      - .offset:         132
        .size:           4
        .value_kind:     by_value
      - .offset:         136
        .size:           4
        .value_kind:     by_value
      - .offset:         140
        .size:           4
        .value_kind:     by_value
    .group_segment_fixed_size: 1024
    .kernarg_segment_align: 8
    .kernarg_segment_size: 144
    .language:       OpenCL C
    .language_version:
      - 2
      - 0
    .max_flat_workgroup_size: 128
    .name:           _ZL13mul_mat_vec_qIL9ggml_type20ELi2ELb0ELb0EEvPKvS2_PKi31ggml_cuda_mm_fusion_args_devicePfj15HIP_vector_typeIjLj3EEjjjS8_jjjS8_jjjj
    .private_segment_fixed_size: 0
    .sgpr_count:     30
    .sgpr_spill_count: 0
    .symbol:         _ZL13mul_mat_vec_qIL9ggml_type20ELi2ELb0ELb0EEvPKvS2_PKi31ggml_cuda_mm_fusion_args_devicePfj15HIP_vector_typeIjLj3EEjjjS8_jjjS8_jjjj.kd
    .uniform_work_group_size: 1
    .uses_dynamic_stack: false
    .vgpr_count:     36
    .vgpr_spill_count: 0
    .wavefront_size: 64
  - .args:
      - .address_space:  global
        .offset:         0
        .size:           8
        .value_kind:     global_buffer
      - .address_space:  global
        .offset:         8
        .size:           8
        .value_kind:     global_buffer
      - .address_space:  global
        .offset:         16
        .size:           8
        .value_kind:     global_buffer
      - .offset:         24
        .size:           32
        .value_kind:     by_value
      - .address_space:  global
        .offset:         56
        .size:           8
        .value_kind:     global_buffer
      - .offset:         64
        .size:           4
        .value_kind:     by_value
      - .offset:         68
        .size:           12
        .value_kind:     by_value
      - .offset:         80
        .size:           4
        .value_kind:     by_value
      - .offset:         84
        .size:           4
        .value_kind:     by_value
      - .offset:         88
        .size:           4
        .value_kind:     by_value
      - .offset:         92
        .size:           12
        .value_kind:     by_value
      - .offset:         104
        .size:           4
        .value_kind:     by_value
      - .offset:         108
        .size:           4
        .value_kind:     by_value
      - .offset:         112
        .size:           4
        .value_kind:     by_value
      - .offset:         116
        .size:           12
        .value_kind:     by_value
      - .offset:         128
        .size:           4
        .value_kind:     by_value
      - .offset:         132
        .size:           4
        .value_kind:     by_value
      - .offset:         136
        .size:           4
        .value_kind:     by_value
      - .offset:         140
        .size:           4
        .value_kind:     by_value
    .group_segment_fixed_size: 1536
    .kernarg_segment_align: 8
    .kernarg_segment_size: 144
    .language:       OpenCL C
    .language_version:
      - 2
      - 0
    .max_flat_workgroup_size: 128
    .name:           _ZL13mul_mat_vec_qIL9ggml_type20ELi3ELb0ELb0EEvPKvS2_PKi31ggml_cuda_mm_fusion_args_devicePfj15HIP_vector_typeIjLj3EEjjjS8_jjjS8_jjjj
    .private_segment_fixed_size: 0
    .sgpr_count:     30
    .sgpr_spill_count: 0
    .symbol:         _ZL13mul_mat_vec_qIL9ggml_type20ELi3ELb0ELb0EEvPKvS2_PKi31ggml_cuda_mm_fusion_args_devicePfj15HIP_vector_typeIjLj3EEjjjS8_jjjS8_jjjj.kd
    .uniform_work_group_size: 1
    .uses_dynamic_stack: false
    .vgpr_count:     35
    .vgpr_spill_count: 0
    .wavefront_size: 64
  - .args:
      - .address_space:  global
        .offset:         0
        .size:           8
        .value_kind:     global_buffer
      - .address_space:  global
        .offset:         8
        .size:           8
        .value_kind:     global_buffer
      - .address_space:  global
        .offset:         16
        .size:           8
        .value_kind:     global_buffer
      - .offset:         24
        .size:           32
        .value_kind:     by_value
      - .address_space:  global
        .offset:         56
        .size:           8
        .value_kind:     global_buffer
      - .offset:         64
        .size:           4
        .value_kind:     by_value
      - .offset:         68
        .size:           12
        .value_kind:     by_value
      - .offset:         80
        .size:           4
        .value_kind:     by_value
      - .offset:         84
        .size:           4
        .value_kind:     by_value
      - .offset:         88
        .size:           4
        .value_kind:     by_value
      - .offset:         92
        .size:           12
        .value_kind:     by_value
      - .offset:         104
        .size:           4
        .value_kind:     by_value
      - .offset:         108
        .size:           4
        .value_kind:     by_value
      - .offset:         112
        .size:           4
        .value_kind:     by_value
      - .offset:         116
        .size:           12
        .value_kind:     by_value
      - .offset:         128
        .size:           4
        .value_kind:     by_value
      - .offset:         132
        .size:           4
        .value_kind:     by_value
      - .offset:         136
        .size:           4
        .value_kind:     by_value
      - .offset:         140
        .size:           4
        .value_kind:     by_value
    .group_segment_fixed_size: 2048
    .kernarg_segment_align: 8
    .kernarg_segment_size: 144
    .language:       OpenCL C
    .language_version:
      - 2
      - 0
    .max_flat_workgroup_size: 128
    .name:           _ZL13mul_mat_vec_qIL9ggml_type20ELi4ELb0ELb0EEvPKvS2_PKi31ggml_cuda_mm_fusion_args_devicePfj15HIP_vector_typeIjLj3EEjjjS8_jjjS8_jjjj
    .private_segment_fixed_size: 0
    .sgpr_count:     30
    .sgpr_spill_count: 0
    .symbol:         _ZL13mul_mat_vec_qIL9ggml_type20ELi4ELb0ELb0EEvPKvS2_PKi31ggml_cuda_mm_fusion_args_devicePfj15HIP_vector_typeIjLj3EEjjjS8_jjjS8_jjjj.kd
    .uniform_work_group_size: 1
    .uses_dynamic_stack: false
    .vgpr_count:     37
    .vgpr_spill_count: 0
    .wavefront_size: 64
  - .args:
      - .address_space:  global
        .offset:         0
        .size:           8
        .value_kind:     global_buffer
      - .address_space:  global
        .offset:         8
        .size:           8
        .value_kind:     global_buffer
      - .address_space:  global
        .offset:         16
        .size:           8
        .value_kind:     global_buffer
      - .offset:         24
        .size:           32
        .value_kind:     by_value
      - .address_space:  global
        .offset:         56
        .size:           8
        .value_kind:     global_buffer
      - .offset:         64
        .size:           4
        .value_kind:     by_value
      - .offset:         68
        .size:           12
        .value_kind:     by_value
      - .offset:         80
        .size:           4
        .value_kind:     by_value
      - .offset:         84
        .size:           4
        .value_kind:     by_value
      - .offset:         88
        .size:           4
        .value_kind:     by_value
      - .offset:         92
        .size:           12
        .value_kind:     by_value
      - .offset:         104
        .size:           4
        .value_kind:     by_value
      - .offset:         108
        .size:           4
        .value_kind:     by_value
      - .offset:         112
        .size:           4
        .value_kind:     by_value
      - .offset:         116
        .size:           12
        .value_kind:     by_value
      - .offset:         128
        .size:           4
        .value_kind:     by_value
      - .offset:         132
        .size:           4
        .value_kind:     by_value
      - .offset:         136
        .size:           4
        .value_kind:     by_value
      - .offset:         140
        .size:           4
        .value_kind:     by_value
    .group_segment_fixed_size: 0
    .kernarg_segment_align: 8
    .kernarg_segment_size: 144
    .language:       OpenCL C
    .language_version:
      - 2
      - 0
    .max_flat_workgroup_size: 64
    .name:           _ZL13mul_mat_vec_qIL9ggml_type20ELi5ELb0ELb0EEvPKvS2_PKi31ggml_cuda_mm_fusion_args_devicePfj15HIP_vector_typeIjLj3EEjjjS8_jjjS8_jjjj
    .private_segment_fixed_size: 0
    .sgpr_count:     32
    .sgpr_spill_count: 0
    .symbol:         _ZL13mul_mat_vec_qIL9ggml_type20ELi5ELb0ELb0EEvPKvS2_PKi31ggml_cuda_mm_fusion_args_devicePfj15HIP_vector_typeIjLj3EEjjjS8_jjjS8_jjjj.kd
    .uniform_work_group_size: 1
    .uses_dynamic_stack: false
    .vgpr_count:     39
    .vgpr_spill_count: 0
    .wavefront_size: 64
  - .args:
      - .address_space:  global
        .offset:         0
        .size:           8
        .value_kind:     global_buffer
      - .address_space:  global
        .offset:         8
        .size:           8
        .value_kind:     global_buffer
      - .address_space:  global
        .offset:         16
        .size:           8
        .value_kind:     global_buffer
      - .offset:         24
        .size:           32
        .value_kind:     by_value
      - .address_space:  global
        .offset:         56
        .size:           8
        .value_kind:     global_buffer
      - .offset:         64
        .size:           4
        .value_kind:     by_value
      - .offset:         68
        .size:           12
        .value_kind:     by_value
      - .offset:         80
        .size:           4
        .value_kind:     by_value
      - .offset:         84
        .size:           4
        .value_kind:     by_value
      - .offset:         88
        .size:           4
        .value_kind:     by_value
      - .offset:         92
        .size:           12
        .value_kind:     by_value
      - .offset:         104
        .size:           4
        .value_kind:     by_value
      - .offset:         108
        .size:           4
        .value_kind:     by_value
      - .offset:         112
        .size:           4
        .value_kind:     by_value
      - .offset:         116
        .size:           12
        .value_kind:     by_value
      - .offset:         128
        .size:           4
        .value_kind:     by_value
      - .offset:         132
        .size:           4
        .value_kind:     by_value
      - .offset:         136
        .size:           4
        .value_kind:     by_value
      - .offset:         140
        .size:           4
        .value_kind:     by_value
    .group_segment_fixed_size: 0
    .kernarg_segment_align: 8
    .kernarg_segment_size: 144
    .language:       OpenCL C
    .language_version:
      - 2
      - 0
    .max_flat_workgroup_size: 64
    .name:           _ZL13mul_mat_vec_qIL9ggml_type20ELi6ELb0ELb0EEvPKvS2_PKi31ggml_cuda_mm_fusion_args_devicePfj15HIP_vector_typeIjLj3EEjjjS8_jjjS8_jjjj
    .private_segment_fixed_size: 0
    .sgpr_count:     32
    .sgpr_spill_count: 0
    .symbol:         _ZL13mul_mat_vec_qIL9ggml_type20ELi6ELb0ELb0EEvPKvS2_PKi31ggml_cuda_mm_fusion_args_devicePfj15HIP_vector_typeIjLj3EEjjjS8_jjjS8_jjjj.kd
    .uniform_work_group_size: 1
    .uses_dynamic_stack: false
    .vgpr_count:     41
    .vgpr_spill_count: 0
    .wavefront_size: 64
  - .args:
      - .address_space:  global
        .offset:         0
        .size:           8
        .value_kind:     global_buffer
      - .address_space:  global
        .offset:         8
        .size:           8
        .value_kind:     global_buffer
      - .address_space:  global
        .offset:         16
        .size:           8
        .value_kind:     global_buffer
      - .offset:         24
        .size:           32
        .value_kind:     by_value
      - .address_space:  global
        .offset:         56
        .size:           8
        .value_kind:     global_buffer
      - .offset:         64
        .size:           4
        .value_kind:     by_value
      - .offset:         68
        .size:           12
        .value_kind:     by_value
      - .offset:         80
        .size:           4
        .value_kind:     by_value
      - .offset:         84
        .size:           4
        .value_kind:     by_value
      - .offset:         88
        .size:           4
        .value_kind:     by_value
      - .offset:         92
        .size:           12
        .value_kind:     by_value
      - .offset:         104
        .size:           4
        .value_kind:     by_value
      - .offset:         108
        .size:           4
        .value_kind:     by_value
      - .offset:         112
        .size:           4
        .value_kind:     by_value
      - .offset:         116
        .size:           12
        .value_kind:     by_value
      - .offset:         128
        .size:           4
        .value_kind:     by_value
      - .offset:         132
        .size:           4
        .value_kind:     by_value
      - .offset:         136
        .size:           4
        .value_kind:     by_value
      - .offset:         140
        .size:           4
        .value_kind:     by_value
    .group_segment_fixed_size: 0
    .kernarg_segment_align: 8
    .kernarg_segment_size: 144
    .language:       OpenCL C
    .language_version:
      - 2
      - 0
    .max_flat_workgroup_size: 64
    .name:           _ZL13mul_mat_vec_qIL9ggml_type20ELi7ELb0ELb0EEvPKvS2_PKi31ggml_cuda_mm_fusion_args_devicePfj15HIP_vector_typeIjLj3EEjjjS8_jjjS8_jjjj
    .private_segment_fixed_size: 0
    .sgpr_count:     34
    .sgpr_spill_count: 0
    .symbol:         _ZL13mul_mat_vec_qIL9ggml_type20ELi7ELb0ELb0EEvPKvS2_PKi31ggml_cuda_mm_fusion_args_devicePfj15HIP_vector_typeIjLj3EEjjjS8_jjjS8_jjjj.kd
    .uniform_work_group_size: 1
    .uses_dynamic_stack: false
    .vgpr_count:     43
    .vgpr_spill_count: 0
    .wavefront_size: 64
  - .args:
      - .address_space:  global
        .offset:         0
        .size:           8
        .value_kind:     global_buffer
      - .address_space:  global
        .offset:         8
        .size:           8
        .value_kind:     global_buffer
      - .address_space:  global
        .offset:         16
        .size:           8
        .value_kind:     global_buffer
      - .offset:         24
        .size:           32
        .value_kind:     by_value
      - .address_space:  global
        .offset:         56
        .size:           8
        .value_kind:     global_buffer
      - .offset:         64
        .size:           4
        .value_kind:     by_value
      - .offset:         68
        .size:           12
        .value_kind:     by_value
      - .offset:         80
        .size:           4
        .value_kind:     by_value
      - .offset:         84
        .size:           4
        .value_kind:     by_value
      - .offset:         88
        .size:           4
        .value_kind:     by_value
      - .offset:         92
        .size:           12
        .value_kind:     by_value
      - .offset:         104
        .size:           4
        .value_kind:     by_value
      - .offset:         108
        .size:           4
        .value_kind:     by_value
      - .offset:         112
        .size:           4
        .value_kind:     by_value
      - .offset:         116
        .size:           12
        .value_kind:     by_value
      - .offset:         128
        .size:           4
        .value_kind:     by_value
      - .offset:         132
        .size:           4
        .value_kind:     by_value
      - .offset:         136
        .size:           4
        .value_kind:     by_value
      - .offset:         140
        .size:           4
        .value_kind:     by_value
    .group_segment_fixed_size: 0
    .kernarg_segment_align: 8
    .kernarg_segment_size: 144
    .language:       OpenCL C
    .language_version:
      - 2
      - 0
    .max_flat_workgroup_size: 64
    .name:           _ZL13mul_mat_vec_qIL9ggml_type20ELi8ELb0ELb0EEvPKvS2_PKi31ggml_cuda_mm_fusion_args_devicePfj15HIP_vector_typeIjLj3EEjjjS8_jjjS8_jjjj
    .private_segment_fixed_size: 0
    .sgpr_count:     34
    .sgpr_spill_count: 0
    .symbol:         _ZL13mul_mat_vec_qIL9ggml_type20ELi8ELb0ELb0EEvPKvS2_PKi31ggml_cuda_mm_fusion_args_devicePfj15HIP_vector_typeIjLj3EEjjjS8_jjjS8_jjjj.kd
    .uniform_work_group_size: 1
    .uses_dynamic_stack: false
    .vgpr_count:     45
    .vgpr_spill_count: 0
    .wavefront_size: 64
  - .args:
      - .address_space:  global
        .offset:         0
        .size:           8
        .value_kind:     global_buffer
      - .address_space:  global
        .offset:         8
        .size:           8
        .value_kind:     global_buffer
      - .address_space:  global
        .offset:         16
        .size:           8
        .value_kind:     global_buffer
      - .address_space:  global
        .offset:         24
        .size:           8
        .value_kind:     global_buffer
      - .offset:         32
        .size:           4
        .value_kind:     by_value
      - .offset:         36
        .size:           12
        .value_kind:     by_value
      - .offset:         48
        .size:           4
        .value_kind:     by_value
      - .offset:         52
        .size:           4
        .value_kind:     by_value
      - .offset:         56
        .size:           4
        .value_kind:     by_value
      - .offset:         60
        .size:           4
        .value_kind:     by_value
      - .offset:         64
        .size:           4
        .value_kind:     by_value
      - .offset:         68
        .size:           4
        .value_kind:     by_value
      - .offset:         72
        .size:           4
        .value_kind:     by_value
      - .offset:         76
        .size:           4
        .value_kind:     by_value
      - .offset:         80
        .size:           4
        .value_kind:     by_value
    .group_segment_fixed_size: 0
    .kernarg_segment_align: 8
    .kernarg_segment_size: 84
    .language:       OpenCL C
    .language_version:
      - 2
      - 0
    .max_flat_workgroup_size: 256
    .name:           _ZL17mul_mat_vec_q_moeIL9ggml_type23ELi2EEvPKvS2_PKiPfj15HIP_vector_typeIjLj3EEjjjjjjjjj
    .private_segment_fixed_size: 0
    .sgpr_count:     33
    .sgpr_spill_count: 0
    .symbol:         _ZL17mul_mat_vec_q_moeIL9ggml_type23ELi2EEvPKvS2_PKiPfj15HIP_vector_typeIjLj3EEjjjjjjjjj.kd
    .uniform_work_group_size: 1
    .uses_dynamic_stack: false
    .vgpr_count:     52
    .vgpr_spill_count: 0
    .wavefront_size: 64
  - .args:
      - .address_space:  global
        .offset:         0
        .size:           8
        .value_kind:     global_buffer
      - .address_space:  global
        .offset:         8
        .size:           8
        .value_kind:     global_buffer
      - .address_space:  global
        .offset:         16
        .size:           8
        .value_kind:     global_buffer
      - .offset:         24
        .size:           32
        .value_kind:     by_value
      - .address_space:  global
        .offset:         56
        .size:           8
        .value_kind:     global_buffer
      - .offset:         64
        .size:           4
        .value_kind:     by_value
      - .offset:         68
        .size:           12
        .value_kind:     by_value
      - .offset:         80
        .size:           4
        .value_kind:     by_value
      - .offset:         84
        .size:           4
        .value_kind:     by_value
      - .offset:         88
        .size:           4
        .value_kind:     by_value
      - .offset:         92
        .size:           12
        .value_kind:     by_value
      - .offset:         104
        .size:           4
        .value_kind:     by_value
      - .offset:         108
        .size:           4
        .value_kind:     by_value
      - .offset:         112
        .size:           4
        .value_kind:     by_value
      - .offset:         116
        .size:           12
        .value_kind:     by_value
      - .offset:         128
        .size:           4
        .value_kind:     by_value
      - .offset:         132
        .size:           4
        .value_kind:     by_value
      - .offset:         136
        .size:           4
        .value_kind:     by_value
      - .offset:         140
        .size:           4
        .value_kind:     by_value
    .group_segment_fixed_size: 1024
    .kernarg_segment_align: 8
    .kernarg_segment_size: 144
    .language:       OpenCL C
    .language_version:
      - 2
      - 0
    .max_flat_workgroup_size: 128
    .name:           _ZL13mul_mat_vec_qIL9ggml_type23ELi1ELb1ELb1EEvPKvS2_PKi31ggml_cuda_mm_fusion_args_devicePfj15HIP_vector_typeIjLj3EEjjjS8_jjjS8_jjjj
    .private_segment_fixed_size: 0
    .sgpr_count:     48
    .sgpr_spill_count: 0
    .symbol:         _ZL13mul_mat_vec_qIL9ggml_type23ELi1ELb1ELb1EEvPKvS2_PKi31ggml_cuda_mm_fusion_args_devicePfj15HIP_vector_typeIjLj3EEjjjS8_jjjS8_jjjj.kd
    .uniform_work_group_size: 1
    .uses_dynamic_stack: false
    .vgpr_count:     63
    .vgpr_spill_count: 0
    .wavefront_size: 64
  - .args:
      - .address_space:  global
        .offset:         0
        .size:           8
        .value_kind:     global_buffer
      - .address_space:  global
        .offset:         8
        .size:           8
        .value_kind:     global_buffer
      - .address_space:  global
        .offset:         16
        .size:           8
        .value_kind:     global_buffer
      - .offset:         24
        .size:           32
        .value_kind:     by_value
      - .address_space:  global
        .offset:         56
        .size:           8
        .value_kind:     global_buffer
      - .offset:         64
        .size:           4
        .value_kind:     by_value
      - .offset:         68
        .size:           12
        .value_kind:     by_value
      - .offset:         80
        .size:           4
        .value_kind:     by_value
      - .offset:         84
        .size:           4
        .value_kind:     by_value
      - .offset:         88
        .size:           4
        .value_kind:     by_value
      - .offset:         92
        .size:           12
        .value_kind:     by_value
      - .offset:         104
        .size:           4
        .value_kind:     by_value
      - .offset:         108
        .size:           4
        .value_kind:     by_value
      - .offset:         112
        .size:           4
        .value_kind:     by_value
      - .offset:         116
        .size:           12
        .value_kind:     by_value
      - .offset:         128
        .size:           4
        .value_kind:     by_value
      - .offset:         132
        .size:           4
        .value_kind:     by_value
      - .offset:         136
        .size:           4
        .value_kind:     by_value
      - .offset:         140
        .size:           4
        .value_kind:     by_value
    .group_segment_fixed_size: 512
    .kernarg_segment_align: 8
    .kernarg_segment_size: 144
    .language:       OpenCL C
    .language_version:
      - 2
      - 0
    .max_flat_workgroup_size: 128
    .name:           _ZL13mul_mat_vec_qIL9ggml_type23ELi1ELb0ELb1EEvPKvS2_PKi31ggml_cuda_mm_fusion_args_devicePfj15HIP_vector_typeIjLj3EEjjjS8_jjjS8_jjjj
    .private_segment_fixed_size: 0
    .sgpr_count:     28
    .sgpr_spill_count: 0
    .symbol:         _ZL13mul_mat_vec_qIL9ggml_type23ELi1ELb0ELb1EEvPKvS2_PKi31ggml_cuda_mm_fusion_args_devicePfj15HIP_vector_typeIjLj3EEjjjS8_jjjS8_jjjj.kd
    .uniform_work_group_size: 1
    .uses_dynamic_stack: false
    .vgpr_count:     36
    .vgpr_spill_count: 0
    .wavefront_size: 64
  - .args:
      - .address_space:  global
        .offset:         0
        .size:           8
        .value_kind:     global_buffer
      - .address_space:  global
        .offset:         8
        .size:           8
        .value_kind:     global_buffer
      - .address_space:  global
        .offset:         16
        .size:           8
        .value_kind:     global_buffer
      - .offset:         24
        .size:           32
        .value_kind:     by_value
      - .address_space:  global
        .offset:         56
        .size:           8
        .value_kind:     global_buffer
      - .offset:         64
        .size:           4
        .value_kind:     by_value
      - .offset:         68
        .size:           12
        .value_kind:     by_value
      - .offset:         80
        .size:           4
        .value_kind:     by_value
      - .offset:         84
        .size:           4
        .value_kind:     by_value
      - .offset:         88
        .size:           4
        .value_kind:     by_value
      - .offset:         92
        .size:           12
        .value_kind:     by_value
      - .offset:         104
        .size:           4
        .value_kind:     by_value
      - .offset:         108
        .size:           4
        .value_kind:     by_value
      - .offset:         112
        .size:           4
        .value_kind:     by_value
      - .offset:         116
        .size:           12
        .value_kind:     by_value
      - .offset:         128
        .size:           4
        .value_kind:     by_value
      - .offset:         132
        .size:           4
        .value_kind:     by_value
      - .offset:         136
        .size:           4
        .value_kind:     by_value
      - .offset:         140
        .size:           4
        .value_kind:     by_value
    .group_segment_fixed_size: 512
    .kernarg_segment_align: 8
    .kernarg_segment_size: 144
    .language:       OpenCL C
    .language_version:
      - 2
      - 0
    .max_flat_workgroup_size: 128
    .name:           _ZL13mul_mat_vec_qIL9ggml_type23ELi1ELb1ELb0EEvPKvS2_PKi31ggml_cuda_mm_fusion_args_devicePfj15HIP_vector_typeIjLj3EEjjjS8_jjjS8_jjjj
    .private_segment_fixed_size: 0
    .sgpr_count:     46
    .sgpr_spill_count: 0
    .symbol:         _ZL13mul_mat_vec_qIL9ggml_type23ELi1ELb1ELb0EEvPKvS2_PKi31ggml_cuda_mm_fusion_args_devicePfj15HIP_vector_typeIjLj3EEjjjS8_jjjS8_jjjj.kd
    .uniform_work_group_size: 1
    .uses_dynamic_stack: false
    .vgpr_count:     47
    .vgpr_spill_count: 0
    .wavefront_size: 64
  - .args:
      - .address_space:  global
        .offset:         0
        .size:           8
        .value_kind:     global_buffer
      - .address_space:  global
        .offset:         8
        .size:           8
        .value_kind:     global_buffer
      - .address_space:  global
        .offset:         16
        .size:           8
        .value_kind:     global_buffer
      - .offset:         24
        .size:           32
        .value_kind:     by_value
      - .address_space:  global
        .offset:         56
        .size:           8
        .value_kind:     global_buffer
      - .offset:         64
        .size:           4
        .value_kind:     by_value
      - .offset:         68
        .size:           12
        .value_kind:     by_value
      - .offset:         80
        .size:           4
        .value_kind:     by_value
      - .offset:         84
        .size:           4
        .value_kind:     by_value
      - .offset:         88
        .size:           4
        .value_kind:     by_value
      - .offset:         92
        .size:           12
        .value_kind:     by_value
      - .offset:         104
        .size:           4
        .value_kind:     by_value
      - .offset:         108
        .size:           4
        .value_kind:     by_value
      - .offset:         112
        .size:           4
        .value_kind:     by_value
      - .offset:         116
        .size:           12
        .value_kind:     by_value
      - .offset:         128
        .size:           4
        .value_kind:     by_value
      - .offset:         132
        .size:           4
        .value_kind:     by_value
      - .offset:         136
        .size:           4
        .value_kind:     by_value
      - .offset:         140
        .size:           4
        .value_kind:     by_value
    .group_segment_fixed_size: 256
    .kernarg_segment_align: 8
    .kernarg_segment_size: 144
    .language:       OpenCL C
    .language_version:
      - 2
      - 0
    .max_flat_workgroup_size: 128
    .name:           _ZL13mul_mat_vec_qIL9ggml_type23ELi1ELb0ELb0EEvPKvS2_PKi31ggml_cuda_mm_fusion_args_devicePfj15HIP_vector_typeIjLj3EEjjjS8_jjjS8_jjjj
    .private_segment_fixed_size: 0
    .sgpr_count:     28
    .sgpr_spill_count: 0
    .symbol:         _ZL13mul_mat_vec_qIL9ggml_type23ELi1ELb0ELb0EEvPKvS2_PKi31ggml_cuda_mm_fusion_args_devicePfj15HIP_vector_typeIjLj3EEjjjS8_jjjS8_jjjj.kd
    .uniform_work_group_size: 1
    .uses_dynamic_stack: false
    .vgpr_count:     35
    .vgpr_spill_count: 0
    .wavefront_size: 64
  - .args:
      - .address_space:  global
        .offset:         0
        .size:           8
        .value_kind:     global_buffer
      - .address_space:  global
        .offset:         8
        .size:           8
        .value_kind:     global_buffer
      - .address_space:  global
        .offset:         16
        .size:           8
        .value_kind:     global_buffer
      - .offset:         24
        .size:           32
        .value_kind:     by_value
      - .address_space:  global
        .offset:         56
        .size:           8
        .value_kind:     global_buffer
      - .offset:         64
        .size:           4
        .value_kind:     by_value
      - .offset:         68
        .size:           12
        .value_kind:     by_value
      - .offset:         80
        .size:           4
        .value_kind:     by_value
      - .offset:         84
        .size:           4
        .value_kind:     by_value
      - .offset:         88
        .size:           4
        .value_kind:     by_value
      - .offset:         92
        .size:           12
        .value_kind:     by_value
      - .offset:         104
        .size:           4
        .value_kind:     by_value
      - .offset:         108
        .size:           4
        .value_kind:     by_value
      - .offset:         112
        .size:           4
        .value_kind:     by_value
      - .offset:         116
        .size:           12
        .value_kind:     by_value
      - .offset:         128
        .size:           4
        .value_kind:     by_value
      - .offset:         132
        .size:           4
        .value_kind:     by_value
      - .offset:         136
        .size:           4
        .value_kind:     by_value
      - .offset:         140
        .size:           4
        .value_kind:     by_value
    .group_segment_fixed_size: 1024
    .kernarg_segment_align: 8
    .kernarg_segment_size: 144
    .language:       OpenCL C
    .language_version:
      - 2
      - 0
    .max_flat_workgroup_size: 128
    .name:           _ZL13mul_mat_vec_qIL9ggml_type23ELi2ELb0ELb0EEvPKvS2_PKi31ggml_cuda_mm_fusion_args_devicePfj15HIP_vector_typeIjLj3EEjjjS8_jjjS8_jjjj
    .private_segment_fixed_size: 0
    .sgpr_count:     30
    .sgpr_spill_count: 0
    .symbol:         _ZL13mul_mat_vec_qIL9ggml_type23ELi2ELb0ELb0EEvPKvS2_PKi31ggml_cuda_mm_fusion_args_devicePfj15HIP_vector_typeIjLj3EEjjjS8_jjjS8_jjjj.kd
    .uniform_work_group_size: 1
    .uses_dynamic_stack: false
    .vgpr_count:     54
    .vgpr_spill_count: 0
    .wavefront_size: 64
  - .args:
      - .address_space:  global
        .offset:         0
        .size:           8
        .value_kind:     global_buffer
      - .address_space:  global
        .offset:         8
        .size:           8
        .value_kind:     global_buffer
      - .address_space:  global
        .offset:         16
        .size:           8
        .value_kind:     global_buffer
      - .offset:         24
        .size:           32
        .value_kind:     by_value
      - .address_space:  global
        .offset:         56
        .size:           8
        .value_kind:     global_buffer
      - .offset:         64
        .size:           4
        .value_kind:     by_value
      - .offset:         68
        .size:           12
        .value_kind:     by_value
      - .offset:         80
        .size:           4
        .value_kind:     by_value
      - .offset:         84
        .size:           4
        .value_kind:     by_value
      - .offset:         88
        .size:           4
        .value_kind:     by_value
      - .offset:         92
        .size:           12
        .value_kind:     by_value
      - .offset:         104
        .size:           4
        .value_kind:     by_value
      - .offset:         108
        .size:           4
        .value_kind:     by_value
      - .offset:         112
        .size:           4
        .value_kind:     by_value
      - .offset:         116
        .size:           12
        .value_kind:     by_value
      - .offset:         128
        .size:           4
        .value_kind:     by_value
      - .offset:         132
        .size:           4
        .value_kind:     by_value
      - .offset:         136
        .size:           4
        .value_kind:     by_value
      - .offset:         140
        .size:           4
        .value_kind:     by_value
    .group_segment_fixed_size: 1536
    .kernarg_segment_align: 8
    .kernarg_segment_size: 144
    .language:       OpenCL C
    .language_version:
      - 2
      - 0
    .max_flat_workgroup_size: 128
    .name:           _ZL13mul_mat_vec_qIL9ggml_type23ELi3ELb0ELb0EEvPKvS2_PKi31ggml_cuda_mm_fusion_args_devicePfj15HIP_vector_typeIjLj3EEjjjS8_jjjS8_jjjj
    .private_segment_fixed_size: 0
    .sgpr_count:     30
    .sgpr_spill_count: 0
    .symbol:         _ZL13mul_mat_vec_qIL9ggml_type23ELi3ELb0ELb0EEvPKvS2_PKi31ggml_cuda_mm_fusion_args_devicePfj15HIP_vector_typeIjLj3EEjjjS8_jjjS8_jjjj.kd
    .uniform_work_group_size: 1
    .uses_dynamic_stack: false
    .vgpr_count:     64
    .vgpr_spill_count: 0
    .wavefront_size: 64
  - .args:
      - .address_space:  global
        .offset:         0
        .size:           8
        .value_kind:     global_buffer
      - .address_space:  global
        .offset:         8
        .size:           8
        .value_kind:     global_buffer
      - .address_space:  global
        .offset:         16
        .size:           8
        .value_kind:     global_buffer
      - .offset:         24
        .size:           32
        .value_kind:     by_value
      - .address_space:  global
        .offset:         56
        .size:           8
        .value_kind:     global_buffer
      - .offset:         64
        .size:           4
        .value_kind:     by_value
      - .offset:         68
        .size:           12
        .value_kind:     by_value
      - .offset:         80
        .size:           4
        .value_kind:     by_value
      - .offset:         84
        .size:           4
        .value_kind:     by_value
      - .offset:         88
        .size:           4
        .value_kind:     by_value
      - .offset:         92
        .size:           12
        .value_kind:     by_value
      - .offset:         104
        .size:           4
        .value_kind:     by_value
      - .offset:         108
        .size:           4
        .value_kind:     by_value
      - .offset:         112
        .size:           4
        .value_kind:     by_value
      - .offset:         116
        .size:           12
        .value_kind:     by_value
      - .offset:         128
        .size:           4
        .value_kind:     by_value
      - .offset:         132
        .size:           4
        .value_kind:     by_value
      - .offset:         136
        .size:           4
        .value_kind:     by_value
      - .offset:         140
        .size:           4
        .value_kind:     by_value
    .group_segment_fixed_size: 2048
    .kernarg_segment_align: 8
    .kernarg_segment_size: 144
    .language:       OpenCL C
    .language_version:
      - 2
      - 0
    .max_flat_workgroup_size: 128
    .name:           _ZL13mul_mat_vec_qIL9ggml_type23ELi4ELb0ELb0EEvPKvS2_PKi31ggml_cuda_mm_fusion_args_devicePfj15HIP_vector_typeIjLj3EEjjjS8_jjjS8_jjjj
    .private_segment_fixed_size: 0
    .sgpr_count:     30
    .sgpr_spill_count: 0
    .symbol:         _ZL13mul_mat_vec_qIL9ggml_type23ELi4ELb0ELb0EEvPKvS2_PKi31ggml_cuda_mm_fusion_args_devicePfj15HIP_vector_typeIjLj3EEjjjS8_jjjS8_jjjj.kd
    .uniform_work_group_size: 1
    .uses_dynamic_stack: false
    .vgpr_count:     58
    .vgpr_spill_count: 0
    .wavefront_size: 64
  - .args:
      - .address_space:  global
        .offset:         0
        .size:           8
        .value_kind:     global_buffer
      - .address_space:  global
        .offset:         8
        .size:           8
        .value_kind:     global_buffer
      - .address_space:  global
        .offset:         16
        .size:           8
        .value_kind:     global_buffer
      - .offset:         24
        .size:           32
        .value_kind:     by_value
      - .address_space:  global
        .offset:         56
        .size:           8
        .value_kind:     global_buffer
      - .offset:         64
        .size:           4
        .value_kind:     by_value
      - .offset:         68
        .size:           12
        .value_kind:     by_value
      - .offset:         80
        .size:           4
        .value_kind:     by_value
      - .offset:         84
        .size:           4
        .value_kind:     by_value
      - .offset:         88
        .size:           4
        .value_kind:     by_value
      - .offset:         92
        .size:           12
        .value_kind:     by_value
      - .offset:         104
        .size:           4
        .value_kind:     by_value
      - .offset:         108
        .size:           4
        .value_kind:     by_value
      - .offset:         112
        .size:           4
        .value_kind:     by_value
      - .offset:         116
        .size:           12
        .value_kind:     by_value
      - .offset:         128
        .size:           4
        .value_kind:     by_value
      - .offset:         132
        .size:           4
        .value_kind:     by_value
      - .offset:         136
        .size:           4
        .value_kind:     by_value
      - .offset:         140
        .size:           4
        .value_kind:     by_value
    .group_segment_fixed_size: 0
    .kernarg_segment_align: 8
    .kernarg_segment_size: 144
    .language:       OpenCL C
    .language_version:
      - 2
      - 0
    .max_flat_workgroup_size: 64
    .name:           _ZL13mul_mat_vec_qIL9ggml_type23ELi5ELb0ELb0EEvPKvS2_PKi31ggml_cuda_mm_fusion_args_devicePfj15HIP_vector_typeIjLj3EEjjjS8_jjjS8_jjjj
    .private_segment_fixed_size: 0
    .sgpr_count:     30
    .sgpr_spill_count: 0
    .symbol:         _ZL13mul_mat_vec_qIL9ggml_type23ELi5ELb0ELb0EEvPKvS2_PKi31ggml_cuda_mm_fusion_args_devicePfj15HIP_vector_typeIjLj3EEjjjS8_jjjS8_jjjj.kd
    .uniform_work_group_size: 1
    .uses_dynamic_stack: false
    .vgpr_count:     57
    .vgpr_spill_count: 0
    .wavefront_size: 64
  - .args:
      - .address_space:  global
        .offset:         0
        .size:           8
        .value_kind:     global_buffer
      - .address_space:  global
        .offset:         8
        .size:           8
        .value_kind:     global_buffer
      - .address_space:  global
        .offset:         16
        .size:           8
        .value_kind:     global_buffer
      - .offset:         24
        .size:           32
        .value_kind:     by_value
      - .address_space:  global
        .offset:         56
        .size:           8
        .value_kind:     global_buffer
      - .offset:         64
        .size:           4
        .value_kind:     by_value
      - .offset:         68
        .size:           12
        .value_kind:     by_value
      - .offset:         80
        .size:           4
        .value_kind:     by_value
      - .offset:         84
        .size:           4
        .value_kind:     by_value
      - .offset:         88
        .size:           4
        .value_kind:     by_value
      - .offset:         92
        .size:           12
        .value_kind:     by_value
      - .offset:         104
        .size:           4
        .value_kind:     by_value
      - .offset:         108
        .size:           4
        .value_kind:     by_value
      - .offset:         112
        .size:           4
        .value_kind:     by_value
      - .offset:         116
        .size:           12
        .value_kind:     by_value
      - .offset:         128
        .size:           4
        .value_kind:     by_value
      - .offset:         132
        .size:           4
        .value_kind:     by_value
      - .offset:         136
        .size:           4
        .value_kind:     by_value
      - .offset:         140
        .size:           4
        .value_kind:     by_value
    .group_segment_fixed_size: 0
    .kernarg_segment_align: 8
    .kernarg_segment_size: 144
    .language:       OpenCL C
    .language_version:
      - 2
      - 0
    .max_flat_workgroup_size: 64
    .name:           _ZL13mul_mat_vec_qIL9ggml_type23ELi6ELb0ELb0EEvPKvS2_PKi31ggml_cuda_mm_fusion_args_devicePfj15HIP_vector_typeIjLj3EEjjjS8_jjjS8_jjjj
    .private_segment_fixed_size: 0
    .sgpr_count:     30
    .sgpr_spill_count: 0
    .symbol:         _ZL13mul_mat_vec_qIL9ggml_type23ELi6ELb0ELb0EEvPKvS2_PKi31ggml_cuda_mm_fusion_args_devicePfj15HIP_vector_typeIjLj3EEjjjS8_jjjS8_jjjj.kd
    .uniform_work_group_size: 1
    .uses_dynamic_stack: false
    .vgpr_count:     59
    .vgpr_spill_count: 0
    .wavefront_size: 64
  - .args:
      - .address_space:  global
        .offset:         0
        .size:           8
        .value_kind:     global_buffer
      - .address_space:  global
        .offset:         8
        .size:           8
        .value_kind:     global_buffer
      - .address_space:  global
        .offset:         16
        .size:           8
        .value_kind:     global_buffer
      - .offset:         24
        .size:           32
        .value_kind:     by_value
      - .address_space:  global
        .offset:         56
        .size:           8
        .value_kind:     global_buffer
      - .offset:         64
        .size:           4
        .value_kind:     by_value
      - .offset:         68
        .size:           12
        .value_kind:     by_value
      - .offset:         80
        .size:           4
        .value_kind:     by_value
      - .offset:         84
        .size:           4
        .value_kind:     by_value
      - .offset:         88
        .size:           4
        .value_kind:     by_value
      - .offset:         92
        .size:           12
        .value_kind:     by_value
      - .offset:         104
        .size:           4
        .value_kind:     by_value
      - .offset:         108
        .size:           4
        .value_kind:     by_value
      - .offset:         112
        .size:           4
        .value_kind:     by_value
      - .offset:         116
        .size:           12
        .value_kind:     by_value
      - .offset:         128
        .size:           4
        .value_kind:     by_value
      - .offset:         132
        .size:           4
        .value_kind:     by_value
      - .offset:         136
        .size:           4
        .value_kind:     by_value
      - .offset:         140
        .size:           4
        .value_kind:     by_value
    .group_segment_fixed_size: 0
    .kernarg_segment_align: 8
    .kernarg_segment_size: 144
    .language:       OpenCL C
    .language_version:
      - 2
      - 0
    .max_flat_workgroup_size: 64
    .name:           _ZL13mul_mat_vec_qIL9ggml_type23ELi7ELb0ELb0EEvPKvS2_PKi31ggml_cuda_mm_fusion_args_devicePfj15HIP_vector_typeIjLj3EEjjjS8_jjjS8_jjjj
    .private_segment_fixed_size: 0
    .sgpr_count:     30
    .sgpr_spill_count: 0
    .symbol:         _ZL13mul_mat_vec_qIL9ggml_type23ELi7ELb0ELb0EEvPKvS2_PKi31ggml_cuda_mm_fusion_args_devicePfj15HIP_vector_typeIjLj3EEjjjS8_jjjS8_jjjj.kd
    .uniform_work_group_size: 1
    .uses_dynamic_stack: false
    .vgpr_count:     61
    .vgpr_spill_count: 0
    .wavefront_size: 64
  - .args:
      - .address_space:  global
        .offset:         0
        .size:           8
        .value_kind:     global_buffer
      - .address_space:  global
        .offset:         8
        .size:           8
        .value_kind:     global_buffer
      - .address_space:  global
        .offset:         16
        .size:           8
        .value_kind:     global_buffer
      - .offset:         24
        .size:           32
        .value_kind:     by_value
      - .address_space:  global
        .offset:         56
        .size:           8
        .value_kind:     global_buffer
      - .offset:         64
        .size:           4
        .value_kind:     by_value
      - .offset:         68
        .size:           12
        .value_kind:     by_value
      - .offset:         80
        .size:           4
        .value_kind:     by_value
      - .offset:         84
        .size:           4
        .value_kind:     by_value
      - .offset:         88
        .size:           4
        .value_kind:     by_value
      - .offset:         92
        .size:           12
        .value_kind:     by_value
      - .offset:         104
        .size:           4
        .value_kind:     by_value
      - .offset:         108
        .size:           4
        .value_kind:     by_value
      - .offset:         112
        .size:           4
        .value_kind:     by_value
      - .offset:         116
        .size:           12
        .value_kind:     by_value
      - .offset:         128
        .size:           4
        .value_kind:     by_value
      - .offset:         132
        .size:           4
        .value_kind:     by_value
      - .offset:         136
        .size:           4
        .value_kind:     by_value
      - .offset:         140
        .size:           4
        .value_kind:     by_value
    .group_segment_fixed_size: 0
    .kernarg_segment_align: 8
    .kernarg_segment_size: 144
    .language:       OpenCL C
    .language_version:
      - 2
      - 0
    .max_flat_workgroup_size: 64
    .name:           _ZL13mul_mat_vec_qIL9ggml_type23ELi8ELb0ELb0EEvPKvS2_PKi31ggml_cuda_mm_fusion_args_devicePfj15HIP_vector_typeIjLj3EEjjjS8_jjjS8_jjjj
    .private_segment_fixed_size: 0
    .sgpr_count:     31
    .sgpr_spill_count: 0
    .symbol:         _ZL13mul_mat_vec_qIL9ggml_type23ELi8ELb0ELb0EEvPKvS2_PKi31ggml_cuda_mm_fusion_args_devicePfj15HIP_vector_typeIjLj3EEjjjS8_jjjS8_jjjj.kd
    .uniform_work_group_size: 1
    .uses_dynamic_stack: false
    .vgpr_count:     63
    .vgpr_spill_count: 0
    .wavefront_size: 64
  - .args:
      - .address_space:  global
        .offset:         0
        .size:           8
        .value_kind:     global_buffer
      - .address_space:  global
        .offset:         8
        .size:           8
        .value_kind:     global_buffer
      - .address_space:  global
        .offset:         16
        .size:           8
        .value_kind:     global_buffer
      - .address_space:  global
        .offset:         24
        .size:           8
        .value_kind:     global_buffer
      - .offset:         32
        .size:           4
        .value_kind:     by_value
      - .offset:         36
        .size:           12
        .value_kind:     by_value
      - .offset:         48
        .size:           4
        .value_kind:     by_value
      - .offset:         52
        .size:           4
        .value_kind:     by_value
      - .offset:         56
        .size:           4
        .value_kind:     by_value
      - .offset:         60
        .size:           4
        .value_kind:     by_value
      - .offset:         64
        .size:           4
        .value_kind:     by_value
      - .offset:         68
        .size:           4
        .value_kind:     by_value
      - .offset:         72
        .size:           4
        .value_kind:     by_value
      - .offset:         76
        .size:           4
        .value_kind:     by_value
      - .offset:         80
        .size:           4
        .value_kind:     by_value
    .group_segment_fixed_size: 0
    .kernarg_segment_align: 8
    .kernarg_segment_size: 84
    .language:       OpenCL C
    .language_version:
      - 2
      - 0
    .max_flat_workgroup_size: 256
    .name:           _ZL17mul_mat_vec_q_moeIL9ggml_type21ELi2EEvPKvS2_PKiPfj15HIP_vector_typeIjLj3EEjjjjjjjjj
    .private_segment_fixed_size: 0
    .sgpr_count:     33
    .sgpr_spill_count: 0
    .symbol:         _ZL17mul_mat_vec_q_moeIL9ggml_type21ELi2EEvPKvS2_PKiPfj15HIP_vector_typeIjLj3EEjjjjjjjjj.kd
    .uniform_work_group_size: 1
    .uses_dynamic_stack: false
    .vgpr_count:     47
    .vgpr_spill_count: 0
    .wavefront_size: 64
  - .args:
      - .address_space:  global
        .offset:         0
        .size:           8
        .value_kind:     global_buffer
      - .address_space:  global
        .offset:         8
        .size:           8
        .value_kind:     global_buffer
      - .address_space:  global
        .offset:         16
        .size:           8
        .value_kind:     global_buffer
      - .offset:         24
        .size:           32
        .value_kind:     by_value
      - .address_space:  global
        .offset:         56
        .size:           8
        .value_kind:     global_buffer
      - .offset:         64
        .size:           4
        .value_kind:     by_value
      - .offset:         68
        .size:           12
        .value_kind:     by_value
      - .offset:         80
        .size:           4
        .value_kind:     by_value
      - .offset:         84
        .size:           4
        .value_kind:     by_value
      - .offset:         88
        .size:           4
        .value_kind:     by_value
      - .offset:         92
        .size:           12
        .value_kind:     by_value
      - .offset:         104
        .size:           4
        .value_kind:     by_value
      - .offset:         108
        .size:           4
        .value_kind:     by_value
      - .offset:         112
        .size:           4
        .value_kind:     by_value
      - .offset:         116
        .size:           12
        .value_kind:     by_value
      - .offset:         128
        .size:           4
        .value_kind:     by_value
      - .offset:         132
        .size:           4
        .value_kind:     by_value
      - .offset:         136
        .size:           4
        .value_kind:     by_value
      - .offset:         140
        .size:           4
        .value_kind:     by_value
    .group_segment_fixed_size: 1024
    .kernarg_segment_align: 8
    .kernarg_segment_size: 144
    .language:       OpenCL C
    .language_version:
      - 2
      - 0
    .max_flat_workgroup_size: 128
    .name:           _ZL13mul_mat_vec_qIL9ggml_type21ELi1ELb1ELb1EEvPKvS2_PKi31ggml_cuda_mm_fusion_args_devicePfj15HIP_vector_typeIjLj3EEjjjS8_jjjS8_jjjj
    .private_segment_fixed_size: 0
    .sgpr_count:     96
    .sgpr_spill_count: 0
    .symbol:         _ZL13mul_mat_vec_qIL9ggml_type21ELi1ELb1ELb1EEvPKvS2_PKi31ggml_cuda_mm_fusion_args_devicePfj15HIP_vector_typeIjLj3EEjjjS8_jjjS8_jjjj.kd
    .uniform_work_group_size: 1
    .uses_dynamic_stack: false
    .vgpr_count:     102
    .vgpr_spill_count: 0
    .wavefront_size: 64
  - .args:
      - .address_space:  global
        .offset:         0
        .size:           8
        .value_kind:     global_buffer
      - .address_space:  global
        .offset:         8
        .size:           8
        .value_kind:     global_buffer
      - .address_space:  global
        .offset:         16
        .size:           8
        .value_kind:     global_buffer
      - .offset:         24
        .size:           32
        .value_kind:     by_value
      - .address_space:  global
        .offset:         56
        .size:           8
        .value_kind:     global_buffer
      - .offset:         64
        .size:           4
        .value_kind:     by_value
      - .offset:         68
        .size:           12
        .value_kind:     by_value
      - .offset:         80
        .size:           4
        .value_kind:     by_value
      - .offset:         84
        .size:           4
        .value_kind:     by_value
      - .offset:         88
        .size:           4
        .value_kind:     by_value
      - .offset:         92
        .size:           12
        .value_kind:     by_value
      - .offset:         104
        .size:           4
        .value_kind:     by_value
      - .offset:         108
        .size:           4
        .value_kind:     by_value
      - .offset:         112
        .size:           4
        .value_kind:     by_value
      - .offset:         116
        .size:           12
        .value_kind:     by_value
      - .offset:         128
        .size:           4
        .value_kind:     by_value
      - .offset:         132
        .size:           4
        .value_kind:     by_value
      - .offset:         136
        .size:           4
        .value_kind:     by_value
      - .offset:         140
        .size:           4
        .value_kind:     by_value
    .group_segment_fixed_size: 512
    .kernarg_segment_align: 8
    .kernarg_segment_size: 144
    .language:       OpenCL C
    .language_version:
      - 2
      - 0
    .max_flat_workgroup_size: 128
    .name:           _ZL13mul_mat_vec_qIL9ggml_type21ELi1ELb0ELb1EEvPKvS2_PKi31ggml_cuda_mm_fusion_args_devicePfj15HIP_vector_typeIjLj3EEjjjS8_jjjS8_jjjj
    .private_segment_fixed_size: 0
    .sgpr_count:     28
    .sgpr_spill_count: 0
    .symbol:         _ZL13mul_mat_vec_qIL9ggml_type21ELi1ELb0ELb1EEvPKvS2_PKi31ggml_cuda_mm_fusion_args_devicePfj15HIP_vector_typeIjLj3EEjjjS8_jjjS8_jjjj.kd
    .uniform_work_group_size: 1
    .uses_dynamic_stack: false
    .vgpr_count:     45
    .vgpr_spill_count: 0
    .wavefront_size: 64
  - .args:
      - .address_space:  global
        .offset:         0
        .size:           8
        .value_kind:     global_buffer
      - .address_space:  global
        .offset:         8
        .size:           8
        .value_kind:     global_buffer
      - .address_space:  global
        .offset:         16
        .size:           8
        .value_kind:     global_buffer
      - .offset:         24
        .size:           32
        .value_kind:     by_value
      - .address_space:  global
        .offset:         56
        .size:           8
        .value_kind:     global_buffer
      - .offset:         64
        .size:           4
        .value_kind:     by_value
      - .offset:         68
        .size:           12
        .value_kind:     by_value
      - .offset:         80
        .size:           4
        .value_kind:     by_value
      - .offset:         84
        .size:           4
        .value_kind:     by_value
      - .offset:         88
        .size:           4
        .value_kind:     by_value
      - .offset:         92
        .size:           12
        .value_kind:     by_value
      - .offset:         104
        .size:           4
        .value_kind:     by_value
      - .offset:         108
        .size:           4
        .value_kind:     by_value
      - .offset:         112
        .size:           4
        .value_kind:     by_value
      - .offset:         116
        .size:           12
        .value_kind:     by_value
      - .offset:         128
        .size:           4
        .value_kind:     by_value
      - .offset:         132
        .size:           4
        .value_kind:     by_value
      - .offset:         136
        .size:           4
        .value_kind:     by_value
      - .offset:         140
        .size:           4
        .value_kind:     by_value
    .group_segment_fixed_size: 512
    .kernarg_segment_align: 8
    .kernarg_segment_size: 144
    .language:       OpenCL C
    .language_version:
      - 2
      - 0
    .max_flat_workgroup_size: 128
    .name:           _ZL13mul_mat_vec_qIL9ggml_type21ELi1ELb1ELb0EEvPKvS2_PKi31ggml_cuda_mm_fusion_args_devicePfj15HIP_vector_typeIjLj3EEjjjS8_jjjS8_jjjj
    .private_segment_fixed_size: 0
    .sgpr_count:     46
    .sgpr_spill_count: 0
    .symbol:         _ZL13mul_mat_vec_qIL9ggml_type21ELi1ELb1ELb0EEvPKvS2_PKi31ggml_cuda_mm_fusion_args_devicePfj15HIP_vector_typeIjLj3EEjjjS8_jjjS8_jjjj.kd
    .uniform_work_group_size: 1
    .uses_dynamic_stack: false
    .vgpr_count:     62
    .vgpr_spill_count: 0
    .wavefront_size: 64
  - .args:
      - .address_space:  global
        .offset:         0
        .size:           8
        .value_kind:     global_buffer
      - .address_space:  global
        .offset:         8
        .size:           8
        .value_kind:     global_buffer
      - .address_space:  global
        .offset:         16
        .size:           8
        .value_kind:     global_buffer
      - .offset:         24
        .size:           32
        .value_kind:     by_value
      - .address_space:  global
        .offset:         56
        .size:           8
        .value_kind:     global_buffer
      - .offset:         64
        .size:           4
        .value_kind:     by_value
      - .offset:         68
        .size:           12
        .value_kind:     by_value
      - .offset:         80
        .size:           4
        .value_kind:     by_value
      - .offset:         84
        .size:           4
        .value_kind:     by_value
      - .offset:         88
        .size:           4
        .value_kind:     by_value
      - .offset:         92
        .size:           12
        .value_kind:     by_value
      - .offset:         104
        .size:           4
        .value_kind:     by_value
      - .offset:         108
        .size:           4
        .value_kind:     by_value
      - .offset:         112
        .size:           4
        .value_kind:     by_value
      - .offset:         116
        .size:           12
        .value_kind:     by_value
      - .offset:         128
        .size:           4
        .value_kind:     by_value
      - .offset:         132
        .size:           4
        .value_kind:     by_value
      - .offset:         136
        .size:           4
        .value_kind:     by_value
      - .offset:         140
        .size:           4
        .value_kind:     by_value
    .group_segment_fixed_size: 256
    .kernarg_segment_align: 8
    .kernarg_segment_size: 144
    .language:       OpenCL C
    .language_version:
      - 2
      - 0
    .max_flat_workgroup_size: 128
    .name:           _ZL13mul_mat_vec_qIL9ggml_type21ELi1ELb0ELb0EEvPKvS2_PKi31ggml_cuda_mm_fusion_args_devicePfj15HIP_vector_typeIjLj3EEjjjS8_jjjS8_jjjj
    .private_segment_fixed_size: 0
    .sgpr_count:     28
    .sgpr_spill_count: 0
    .symbol:         _ZL13mul_mat_vec_qIL9ggml_type21ELi1ELb0ELb0EEvPKvS2_PKi31ggml_cuda_mm_fusion_args_devicePfj15HIP_vector_typeIjLj3EEjjjS8_jjjS8_jjjj.kd
    .uniform_work_group_size: 1
    .uses_dynamic_stack: false
    .vgpr_count:     42
    .vgpr_spill_count: 0
    .wavefront_size: 64
  - .args:
      - .address_space:  global
        .offset:         0
        .size:           8
        .value_kind:     global_buffer
      - .address_space:  global
        .offset:         8
        .size:           8
        .value_kind:     global_buffer
      - .address_space:  global
        .offset:         16
        .size:           8
        .value_kind:     global_buffer
      - .offset:         24
        .size:           32
        .value_kind:     by_value
      - .address_space:  global
        .offset:         56
        .size:           8
        .value_kind:     global_buffer
      - .offset:         64
        .size:           4
        .value_kind:     by_value
      - .offset:         68
        .size:           12
        .value_kind:     by_value
      - .offset:         80
        .size:           4
        .value_kind:     by_value
      - .offset:         84
        .size:           4
        .value_kind:     by_value
      - .offset:         88
        .size:           4
        .value_kind:     by_value
      - .offset:         92
        .size:           12
        .value_kind:     by_value
      - .offset:         104
        .size:           4
        .value_kind:     by_value
      - .offset:         108
        .size:           4
        .value_kind:     by_value
      - .offset:         112
        .size:           4
        .value_kind:     by_value
      - .offset:         116
        .size:           12
        .value_kind:     by_value
      - .offset:         128
        .size:           4
        .value_kind:     by_value
      - .offset:         132
        .size:           4
        .value_kind:     by_value
      - .offset:         136
        .size:           4
        .value_kind:     by_value
      - .offset:         140
        .size:           4
        .value_kind:     by_value
    .group_segment_fixed_size: 1024
    .kernarg_segment_align: 8
    .kernarg_segment_size: 144
    .language:       OpenCL C
    .language_version:
      - 2
      - 0
    .max_flat_workgroup_size: 128
    .name:           _ZL13mul_mat_vec_qIL9ggml_type21ELi2ELb0ELb0EEvPKvS2_PKi31ggml_cuda_mm_fusion_args_devicePfj15HIP_vector_typeIjLj3EEjjjS8_jjjS8_jjjj
    .private_segment_fixed_size: 0
    .sgpr_count:     30
    .sgpr_spill_count: 0
    .symbol:         _ZL13mul_mat_vec_qIL9ggml_type21ELi2ELb0ELb0EEvPKvS2_PKi31ggml_cuda_mm_fusion_args_devicePfj15HIP_vector_typeIjLj3EEjjjS8_jjjS8_jjjj.kd
    .uniform_work_group_size: 1
    .uses_dynamic_stack: false
    .vgpr_count:     60
    .vgpr_spill_count: 0
    .wavefront_size: 64
  - .args:
      - .address_space:  global
        .offset:         0
        .size:           8
        .value_kind:     global_buffer
      - .address_space:  global
        .offset:         8
        .size:           8
        .value_kind:     global_buffer
      - .address_space:  global
        .offset:         16
        .size:           8
        .value_kind:     global_buffer
      - .offset:         24
        .size:           32
        .value_kind:     by_value
      - .address_space:  global
        .offset:         56
        .size:           8
        .value_kind:     global_buffer
      - .offset:         64
        .size:           4
        .value_kind:     by_value
      - .offset:         68
        .size:           12
        .value_kind:     by_value
      - .offset:         80
        .size:           4
        .value_kind:     by_value
      - .offset:         84
        .size:           4
        .value_kind:     by_value
      - .offset:         88
        .size:           4
        .value_kind:     by_value
      - .offset:         92
        .size:           12
        .value_kind:     by_value
      - .offset:         104
        .size:           4
        .value_kind:     by_value
      - .offset:         108
        .size:           4
        .value_kind:     by_value
      - .offset:         112
        .size:           4
        .value_kind:     by_value
      - .offset:         116
        .size:           12
        .value_kind:     by_value
      - .offset:         128
        .size:           4
        .value_kind:     by_value
      - .offset:         132
        .size:           4
        .value_kind:     by_value
      - .offset:         136
        .size:           4
        .value_kind:     by_value
      - .offset:         140
        .size:           4
        .value_kind:     by_value
    .group_segment_fixed_size: 1536
    .kernarg_segment_align: 8
    .kernarg_segment_size: 144
    .language:       OpenCL C
    .language_version:
      - 2
      - 0
    .max_flat_workgroup_size: 128
    .name:           _ZL13mul_mat_vec_qIL9ggml_type21ELi3ELb0ELb0EEvPKvS2_PKi31ggml_cuda_mm_fusion_args_devicePfj15HIP_vector_typeIjLj3EEjjjS8_jjjS8_jjjj
    .private_segment_fixed_size: 0
    .sgpr_count:     30
    .sgpr_spill_count: 0
    .symbol:         _ZL13mul_mat_vec_qIL9ggml_type21ELi3ELb0ELb0EEvPKvS2_PKi31ggml_cuda_mm_fusion_args_devicePfj15HIP_vector_typeIjLj3EEjjjS8_jjjS8_jjjj.kd
    .uniform_work_group_size: 1
    .uses_dynamic_stack: false
    .vgpr_count:     63
    .vgpr_spill_count: 0
    .wavefront_size: 64
  - .args:
      - .address_space:  global
        .offset:         0
        .size:           8
        .value_kind:     global_buffer
      - .address_space:  global
        .offset:         8
        .size:           8
        .value_kind:     global_buffer
      - .address_space:  global
        .offset:         16
        .size:           8
        .value_kind:     global_buffer
      - .offset:         24
        .size:           32
        .value_kind:     by_value
      - .address_space:  global
        .offset:         56
        .size:           8
        .value_kind:     global_buffer
      - .offset:         64
        .size:           4
        .value_kind:     by_value
      - .offset:         68
        .size:           12
        .value_kind:     by_value
      - .offset:         80
        .size:           4
        .value_kind:     by_value
      - .offset:         84
        .size:           4
        .value_kind:     by_value
      - .offset:         88
        .size:           4
        .value_kind:     by_value
      - .offset:         92
        .size:           12
        .value_kind:     by_value
      - .offset:         104
        .size:           4
        .value_kind:     by_value
      - .offset:         108
        .size:           4
        .value_kind:     by_value
      - .offset:         112
        .size:           4
        .value_kind:     by_value
      - .offset:         116
        .size:           12
        .value_kind:     by_value
      - .offset:         128
        .size:           4
        .value_kind:     by_value
      - .offset:         132
        .size:           4
        .value_kind:     by_value
      - .offset:         136
        .size:           4
        .value_kind:     by_value
      - .offset:         140
        .size:           4
        .value_kind:     by_value
    .group_segment_fixed_size: 2048
    .kernarg_segment_align: 8
    .kernarg_segment_size: 144
    .language:       OpenCL C
    .language_version:
      - 2
      - 0
    .max_flat_workgroup_size: 128
    .name:           _ZL13mul_mat_vec_qIL9ggml_type21ELi4ELb0ELb0EEvPKvS2_PKi31ggml_cuda_mm_fusion_args_devicePfj15HIP_vector_typeIjLj3EEjjjS8_jjjS8_jjjj
    .private_segment_fixed_size: 0
    .sgpr_count:     30
    .sgpr_spill_count: 0
    .symbol:         _ZL13mul_mat_vec_qIL9ggml_type21ELi4ELb0ELb0EEvPKvS2_PKi31ggml_cuda_mm_fusion_args_devicePfj15HIP_vector_typeIjLj3EEjjjS8_jjjS8_jjjj.kd
    .uniform_work_group_size: 1
    .uses_dynamic_stack: false
    .vgpr_count:     66
    .vgpr_spill_count: 0
    .wavefront_size: 64
  - .args:
      - .address_space:  global
        .offset:         0
        .size:           8
        .value_kind:     global_buffer
      - .address_space:  global
        .offset:         8
        .size:           8
        .value_kind:     global_buffer
      - .address_space:  global
        .offset:         16
        .size:           8
        .value_kind:     global_buffer
      - .offset:         24
        .size:           32
        .value_kind:     by_value
      - .address_space:  global
        .offset:         56
        .size:           8
        .value_kind:     global_buffer
      - .offset:         64
        .size:           4
        .value_kind:     by_value
      - .offset:         68
        .size:           12
        .value_kind:     by_value
      - .offset:         80
        .size:           4
        .value_kind:     by_value
      - .offset:         84
        .size:           4
        .value_kind:     by_value
      - .offset:         88
        .size:           4
        .value_kind:     by_value
      - .offset:         92
        .size:           12
        .value_kind:     by_value
      - .offset:         104
        .size:           4
        .value_kind:     by_value
      - .offset:         108
        .size:           4
        .value_kind:     by_value
      - .offset:         112
        .size:           4
        .value_kind:     by_value
      - .offset:         116
        .size:           12
        .value_kind:     by_value
      - .offset:         128
        .size:           4
        .value_kind:     by_value
      - .offset:         132
        .size:           4
        .value_kind:     by_value
      - .offset:         136
        .size:           4
        .value_kind:     by_value
      - .offset:         140
        .size:           4
        .value_kind:     by_value
    .group_segment_fixed_size: 0
    .kernarg_segment_align: 8
    .kernarg_segment_size: 144
    .language:       OpenCL C
    .language_version:
      - 2
      - 0
    .max_flat_workgroup_size: 64
    .name:           _ZL13mul_mat_vec_qIL9ggml_type21ELi5ELb0ELb0EEvPKvS2_PKi31ggml_cuda_mm_fusion_args_devicePfj15HIP_vector_typeIjLj3EEjjjS8_jjjS8_jjjj
    .private_segment_fixed_size: 0
    .sgpr_count:     34
    .sgpr_spill_count: 0
    .symbol:         _ZL13mul_mat_vec_qIL9ggml_type21ELi5ELb0ELb0EEvPKvS2_PKi31ggml_cuda_mm_fusion_args_devicePfj15HIP_vector_typeIjLj3EEjjjS8_jjjS8_jjjj.kd
    .uniform_work_group_size: 1
    .uses_dynamic_stack: false
    .vgpr_count:     64
    .vgpr_spill_count: 0
    .wavefront_size: 64
  - .args:
      - .address_space:  global
        .offset:         0
        .size:           8
        .value_kind:     global_buffer
      - .address_space:  global
        .offset:         8
        .size:           8
        .value_kind:     global_buffer
      - .address_space:  global
        .offset:         16
        .size:           8
        .value_kind:     global_buffer
      - .offset:         24
        .size:           32
        .value_kind:     by_value
      - .address_space:  global
        .offset:         56
        .size:           8
        .value_kind:     global_buffer
      - .offset:         64
        .size:           4
        .value_kind:     by_value
      - .offset:         68
        .size:           12
        .value_kind:     by_value
      - .offset:         80
        .size:           4
        .value_kind:     by_value
      - .offset:         84
        .size:           4
        .value_kind:     by_value
      - .offset:         88
        .size:           4
        .value_kind:     by_value
      - .offset:         92
        .size:           12
        .value_kind:     by_value
      - .offset:         104
        .size:           4
        .value_kind:     by_value
      - .offset:         108
        .size:           4
        .value_kind:     by_value
      - .offset:         112
        .size:           4
        .value_kind:     by_value
      - .offset:         116
        .size:           12
        .value_kind:     by_value
      - .offset:         128
        .size:           4
        .value_kind:     by_value
      - .offset:         132
        .size:           4
        .value_kind:     by_value
      - .offset:         136
        .size:           4
        .value_kind:     by_value
      - .offset:         140
        .size:           4
        .value_kind:     by_value
    .group_segment_fixed_size: 0
    .kernarg_segment_align: 8
    .kernarg_segment_size: 144
    .language:       OpenCL C
    .language_version:
      - 2
      - 0
    .max_flat_workgroup_size: 64
    .name:           _ZL13mul_mat_vec_qIL9ggml_type21ELi6ELb0ELb0EEvPKvS2_PKi31ggml_cuda_mm_fusion_args_devicePfj15HIP_vector_typeIjLj3EEjjjS8_jjjS8_jjjj
    .private_segment_fixed_size: 0
    .sgpr_count:     34
    .sgpr_spill_count: 0
    .symbol:         _ZL13mul_mat_vec_qIL9ggml_type21ELi6ELb0ELb0EEvPKvS2_PKi31ggml_cuda_mm_fusion_args_devicePfj15HIP_vector_typeIjLj3EEjjjS8_jjjS8_jjjj.kd
    .uniform_work_group_size: 1
    .uses_dynamic_stack: false
    .vgpr_count:     66
    .vgpr_spill_count: 0
    .wavefront_size: 64
  - .args:
      - .address_space:  global
        .offset:         0
        .size:           8
        .value_kind:     global_buffer
      - .address_space:  global
        .offset:         8
        .size:           8
        .value_kind:     global_buffer
      - .address_space:  global
        .offset:         16
        .size:           8
        .value_kind:     global_buffer
      - .offset:         24
        .size:           32
        .value_kind:     by_value
      - .address_space:  global
        .offset:         56
        .size:           8
        .value_kind:     global_buffer
      - .offset:         64
        .size:           4
        .value_kind:     by_value
      - .offset:         68
        .size:           12
        .value_kind:     by_value
      - .offset:         80
        .size:           4
        .value_kind:     by_value
      - .offset:         84
        .size:           4
        .value_kind:     by_value
      - .offset:         88
        .size:           4
        .value_kind:     by_value
      - .offset:         92
        .size:           12
        .value_kind:     by_value
      - .offset:         104
        .size:           4
        .value_kind:     by_value
      - .offset:         108
        .size:           4
        .value_kind:     by_value
      - .offset:         112
        .size:           4
        .value_kind:     by_value
      - .offset:         116
        .size:           12
        .value_kind:     by_value
      - .offset:         128
        .size:           4
        .value_kind:     by_value
      - .offset:         132
        .size:           4
        .value_kind:     by_value
      - .offset:         136
        .size:           4
        .value_kind:     by_value
      - .offset:         140
        .size:           4
        .value_kind:     by_value
    .group_segment_fixed_size: 0
    .kernarg_segment_align: 8
    .kernarg_segment_size: 144
    .language:       OpenCL C
    .language_version:
      - 2
      - 0
    .max_flat_workgroup_size: 64
    .name:           _ZL13mul_mat_vec_qIL9ggml_type21ELi7ELb0ELb0EEvPKvS2_PKi31ggml_cuda_mm_fusion_args_devicePfj15HIP_vector_typeIjLj3EEjjjS8_jjjS8_jjjj
    .private_segment_fixed_size: 0
    .sgpr_count:     36
    .sgpr_spill_count: 0
    .symbol:         _ZL13mul_mat_vec_qIL9ggml_type21ELi7ELb0ELb0EEvPKvS2_PKi31ggml_cuda_mm_fusion_args_devicePfj15HIP_vector_typeIjLj3EEjjjS8_jjjS8_jjjj.kd
    .uniform_work_group_size: 1
    .uses_dynamic_stack: false
    .vgpr_count:     68
    .vgpr_spill_count: 0
    .wavefront_size: 64
  - .args:
      - .address_space:  global
        .offset:         0
        .size:           8
        .value_kind:     global_buffer
      - .address_space:  global
        .offset:         8
        .size:           8
        .value_kind:     global_buffer
      - .address_space:  global
        .offset:         16
        .size:           8
        .value_kind:     global_buffer
      - .offset:         24
        .size:           32
        .value_kind:     by_value
      - .address_space:  global
        .offset:         56
        .size:           8
        .value_kind:     global_buffer
      - .offset:         64
        .size:           4
        .value_kind:     by_value
      - .offset:         68
        .size:           12
        .value_kind:     by_value
      - .offset:         80
        .size:           4
        .value_kind:     by_value
      - .offset:         84
        .size:           4
        .value_kind:     by_value
      - .offset:         88
        .size:           4
        .value_kind:     by_value
      - .offset:         92
        .size:           12
        .value_kind:     by_value
      - .offset:         104
        .size:           4
        .value_kind:     by_value
      - .offset:         108
        .size:           4
        .value_kind:     by_value
      - .offset:         112
        .size:           4
        .value_kind:     by_value
      - .offset:         116
        .size:           12
        .value_kind:     by_value
      - .offset:         128
        .size:           4
        .value_kind:     by_value
      - .offset:         132
        .size:           4
        .value_kind:     by_value
      - .offset:         136
        .size:           4
        .value_kind:     by_value
      - .offset:         140
        .size:           4
        .value_kind:     by_value
    .group_segment_fixed_size: 0
    .kernarg_segment_align: 8
    .kernarg_segment_size: 144
    .language:       OpenCL C
    .language_version:
      - 2
      - 0
    .max_flat_workgroup_size: 64
    .name:           _ZL13mul_mat_vec_qIL9ggml_type21ELi8ELb0ELb0EEvPKvS2_PKi31ggml_cuda_mm_fusion_args_devicePfj15HIP_vector_typeIjLj3EEjjjS8_jjjS8_jjjj
    .private_segment_fixed_size: 0
    .sgpr_count:     36
    .sgpr_spill_count: 0
    .symbol:         _ZL13mul_mat_vec_qIL9ggml_type21ELi8ELb0ELb0EEvPKvS2_PKi31ggml_cuda_mm_fusion_args_devicePfj15HIP_vector_typeIjLj3EEjjjS8_jjjS8_jjjj.kd
    .uniform_work_group_size: 1
    .uses_dynamic_stack: false
    .vgpr_count:     70
    .vgpr_spill_count: 0
    .wavefront_size: 64
amdhsa.target:   amdgcn-amd-amdhsa--gfx906
amdhsa.version:
  - 1
  - 2
...

	.end_amdgpu_metadata
